;; amdgpu-corpus repo=zjin-lcf/HeCBench kind=compiled arch=gfx906 opt=O3
	.amdgcn_target "amdgcn-amd-amdhsa--gfx906"
	.amdhsa_code_object_version 6
	.section	.text._Z11ratt_kernelIfEvPKT_PS0_S0_,"axG",@progbits,_Z11ratt_kernelIfEvPKT_PS0_S0_,comdat
	.protected	_Z11ratt_kernelIfEvPKT_PS0_S0_ ; -- Begin function _Z11ratt_kernelIfEvPKT_PS0_S0_
	.globl	_Z11ratt_kernelIfEvPKT_PS0_S0_
	.p2align	8
	.type	_Z11ratt_kernelIfEvPKT_PS0_S0_,@function
_Z11ratt_kernelIfEvPKT_PS0_S0_:         ; @_Z11ratt_kernelIfEvPKT_PS0_S0_
; %bb.0:
	s_load_dword s0, s[4:5], 0x24
	s_load_dwordx4 s[8:11], s[4:5], 0x0
	s_load_dword s1, s[4:5], 0x10
	s_load_dword s7, s[4:5], 0x18
	v_mov_b32_e32 v1, 0
	s_waitcnt lgkmcnt(0)
	s_and_b32 s0, s0, 0xffff
	s_mul_i32 s6, s6, s0
	v_add_u32_e32 v0, s6, v0
	v_lshlrev_b64 v[8:9], 2, v[0:1]
	v_mov_b32_e32 v3, s9
	v_add_co_u32_e32 v2, vcc, s8, v8
	v_addc_co_u32_e32 v3, vcc, v3, v9, vcc
	global_load_dword v5, v[2:3], off
	s_mul_i32 s7, s7, s0
	v_add_u32_e32 v0, s7, v0
	v_mov_b32_e32 v3, s11
	v_lshlrev_b64 v[10:11], 2, v[0:1]
	v_add_u32_e32 v0, s7, v0
	v_lshlrev_b64 v[12:13], 2, v[0:1]
	s_mov_b32 s2, 0x800000
	v_add_u32_e32 v0, s7, v0
	s_mov_b32 s3, 0x3f317217
	s_mov_b32 s8, 0x7f800000
	v_mov_b32_e32 v4, 0x41b17218
	v_mov_b32_e32 v7, 0x4200330f
	s_mov_b32 s6, 0x3fb8aa3b
	s_mov_b32 s4, 0xc2ce8ed0
	v_mov_b32_e32 v6, 0x412d1dd0
	s_mov_b32 s5, 0x42b17218
	v_mov_b32_e32 v2, 0x7f800000
	s_waitcnt vmcnt(0)
	v_mul_f32_e32 v16, s1, v5
	v_div_scale_f32 v5, s[0:1], v16, v16, 1.0
	v_div_scale_f32 v17, vcc, 1.0, v16, 1.0
	v_add_co_u32_e64 v8, s[0:1], s10, v8
	v_addc_co_u32_e64 v9, s[0:1], v3, v9, s[0:1]
	v_add_co_u32_e64 v10, s[0:1], s10, v10
	v_addc_co_u32_e64 v11, s[0:1], v3, v11, s[0:1]
	;; [unrolled: 2-line block ×3, first 2 shown]
	v_rcp_f32_e32 v18, v5
	v_cmp_gt_f32_e64 s[0:1], s2, v16
	v_cndmask_b32_e64 v4, 0, v4, s[0:1]
	v_fma_f32 v14, -v5, v18, 1.0
	v_fmac_f32_e32 v18, v14, v18
	v_mul_f32_e32 v19, v17, v18
	v_fma_f32 v14, -v5, v19, v17
	v_fmac_f32_e32 v19, v14, v18
	v_fma_f32 v5, -v5, v19, v17
	v_div_fmas_f32 v18, v5, v18, v19
	v_cndmask_b32_e64 v17, 0, 32, s[0:1]
	v_ldexp_f32 v5, v16, v17
	v_log_f32_e32 v5, v5
	v_lshlrev_b64 v[14:15], 2, v[0:1]
	v_mov_b32_e32 v17, 0x419986bc
	v_add_co_u32_e32 v14, vcc, s10, v14
	v_mul_f32_e32 v19, 0x3f317217, v5
	v_fma_f32 v19, v5, s3, -v19
	v_addc_co_u32_e32 v15, vcc, v3, v15, vcc
	v_fmac_f32_e32 v19, 0x3377d1cf, v5
	v_fmac_f32_e32 v19, 0x3f317217, v5
	v_cmp_lt_f32_e64 vcc, |v5|, s8
	v_cndmask_b32_e32 v5, v5, v19, vcc
	v_sub_f32_e32 v5, v5, v4
	v_div_fixup_f32 v4, v18, v16, 1.0
	v_fmac_f32_e32 v7, 0xc5e2a6e5, v4
	v_mul_f32_e32 v16, 0x3fb8aa3b, v7
	v_fma_f32 v18, v7, s6, -v16
	v_rndne_f32_e32 v19, v16
	v_fmac_f32_e32 v18, 0x32a5705f, v7
	v_sub_f32_e32 v16, v16, v19
	v_add_f32_e32 v16, v16, v18
	v_cvt_i32_f32_e32 v19, v19
	v_exp_f32_e32 v16, v16
	v_fmac_f32_e32 v6, 0x402ae148, v5
	v_cmp_ngt_f32_e32 vcc, s4, v7
	v_fmac_f32_e32 v6, 0xc545d3ba, v4
	v_ldexp_f32 v16, v16, v19
	v_cndmask_b32_e32 v16, 0, v16, vcc
	v_cmp_nlt_f32_e32 vcc, s5, v7
	v_fmac_f32_e32 v17, 0x3fc147ae, v5
	v_mul_f32_e32 v19, 0x3fb8aa3b, v6
	v_cndmask_b32_e32 v16, v2, v16, vcc
	v_fmac_f32_e32 v17, 0xc4d7c110, v4
	global_store_dword v[8:9], v16, off
	v_fma_f32 v8, v6, s6, -v19
	v_rndne_f32_e32 v9, v19
	v_mov_b32_e32 v18, 0x4127b9fc
	v_mul_f32_e32 v7, 0x3fb8aa3b, v17
	v_fmac_f32_e32 v8, 0x32a5705f, v6
	v_sub_f32_e32 v19, v19, v9
	v_fmac_f32_e32 v18, 0x4019999a, v5
	v_fma_f32 v16, v17, s6, -v7
	v_add_f32_e32 v8, v19, v8
	v_rndne_f32_e32 v19, v7
	v_fmac_f32_e32 v18, 0x4484b930, v4
	v_fmac_f32_e32 v16, 0x32a5705f, v17
	v_sub_f32_e32 v7, v7, v19
	v_add_f32_e32 v7, v7, v16
	v_mul_f32_e32 v16, 0x3fb8aa3b, v18
	v_cvt_i32_f32_e32 v9, v9
	v_exp_f32_e32 v8, v8
	v_fma_f32 v20, v18, s6, -v16
	v_rndne_f32_e32 v21, v16
	v_fmac_f32_e32 v20, 0x32a5705f, v18
	v_sub_f32_e32 v16, v16, v21
	v_add_f32_e32 v16, v16, v20
	v_ldexp_f32 v8, v8, v9
	v_cvt_i32_f32_e32 v9, v19
	v_exp_f32_e32 v7, v7
	v_cvt_i32_f32_e32 v19, v21
	v_exp_f32_e32 v16, v16
	v_cmp_ngt_f32_e32 vcc, s4, v6
	v_ldexp_f32 v9, v7, v9
	v_mov_b32_e32 v20, 0x421c2783
	v_ldexp_f32 v16, v16, v19
	v_cndmask_b32_e32 v8, 0, v8, vcc
	v_cmp_nlt_f32_e32 vcc, s5, v6
	v_cmp_ngt_f32_e64 s[0:1], s4, v17
	v_cmp_ngt_f32_e64 s[2:3], s4, v18
	v_cndmask_b32_e64 v9, 0, v9, s[0:1]
	v_cmp_nlt_f32_e64 s[0:1], s5, v17
	v_cndmask_b32_e64 v16, 0, v16, s[2:3]
	v_cmp_nlt_f32_e64 s[2:3], s5, v18
	v_cndmask_b32_e32 v8, v2, v8, vcc
	v_fmac_f32_e32 v20, 0xbf19999a, v5
	v_cndmask_b32_e64 v9, v2, v9, s[0:1]
	v_cndmask_b32_e64 v16, v2, v16, s[2:3]
	global_store_dword v[10:11], v8, off
	global_store_dword v[12:13], v9, off
	;; [unrolled: 1-line block ×3, first 2 shown]
	v_mul_f32_e32 v8, 0x3fb8aa3b, v20
	v_fma_f32 v9, v20, s6, -v8
	v_rndne_f32_e32 v10, v8
	v_fmac_f32_e32 v9, 0x32a5705f, v20
	v_sub_f32_e32 v8, v8, v10
	v_add_u32_e32 v0, s7, v0
	v_add_f32_e32 v8, v8, v9
	v_lshlrev_b64 v[6:7], 2, v[0:1]
	v_exp_f32_e32 v8, v8
	v_cvt_i32_f32_e32 v9, v10
	v_add_co_u32_e32 v6, vcc, s10, v6
	v_mul_f32_e32 v18, 0x5d5e0b6b, v4
	v_addc_co_u32_e32 v7, vcc, v3, v7, vcc
	global_store_dword v[6:7], v18, off
	v_ldexp_f32 v6, v8, v9
	v_mov_b32_e32 v9, 0x423629db
	v_fmac_f32_e32 v9, 0xbfa00000, v5
	v_mul_f32_e32 v10, 0x3fb8aa3b, v9
	v_fma_f32 v11, v9, s6, -v10
	v_rndne_f32_e32 v12, v10
	v_cmp_ngt_f32_e32 vcc, s4, v20
	v_fmac_f32_e32 v11, 0x32a5705f, v9
	v_sub_f32_e32 v10, v10, v12
	v_cndmask_b32_e32 v6, 0, v6, vcc
	v_cmp_nlt_f32_e32 vcc, s5, v20
	v_add_u32_e32 v0, s7, v0
	v_add_f32_e32 v10, v10, v11
	v_cndmask_b32_e32 v8, v2, v6, vcc
	v_lshlrev_b64 v[6:7], 2, v[0:1]
	v_exp_f32_e32 v10, v10
	v_cvt_i32_f32_e32 v11, v12
	v_add_co_u32_e32 v6, vcc, s10, v6
	v_addc_co_u32_e32 v7, vcc, v3, v7, vcc
	global_store_dword v[6:7], v8, off
	v_ldexp_f32 v6, v10, v11
	v_cmp_ngt_f32_e32 vcc, s4, v9
	v_cndmask_b32_e32 v6, 0, v6, vcc
	v_cmp_nlt_f32_e32 vcc, s5, v9
	v_add_u32_e32 v0, s7, v0
	v_cndmask_b32_e32 v8, v2, v6, vcc
	v_lshlrev_b64 v[6:7], 2, v[0:1]
	v_add_u32_e32 v0, s7, v0
	v_add_co_u32_e32 v6, vcc, s10, v6
	v_addc_co_u32_e32 v7, vcc, v3, v7, vcc
	global_store_dword v[6:7], v8, off
	v_lshlrev_b64 v[6:7], 2, v[0:1]
	v_mul_f32_e32 v17, v4, v4
	v_add_co_u32_e32 v6, vcc, s10, v6
	v_mul_f32_e32 v8, 0x61ee8644, v17
	v_addc_co_u32_e32 v7, vcc, v3, v7, vcc
	v_add_u32_e32 v0, s7, v0
	global_store_dword v[6:7], v8, off
	v_lshlrev_b64 v[6:7], 2, v[0:1]
	v_mov_b32_e32 v9, 0x4229e794
	v_add_co_u32_e32 v6, vcc, s10, v6
	v_mul_f32_e32 v8, 0x649513eb, v17
	v_addc_co_u32_e32 v7, vcc, v3, v7, vcc
	v_add_u32_e32 v0, s7, v0
	v_fmac_f32_e32 v9, 0xbf5c28f6, v5
	global_store_dword v[6:7], v8, off
	v_lshlrev_b64 v[6:7], 2, v[0:1]
	v_mul_f32_e32 v10, 0x3fb8aa3b, v9
	v_fma_f32 v11, v9, s6, -v10
	v_rndne_f32_e32 v12, v10
	v_add_co_u32_e32 v6, vcc, s10, v6
	v_fmac_f32_e32 v11, 0x32a5705f, v9
	v_sub_f32_e32 v10, v10, v12
	v_mul_f32_e32 v8, 0x5cde0b6b, v4
	v_addc_co_u32_e32 v7, vcc, v3, v7, vcc
	v_add_u32_e32 v0, s7, v0
	v_add_f32_e32 v10, v10, v11
	global_store_dword v[6:7], v8, off
	v_lshlrev_b64 v[6:7], 2, v[0:1]
	v_exp_f32_e32 v10, v10
	v_cvt_i32_f32_e32 v11, v12
	v_add_co_u32_e32 v6, vcc, s10, v6
	v_mul_f32_e32 v8, 0x5bd529af, v4
	v_addc_co_u32_e32 v7, vcc, v3, v7, vcc
	global_store_dword v[6:7], v8, off
	v_ldexp_f32 v6, v10, v11
	v_cmp_ngt_f32_e32 vcc, s4, v9
	v_cndmask_b32_e32 v6, 0, v6, vcc
	v_cmp_nlt_f32_e32 vcc, s5, v9
	v_mov_b32_e32 v9, 0x423c99ec
	v_fmac_f32_e32 v9, 0xbfdc28f6, v5
	v_mul_f32_e32 v10, 0x3fb8aa3b, v9
	v_fma_f32 v11, v9, s6, -v10
	v_rndne_f32_e32 v12, v10
	v_fmac_f32_e32 v11, 0x32a5705f, v9
	v_sub_f32_e32 v10, v10, v12
	v_add_u32_e32 v0, s7, v0
	v_add_f32_e32 v10, v10, v11
	v_cndmask_b32_e32 v8, v2, v6, vcc
	v_lshlrev_b64 v[6:7], 2, v[0:1]
	v_exp_f32_e32 v10, v10
	v_cvt_i32_f32_e32 v11, v12
	v_add_co_u32_e32 v6, vcc, s10, v6
	v_addc_co_u32_e32 v7, vcc, v3, v7, vcc
	global_store_dword v[6:7], v8, off
	v_ldexp_f32 v6, v10, v11
	v_cmp_ngt_f32_e32 vcc, s4, v9
	v_cndmask_b32_e32 v6, 0, v6, vcc
	v_cmp_nlt_f32_e32 vcc, s5, v9
	v_mov_b32_e32 v9, 0x42310121
	v_fmac_f32_e32 v9, 0xbf428f5c, v5
	v_mul_f32_e32 v10, 0x3fb8aa3b, v9
	v_fma_f32 v11, v9, s6, -v10
	v_rndne_f32_e32 v12, v10
	v_fmac_f32_e32 v11, 0x32a5705f, v9
	v_sub_f32_e32 v10, v10, v12
	v_add_u32_e32 v0, s7, v0
	v_add_f32_e32 v10, v10, v11
	v_cndmask_b32_e32 v8, v2, v6, vcc
	v_lshlrev_b64 v[6:7], 2, v[0:1]
	v_exp_f32_e32 v10, v10
	v_cvt_i32_f32_e32 v11, v12
	v_add_co_u32_e32 v6, vcc, s10, v6
	;; [unrolled: 20-line block ×7, first 2 shown]
	v_addc_co_u32_e32 v7, vcc, v3, v7, vcc
	global_store_dword v[6:7], v8, off
	v_ldexp_f32 v6, v10, v11
	v_cmp_ngt_f32_e32 vcc, s4, v9
	v_cndmask_b32_e32 v6, 0, v6, vcc
	v_cmp_nlt_f32_e32 vcc, s5, v9
	v_add_u32_e32 v0, s7, v0
	v_cndmask_b32_e32 v8, v2, v6, vcc
	v_lshlrev_b64 v[6:7], 2, v[0:1]
	v_mov_b32_e32 v10, 0x41fbbf1f
	v_add_co_u32_e32 v6, vcc, s10, v6
	v_addc_co_u32_e32 v7, vcc, v3, v7, vcc
	v_fmac_f32_e32 v10, 0x437b9bbc, v4
	global_store_dword v[6:7], v8, off
	v_mul_f32_e32 v8, 0x3fb8aa3b, v10
	v_fma_f32 v9, v10, s6, -v8
	v_rndne_f32_e32 v11, v8
	v_fmac_f32_e32 v9, 0x32a5705f, v10
	v_sub_f32_e32 v8, v8, v11
	v_add_u32_e32 v0, s7, v0
	v_add_f32_e32 v8, v8, v9
	v_lshlrev_b64 v[6:7], 2, v[0:1]
	v_exp_f32_e32 v12, v8
	v_cvt_i32_f32_e32 v11, v11
	v_add_co_u32_e32 v8, vcc, s10, v6
	v_addc_co_u32_e32 v9, vcc, v3, v7, vcc
	v_ldexp_f32 v6, v12, v11
	v_cmp_ngt_f32_e32 vcc, s4, v10
	v_cndmask_b32_e32 v6, 0, v6, vcc
	v_cmp_nlt_f32_e32 vcc, s5, v10
	v_mov_b32_e32 v10, 0x41ccb9f6
	v_fmac_f32_e32 v10, 0x444d0f90, v4
	v_mul_f32_e32 v11, 0x3fb8aa3b, v10
	v_fma_f32 v12, v10, s6, -v11
	v_rndne_f32_e32 v13, v11
	v_fmac_f32_e32 v12, 0x32a5705f, v10
	v_sub_f32_e32 v11, v11, v13
	v_mov_b32_e32 v7, 0x559184e7
	v_add_u32_e32 v0, s7, v0
	v_add_f32_e32 v11, v11, v12
	global_store_dword v[8:9], v7, off
	v_lshlrev_b64 v[8:9], 2, v[0:1]
	v_exp_f32_e32 v11, v11
	v_cvt_i32_f32_e32 v12, v13
	v_cndmask_b32_e32 v6, v2, v6, vcc
	v_add_co_u32_e32 v8, vcc, s10, v8
	v_addc_co_u32_e32 v9, vcc, v3, v9, vcc
	global_store_dword v[8:9], v6, off
	v_ldexp_f32 v6, v11, v12
	v_cmp_ngt_f32_e32 vcc, s4, v10
	v_cndmask_b32_e32 v6, 0, v6, vcc
	v_cmp_nlt_f32_e32 vcc, s5, v10
	v_mov_b32_e32 v10, 0x4206af63
	v_fmac_f32_e32 v10, 0xc5bcb4cd, v4
	v_mul_f32_e32 v11, 0x3fb8aa3b, v10
	v_fma_f32 v12, v10, s6, -v11
	v_rndne_f32_e32 v13, v11
	v_fmac_f32_e32 v12, 0x32a5705f, v10
	v_sub_f32_e32 v11, v11, v13
	v_add_u32_e32 v0, s7, v0
	v_add_f32_e32 v11, v11, v12
	v_lshlrev_b64 v[8:9], 2, v[0:1]
	v_exp_f32_e32 v11, v11
	v_cvt_i32_f32_e32 v12, v13
	v_cndmask_b32_e32 v6, v2, v6, vcc
	v_add_co_u32_e32 v8, vcc, s10, v8
	v_addc_co_u32_e32 v9, vcc, v3, v9, vcc
	global_store_dword v[8:9], v6, off
	v_ldexp_f32 v6, v11, v12
	v_cmp_ngt_f32_e32 vcc, s4, v10
	v_cndmask_b32_e32 v6, 0, v6, vcc
	v_cmp_nlt_f32_e32 vcc, s5, v10
	v_mov_b32_e32 v10, 0x41827840
	v_fmac_f32_e32 v10, 2.0, v5
	v_fmac_f32_e32 v10, 0xc5238ba0, v4
	v_mul_f32_e32 v11, 0x3fb8aa3b, v10
	v_fma_f32 v12, v10, s6, -v11
	v_rndne_f32_e32 v13, v11
	v_fmac_f32_e32 v12, 0x32a5705f, v10
	v_sub_f32_e32 v11, v11, v13
	v_add_u32_e32 v0, s7, v0
	v_add_f32_e32 v11, v11, v12
	v_lshlrev_b64 v[8:9], 2, v[0:1]
	v_exp_f32_e32 v11, v11
	v_cvt_i32_f32_e32 v12, v13
	v_cndmask_b32_e32 v6, v2, v6, vcc
	v_add_co_u32_e32 v8, vcc, s10, v8
	v_addc_co_u32_e32 v9, vcc, v3, v9, vcc
	global_store_dword v[8:9], v6, off
	v_ldexp_f32 v6, v11, v12
	v_cmp_ngt_f32_e32 vcc, s4, v10
	v_cndmask_b32_e32 v6, 0, v6, vcc
	v_cmp_nlt_f32_e32 vcc, s5, v10
	v_mov_b32_e32 v10, 0x41ef7807
	v_fmac_f32_e32 v10, 0xc4e2728f, v4
	v_mul_f32_e32 v11, 0x3fb8aa3b, v10
	v_fma_f32 v12, v10, s6, -v11
	v_rndne_f32_e32 v13, v11
	v_fmac_f32_e32 v12, 0x32a5705f, v10
	v_sub_f32_e32 v11, v11, v13
	v_add_u32_e32 v0, s7, v0
	v_add_f32_e32 v11, v11, v12
	v_lshlrev_b64 v[8:9], 2, v[0:1]
	v_exp_f32_e32 v11, v11
	v_cvt_i32_f32_e32 v12, v13
	v_cndmask_b32_e32 v6, v2, v6, vcc
	v_add_co_u32_e32 v8, vcc, s10, v8
	v_addc_co_u32_e32 v9, vcc, v3, v9, vcc
	global_store_dword v[8:9], v6, off
	v_ldexp_f32 v6, v11, v12
	v_cmp_ngt_f32_e32 vcc, s4, v10
	v_cndmask_b32_e32 v6, 0, v6, vcc
	v_cmp_nlt_f32_e32 vcc, s5, v10
	v_mov_b32_e32 v10, 0x4180a4a6
	v_fmac_f32_e32 v10, 2.0, v5
	v_fmac_f32_e32 v10, 0xc4fb9bbc, v4
	v_mul_f32_e32 v11, 0x3fb8aa3b, v10
	v_fma_f32 v12, v10, s6, -v11
	v_rndne_f32_e32 v13, v11
	v_fmac_f32_e32 v12, 0x32a5705f, v10
	v_sub_f32_e32 v11, v11, v13
	v_add_u32_e32 v0, s7, v0
	v_add_f32_e32 v11, v11, v12
	v_lshlrev_b64 v[8:9], 2, v[0:1]
	v_exp_f32_e32 v11, v11
	v_cvt_i32_f32_e32 v12, v13
	v_cndmask_b32_e32 v6, v2, v6, vcc
	v_add_co_u32_e32 v8, vcc, s10, v8
	v_addc_co_u32_e32 v9, vcc, v3, v9, vcc
	global_store_dword v[8:9], v6, off
	v_ldexp_f32 v6, v11, v12
	v_cmp_ngt_f32_e32 vcc, s4, v10
	v_cndmask_b32_e32 v6, 0, v6, vcc
	v_cmp_nlt_f32_e32 vcc, s5, v10
	v_mov_b32_e32 v10, 0x41e1866d
	v_fmac_f32_e32 v10, 0xc3210782, v4
	v_mul_f32_e32 v11, 0x3fb8aa3b, v10
	v_fma_f32 v12, v10, s6, -v11
	v_rndne_f32_e32 v13, v11
	v_fmac_f32_e32 v12, 0x32a5705f, v10
	v_sub_f32_e32 v11, v11, v13
	v_add_u32_e32 v0, s7, v0
	v_add_f32_e32 v11, v11, v12
	v_lshlrev_b64 v[8:9], 2, v[0:1]
	v_exp_f32_e32 v11, v11
	v_cvt_i32_f32_e32 v12, v13
	v_cndmask_b32_e32 v6, v2, v6, vcc
	v_add_co_u32_e32 v8, vcc, s10, v8
	v_addc_co_u32_e32 v9, vcc, v3, v9, vcc
	global_store_dword v[8:9], v6, off
	v_ldexp_f32 v6, v11, v12
	v_cmp_ngt_f32_e32 vcc, s4, v10
	v_cndmask_b32_e32 v6, 0, v6, vcc
	v_cmp_nlt_f32_e32 vcc, s5, v10
	v_mov_b32_e32 v10, 0x4207f9e8
	;; [unrolled: 20-line block ×4, first 2 shown]
	v_fmac_f32_e32 v10, 0x3f9d2f1b, v5
	v_fmac_f32_e32 v10, 0xc20ce692, v4
	v_mul_f32_e32 v11, 0x3fb8aa3b, v10
	v_fma_f32 v12, v10, s6, -v11
	v_rndne_f32_e32 v13, v11
	v_fmac_f32_e32 v12, 0x32a5705f, v10
	v_sub_f32_e32 v11, v11, v13
	v_add_u32_e32 v0, s7, v0
	v_add_f32_e32 v11, v11, v12
	v_lshlrev_b64 v[8:9], 2, v[0:1]
	v_exp_f32_e32 v11, v11
	v_cvt_i32_f32_e32 v12, v13
	v_cndmask_b32_e32 v6, v2, v6, vcc
	v_add_co_u32_e32 v8, vcc, s10, v8
	v_addc_co_u32_e32 v9, vcc, v3, v9, vcc
	global_store_dword v[8:9], v6, off
	v_ldexp_f32 v6, v11, v12
	v_cmp_ngt_f32_e32 vcc, s4, v10
	v_cndmask_b32_e32 v6, 0, v6, vcc
	v_cmp_nlt_f32_e32 vcc, s5, v10
	v_mov_b32_e32 v10, 0x418c9d1a
	v_fmac_f32_e32 v10, 0x3fc00000, v5
	v_fmac_f32_e32 v10, 0xc71c780c, v4
	v_mul_f32_e32 v11, 0x3fb8aa3b, v10
	v_fma_f32 v12, v10, s6, -v11
	v_rndne_f32_e32 v13, v11
	v_fmac_f32_e32 v12, 0x32a5705f, v10
	v_sub_f32_e32 v11, v11, v13
	v_add_u32_e32 v0, s7, v0
	v_add_f32_e32 v11, v11, v12
	v_lshlrev_b64 v[8:9], 2, v[0:1]
	v_exp_f32_e32 v11, v11
	v_cvt_i32_f32_e32 v12, v13
	v_cndmask_b32_e32 v6, v2, v6, vcc
	v_add_co_u32_e32 v8, vcc, s10, v8
	v_addc_co_u32_e32 v9, vcc, v3, v9, vcc
	global_store_dword v[8:9], v6, off
	v_ldexp_f32 v6, v11, v12
	v_cmp_ngt_f32_e32 vcc, s4, v10
	v_cndmask_b32_e32 v6, 0, v6, vcc
	v_cmp_nlt_f32_e32 vcc, s5, v10
	v_mov_b32_e32 v10, 0x41e460e5
	v_fmac_f32_e32 v10, 0xc6bbeb83, v4
	v_mul_f32_e32 v11, 0x3fb8aa3b, v10
	v_fma_f32 v12, v10, s6, -v11
	v_rndne_f32_e32 v13, v11
	v_fmac_f32_e32 v12, 0x32a5705f, v10
	v_sub_f32_e32 v11, v11, v13
	v_add_u32_e32 v0, s7, v0
	v_add_f32_e32 v11, v11, v12
	v_lshlrev_b64 v[8:9], 2, v[0:1]
	v_exp_f32_e32 v11, v11
	v_cvt_i32_f32_e32 v12, v13
	v_cndmask_b32_e32 v6, v2, v6, vcc
	v_add_co_u32_e32 v8, vcc, s10, v8
	v_addc_co_u32_e32 v9, vcc, v3, v9, vcc
	global_store_dword v[8:9], v6, off
	v_ldexp_f32 v6, v11, v12
	v_cmp_ngt_f32_e32 vcc, s4, v10
	v_cndmask_b32_e32 v6, 0, v6, vcc
	v_cmp_nlt_f32_e32 vcc, s5, v10
	v_mov_b32_e32 v10, 0x4202910e
	v_fmac_f32_e32 v10, 0xc6398fa7, v4
	v_mul_f32_e32 v11, 0x3fb8aa3b, v10
	v_fma_f32 v12, v10, s6, -v11
	v_rndne_f32_e32 v13, v11
	v_fmac_f32_e32 v12, 0x32a5705f, v10
	v_sub_f32_e32 v11, v11, v13
	v_add_u32_e32 v0, s7, v0
	v_add_f32_e32 v11, v11, v12
	v_lshlrev_b64 v[8:9], 2, v[0:1]
	v_exp_f32_e32 v11, v11
	v_cvt_i32_f32_e32 v12, v13
	v_cndmask_b32_e32 v6, v2, v6, vcc
	v_add_co_u32_e32 v8, vcc, s10, v8
	v_addc_co_u32_e32 v9, vcc, v3, v9, vcc
	v_add_u32_e32 v0, s7, v0
	global_store_dword v[8:9], v6, off
	v_ldexp_f32 v6, v11, v12
	v_cmp_ngt_f32_e32 vcc, s4, v10
	v_lshlrev_b64 v[8:9], 2, v[0:1]
	v_cndmask_b32_e32 v6, 0, v6, vcc
	v_cmp_nlt_f32_e32 vcc, s5, v10
	v_cndmask_b32_e32 v6, v2, v6, vcc
	v_add_co_u32_e32 v8, vcc, s10, v8
	v_addc_co_u32_e32 v9, vcc, v3, v9, vcc
	v_add_u32_e32 v0, s7, v0
	global_store_dword v[8:9], v6, off
	v_lshlrev_b64 v[8:9], 2, v[0:1]
	v_mov_b32_e32 v6, 0x564f5d63
	v_add_co_u32_e32 v8, vcc, s10, v8
	v_addc_co_u32_e32 v9, vcc, v3, v9, vcc
	global_store_dword v[8:9], v6, off
	v_mov_b32_e32 v6, 0x41942dbe
	v_fmac_f32_e32 v6, 0x3fe51eb8, v5
	v_fmac_f32_e32 v6, 0xc45217cc, v4
	v_mul_f32_e32 v10, 0x3fb8aa3b, v6
	v_add_u32_e32 v0, s7, v0
	v_fma_f32 v11, v6, s6, -v10
	v_rndne_f32_e32 v12, v10
	v_lshlrev_b64 v[8:9], 2, v[0:1]
	v_fmac_f32_e32 v11, 0x32a5705f, v6
	v_sub_f32_e32 v10, v10, v12
	v_add_f32_e32 v10, v10, v11
	v_exp_f32_e32 v13, v10
	v_cvt_i32_f32_e32 v12, v12
	v_add_co_u32_e32 v10, vcc, s10, v8
	v_addc_co_u32_e32 v11, vcc, v3, v9, vcc
	v_mov_b32_e32 v8, 0x55da475b
	global_store_dword v[10:11], v8, off
	v_mov_b32_e32 v11, 0x41eafc65
	v_fmac_f32_e32 v11, 0x43bdf6dc, v4
	v_ldexp_f32 v9, v13, v12
	v_mul_f32_e32 v12, 0x3fb8aa3b, v11
	v_fma_f32 v13, v11, s6, -v12
	v_rndne_f32_e32 v14, v12
	v_cmp_ngt_f32_e32 vcc, s4, v6
	v_fmac_f32_e32 v13, 0x32a5705f, v11
	v_sub_f32_e32 v12, v12, v14
	v_cndmask_b32_e32 v9, 0, v9, vcc
	v_cmp_nlt_f32_e32 vcc, s5, v6
	v_add_u32_e32 v0, s7, v0
	v_add_f32_e32 v12, v12, v13
	v_cndmask_b32_e32 v6, v2, v9, vcc
	v_lshlrev_b64 v[9:10], 2, v[0:1]
	v_exp_f32_e32 v12, v12
	v_cvt_i32_f32_e32 v13, v14
	v_add_co_u32_e32 v9, vcc, s10, v9
	v_addc_co_u32_e32 v10, vcc, v3, v10, vcc
	v_add_u32_e32 v0, s7, v0
	global_store_dword v[9:10], v6, off
	v_ldexp_f32 v6, v12, v13
	v_cmp_ngt_f32_e32 vcc, s4, v11
	v_lshlrev_b64 v[9:10], 2, v[0:1]
	v_cndmask_b32_e32 v6, 0, v6, vcc
	v_cmp_nlt_f32_e32 vcc, s5, v11
	v_cndmask_b32_e32 v6, v2, v6, vcc
	v_add_co_u32_e32 v9, vcc, s10, v9
	v_addc_co_u32_e32 v10, vcc, v3, v10, vcc
	v_add_u32_e32 v0, s7, v0
	global_store_dword v[9:10], v6, off
	v_lshlrev_b64 v[9:10], 2, v[0:1]
	v_mov_b32_e32 v11, 0x41e6d6a0
	v_add_co_u32_e32 v9, vcc, s10, v9
	v_addc_co_u32_e32 v10, vcc, v3, v10, vcc
	v_mov_b32_e32 v6, 0x55f01b4a
	v_fmac_f32_e32 v11, 0xc3ad9c19, v4
	global_store_dword v[9:10], v6, off
	v_mul_f32_e32 v6, 0x3fb8aa3b, v11
	v_fma_f32 v12, v11, s6, -v6
	v_rndne_f32_e32 v13, v6
	v_fmac_f32_e32 v12, 0x32a5705f, v11
	v_sub_f32_e32 v6, v6, v13
	v_add_u32_e32 v0, s7, v0
	v_add_f32_e32 v6, v6, v12
	v_lshlrev_b64 v[9:10], 2, v[0:1]
	v_exp_f32_e32 v12, v6
	v_cvt_i32_f32_e32 v13, v13
	v_add_co_u32_e32 v9, vcc, s10, v9
	v_addc_co_u32_e32 v10, vcc, v3, v10, vcc
	v_mov_b32_e32 v6, 0x5635e621
	global_store_dword v[9:10], v6, off
	v_ldexp_f32 v9, v12, v13
	v_mov_b32_e32 v12, 0x41ddbcd3
	v_fmac_f32_e32 v12, 0x3ef5c28f, v5
	v_fmac_f32_e32 v12, 0x4302d61a, v4
	v_mul_f32_e32 v13, 0x3fb8aa3b, v12
	v_fma_f32 v14, v12, s6, -v13
	v_rndne_f32_e32 v15, v13
	v_cmp_ngt_f32_e32 vcc, s4, v11
	v_fmac_f32_e32 v14, 0x32a5705f, v12
	v_sub_f32_e32 v13, v13, v15
	v_cndmask_b32_e32 v9, 0, v9, vcc
	v_cmp_nlt_f32_e32 vcc, s5, v11
	v_add_u32_e32 v0, s7, v0
	v_add_f32_e32 v13, v13, v14
	v_cndmask_b32_e32 v11, v2, v9, vcc
	v_lshlrev_b64 v[9:10], 2, v[0:1]
	v_exp_f32_e32 v13, v13
	v_cvt_i32_f32_e32 v14, v15
	v_add_co_u32_e32 v9, vcc, s10, v9
	v_addc_co_u32_e32 v10, vcc, v3, v10, vcc
	global_store_dword v[9:10], v11, off
	v_ldexp_f32 v9, v13, v14
	v_cmp_ngt_f32_e32 vcc, s4, v12
	v_cndmask_b32_e32 v9, 0, v9, vcc
	v_cmp_nlt_f32_e32 vcc, s5, v12
	v_add_u32_e32 v0, s7, v0
	v_cndmask_b32_e32 v11, v2, v9, vcc
	v_lshlrev_b64 v[9:10], 2, v[0:1]
	v_add_u32_e32 v0, s7, v0
	v_add_co_u32_e32 v9, vcc, s10, v9
	v_addc_co_u32_e32 v10, vcc, v3, v10, vcc
	global_store_dword v[9:10], v11, off
	v_lshlrev_b64 v[9:10], 2, v[0:1]
	v_mov_b32_e32 v11, 0x5685838a
	v_add_co_u32_e32 v9, vcc, s10, v9
	v_addc_co_u32_e32 v10, vcc, v3, v10, vcc
	v_add_u32_e32 v0, s7, v0
	global_store_dword v[9:10], v11, off
	v_lshlrev_b64 v[9:10], 2, v[0:1]
	v_sub_f32_e32 v11, 0x421f145d, v5
	v_add_co_u32_e32 v9, vcc, s10, v9
	v_addc_co_u32_e32 v10, vcc, v3, v10, vcc
	v_add_u32_e32 v0, s7, v0
	v_fmac_f32_e32 v11, 0xc605aabc, v4
	global_store_dword v[9:10], v8, off
	v_lshlrev_b64 v[9:10], 2, v[0:1]
	v_mul_f32_e32 v12, 0x3fb8aa3b, v11
	v_fma_f32 v13, v11, s6, -v12
	v_rndne_f32_e32 v14, v12
	v_add_co_u32_e32 v9, vcc, s10, v9
	v_fmac_f32_e32 v13, 0x32a5705f, v11
	v_sub_f32_e32 v12, v12, v14
	v_addc_co_u32_e32 v10, vcc, v3, v10, vcc
	v_add_u32_e32 v0, s7, v0
	v_add_f32_e32 v12, v12, v13
	global_store_dword v[9:10], v8, off
	v_lshlrev_b64 v[9:10], 2, v[0:1]
	v_exp_f32_e32 v12, v12
	v_cvt_i32_f32_e32 v13, v14
	v_add_co_u32_e32 v9, vcc, s10, v9
	v_addc_co_u32_e32 v10, vcc, v3, v10, vcc
	global_store_dword v[9:10], v6, off
	v_ldexp_f32 v9, v12, v13
	v_mov_b32_e32 v12, 0x41ed45fb
	v_fmac_f32_e32 v12, 0xc3494963, v4
	v_mul_f32_e32 v13, 0x3fb8aa3b, v12
	v_fma_f32 v14, v12, s6, -v13
	v_rndne_f32_e32 v15, v13
	v_cmp_ngt_f32_e32 vcc, s4, v11
	v_fmac_f32_e32 v14, 0x32a5705f, v12
	v_sub_f32_e32 v13, v13, v15
	v_cndmask_b32_e32 v9, 0, v9, vcc
	v_cmp_nlt_f32_e32 vcc, s5, v11
	v_add_u32_e32 v0, s7, v0
	v_add_f32_e32 v13, v13, v14
	v_cndmask_b32_e32 v11, v2, v9, vcc
	v_lshlrev_b64 v[9:10], 2, v[0:1]
	v_exp_f32_e32 v13, v13
	v_cvt_i32_f32_e32 v14, v15
	v_add_co_u32_e32 v9, vcc, s10, v9
	v_addc_co_u32_e32 v10, vcc, v3, v10, vcc
	global_store_dword v[9:10], v11, off
	v_ldexp_f32 v9, v13, v14
	v_cmp_ngt_f32_e32 vcc, s4, v12
	v_cndmask_b32_e32 v9, 0, v9, vcc
	v_cmp_nlt_f32_e32 vcc, s5, v12
	v_mov_b32_e32 v12, 0x421707d6
	v_fmac_f32_e32 v12, 0xbf4ccccd, v5
	v_mul_f32_e32 v13, 0x3fb8aa3b, v12
	v_fma_f32 v14, v12, s6, -v13
	v_rndne_f32_e32 v15, v13
	v_fmac_f32_e32 v14, 0x32a5705f, v12
	v_sub_f32_e32 v13, v13, v15
	v_add_u32_e32 v0, s7, v0
	v_add_f32_e32 v13, v13, v14
	v_cndmask_b32_e32 v11, v2, v9, vcc
	v_lshlrev_b64 v[9:10], 2, v[0:1]
	v_exp_f32_e32 v13, v13
	v_cvt_i32_f32_e32 v14, v15
	v_add_co_u32_e32 v9, vcc, s10, v9
	v_addc_co_u32_e32 v10, vcc, v3, v10, vcc
	global_store_dword v[9:10], v11, off
	v_ldexp_f32 v9, v13, v14
	v_cmp_ngt_f32_e32 vcc, s4, v12
	v_cndmask_b32_e32 v9, 0, v9, vcc
	v_cmp_nlt_f32_e32 vcc, s5, v12
	v_mov_b32_e32 v12, 0x4151f533
	v_fmac_f32_e32 v12, 2.0, v5
	v_fmac_f32_e32 v12, 0xc563641b, v4
	v_mul_f32_e32 v13, 0x3fb8aa3b, v12
	v_fma_f32 v14, v12, s6, -v13
	v_rndne_f32_e32 v15, v13
	v_fmac_f32_e32 v14, 0x32a5705f, v12
	v_sub_f32_e32 v13, v13, v15
	v_add_u32_e32 v0, s7, v0
	v_add_f32_e32 v13, v13, v14
	v_cndmask_b32_e32 v11, v2, v9, vcc
	v_lshlrev_b64 v[9:10], 2, v[0:1]
	v_exp_f32_e32 v13, v13
	v_cvt_i32_f32_e32 v14, v15
	v_add_co_u32_e32 v9, vcc, s10, v9
	v_addc_co_u32_e32 v10, vcc, v3, v10, vcc
	global_store_dword v[9:10], v11, off
	v_ldexp_f32 v9, v13, v14
	v_cmp_ngt_f32_e32 vcc, s4, v12
	v_cndmask_b32_e32 v9, 0, v9, vcc
	v_cmp_nlt_f32_e32 vcc, s5, v12
	v_add_u32_e32 v0, s7, v0
	v_cndmask_b32_e32 v11, v2, v9, vcc
	v_lshlrev_b64 v[9:10], 2, v[0:1]
	v_add_u32_e32 v0, s7, v0
	v_add_co_u32_e32 v9, vcc, s10, v9
	v_addc_co_u32_e32 v10, vcc, v3, v10, vcc
	global_store_dword v[9:10], v11, off
	v_mul_f32_e32 v11, 0xc43cb4cd, v4
	v_mul_f32_e32 v12, 0x3fb8aa3b, v11
	v_fma_f32 v13, v11, s6, -v12
	v_rndne_f32_e32 v14, v12
	v_fmac_f32_e32 v13, 0x32a5705f, v11
	v_sub_f32_e32 v12, v12, v14
	v_add_f32_e32 v12, v12, v13
	v_lshlrev_b64 v[9:10], 2, v[0:1]
	v_exp_f32_e32 v12, v12
	v_cvt_i32_f32_e32 v13, v14
	v_add_co_u32_e32 v9, vcc, s10, v9
	v_addc_co_u32_e32 v10, vcc, v3, v10, vcc
	v_mov_b32_e32 v14, 0x569184e7
	global_store_dword v[9:10], v14, off
	v_ldexp_f32 v9, v12, v13
	v_cmp_ngt_f32_e32 vcc, s4, v11
	v_cndmask_b32_e32 v9, 0, v9, vcc
	v_cmp_nlt_f32_e32 vcc, s5, v11
	v_add_u32_e32 v0, s7, v0
	v_cndmask_b32_e32 v11, v2, v9, vcc
	v_lshlrev_b64 v[9:10], 2, v[0:1]
	v_mul_f32_e32 v12, 0x5519ab11, v11
	v_add_co_u32_e32 v9, vcc, s10, v9
	v_addc_co_u32_e32 v10, vcc, v3, v10, vcc
	v_add_u32_e32 v0, s7, v0
	global_store_dword v[9:10], v12, off
	v_lshlrev_b64 v[9:10], 2, v[0:1]
	v_mul_f32_e32 v11, 0x5419ab11, v11
	v_add_co_u32_e32 v9, vcc, s10, v9
	v_addc_co_u32_e32 v10, vcc, v3, v10, vcc
	global_store_dword v[9:10], v11, off
	v_mov_b32_e32 v11, 0x4181ec29
	v_fmac_f32_e32 v11, 2.0, v5
	v_fmac_f32_e32 v11, 0xc4bcb4cd, v4
	v_mul_f32_e32 v12, 0x3fb8aa3b, v11
	v_fma_f32 v13, v11, s6, -v12
	v_rndne_f32_e32 v14, v12
	v_fmac_f32_e32 v13, 0x32a5705f, v11
	v_sub_f32_e32 v12, v12, v14
	v_add_u32_e32 v0, s7, v0
	v_add_f32_e32 v12, v12, v13
	v_lshlrev_b64 v[9:10], 2, v[0:1]
	v_exp_f32_e32 v12, v12
	v_cvt_i32_f32_e32 v13, v14
	v_add_co_u32_e32 v9, vcc, s10, v9
	v_addc_co_u32_e32 v10, vcc, v3, v10, vcc
	global_store_dword v[9:10], v7, off
	v_ldexp_f32 v9, v12, v13
	v_cmp_ngt_f32_e32 vcc, s4, v11
	v_cndmask_b32_e32 v9, 0, v9, vcc
	v_cmp_nlt_f32_e32 vcc, s5, v11
	v_add_u32_e32 v0, s7, v0
	v_cndmask_b32_e32 v11, v2, v9, vcc
	v_lshlrev_b64 v[9:10], 2, v[0:1]
	v_add_u32_e32 v0, s7, v0
	v_add_co_u32_e32 v9, vcc, s10, v9
	v_addc_co_u32_e32 v10, vcc, v3, v10, vcc
	global_store_dword v[9:10], v11, off
	v_mov_b32_e32 v11, 0x41db5cc6
	v_fmac_f32_e32 v11, 0.5, v5
	v_fmac_f32_e32 v11, 0xc50dd81d, v4
	v_mul_f32_e32 v12, 0x3fb8aa3b, v11
	v_fma_f32 v13, v11, s6, -v12
	v_rndne_f32_e32 v14, v12
	v_fmac_f32_e32 v13, 0x32a5705f, v11
	v_sub_f32_e32 v12, v12, v14
	v_add_f32_e32 v12, v12, v13
	v_lshlrev_b64 v[9:10], 2, v[0:1]
	v_exp_f32_e32 v12, v12
	v_cvt_i32_f32_e32 v13, v14
	v_add_co_u32_e32 v9, vcc, s10, v9
	v_addc_co_u32_e32 v10, vcc, v3, v10, vcc
	global_store_dword v[9:10], v7, off
	v_ldexp_f32 v9, v12, v13
	v_cmp_ngt_f32_e32 vcc, s4, v11
	v_cndmask_b32_e32 v9, 0, v9, vcc
	v_cmp_nlt_f32_e32 vcc, s5, v11
	v_add_u32_e32 v0, s7, v0
	v_cndmask_b32_e32 v11, v2, v9, vcc
	v_lshlrev_b64 v[9:10], 2, v[0:1]
	v_add_u32_e32 v0, s7, v0
	v_add_co_u32_e32 v9, vcc, s10, v9
	v_addc_co_u32_e32 v10, vcc, v3, v10, vcc
	global_store_dword v[9:10], v11, off
	v_lshlrev_b64 v[9:10], 2, v[0:1]
	v_mov_b32_e32 v13, 0x41f2b66b
	v_fmac_f32_e32 v13, 0xc396f70a, v4
	v_add_co_u32_e32 v11, vcc, s10, v9
	v_mul_f32_e32 v9, 0x3fb8aa3b, v13
	v_fma_f32 v14, v13, s6, -v9
	v_rndne_f32_e32 v15, v9
	v_fmac_f32_e32 v14, 0x32a5705f, v13
	v_sub_f32_e32 v9, v9, v15
	v_addc_co_u32_e32 v12, vcc, v3, v10, vcc
	v_mov_b32_e32 v10, 0x561184e7
	v_add_u32_e32 v0, s7, v0
	v_add_f32_e32 v9, v9, v14
	global_store_dword v[11:12], v10, off
	v_lshlrev_b64 v[11:12], 2, v[0:1]
	v_exp_f32_e32 v14, v9
	v_cvt_i32_f32_e32 v15, v15
	v_add_co_u32_e32 v11, vcc, s10, v11
	v_addc_co_u32_e32 v12, vcc, v3, v12, vcc
	v_mov_b32_e32 v9, 0x55e8d4a5
	global_store_dword v[11:12], v9, off
	v_ldexp_f32 v11, v14, v15
	v_cmp_ngt_f32_e32 vcc, s4, v13
	v_cndmask_b32_e32 v11, 0, v11, vcc
	v_cmp_nlt_f32_e32 vcc, s5, v13
	v_add_u32_e32 v0, s7, v0
	v_cndmask_b32_e32 v13, v2, v11, vcc
	v_lshlrev_b64 v[11:12], 2, v[0:1]
	v_add_u32_e32 v0, s7, v0
	v_add_co_u32_e32 v11, vcc, s10, v11
	v_addc_co_u32_e32 v12, vcc, v3, v12, vcc
	global_store_dword v[11:12], v13, off
	v_lshlrev_b64 v[11:12], 2, v[0:1]
	v_add_u32_e32 v0, s7, v0
	v_add_co_u32_e32 v11, vcc, s10, v11
	v_addc_co_u32_e32 v12, vcc, v3, v12, vcc
	global_store_dword v[11:12], v8, off
	v_lshlrev_b64 v[11:12], 2, v[0:1]
	v_mov_b32_e32 v13, 0x555a475b
	v_add_co_u32_e32 v11, vcc, s10, v11
	v_addc_co_u32_e32 v12, vcc, v3, v12, vcc
	v_add_u32_e32 v0, s7, v0
	global_store_dword v[11:12], v13, off
	v_lshlrev_b64 v[11:12], 2, v[0:1]
	v_add_u32_e32 v0, s7, v0
	v_add_co_u32_e32 v11, vcc, s10, v11
	v_addc_co_u32_e32 v12, vcc, v3, v12, vcc
	global_store_dword v[11:12], v13, off
	v_lshlrev_b64 v[11:12], 2, v[0:1]
	v_add_u32_e32 v0, s7, v0
	v_add_co_u32_e32 v11, vcc, s10, v11
	v_addc_co_u32_e32 v12, vcc, v3, v12, vcc
	global_store_dword v[11:12], v8, off
	v_lshlrev_b64 v[11:12], 2, v[0:1]
	v_mov_b32_e32 v13, 0x567ea895
	v_add_co_u32_e32 v11, vcc, s10, v11
	v_addc_co_u32_e32 v12, vcc, v3, v12, vcc
	v_add_u32_e32 v0, s7, v0
	global_store_dword v[11:12], v13, off
	v_lshlrev_b64 v[11:12], 2, v[0:1]
	v_mov_b32_e32 v13, 0x55cbba10
	v_add_co_u32_e32 v11, vcc, s10, v11
	v_addc_co_u32_e32 v12, vcc, v3, v12, vcc
	v_add_u32_e32 v0, s7, v0
	;; [unrolled: 6-line block ×3, first 2 shown]
	global_store_dword v[11:12], v13, off
	v_lshlrev_b64 v[11:12], 2, v[0:1]
	v_add_u32_e32 v0, s7, v0
	v_add_co_u32_e32 v11, vcc, s10, v11
	v_addc_co_u32_e32 v12, vcc, v3, v12, vcc
	global_store_dword v[11:12], v8, off
	v_lshlrev_b64 v[11:12], 2, v[0:1]
	v_mov_b32_e32 v13, 0x5502f79d
	v_add_co_u32_e32 v11, vcc, s10, v11
	v_addc_co_u32_e32 v12, vcc, v3, v12, vcc
	v_add_u32_e32 v0, s7, v0
	global_store_dword v[11:12], v13, off
	v_lshlrev_b64 v[11:12], 2, v[0:1]
	v_mov_b32_e32 v13, 0x54cbba10
	v_add_co_u32_e32 v11, vcc, s10, v11
	v_addc_co_u32_e32 v12, vcc, v3, v12, vcc
	global_store_dword v[11:12], v13, off
	v_mov_b32_e32 v13, 0x41d81e62
	v_fmac_f32_e32 v13, 0x3ee872b0, v5
	v_fmac_f32_e32 v13, 0xc4a38ba0, v4
	v_mul_f32_e32 v14, 0x3fb8aa3b, v13
	v_fma_f32 v15, v13, s6, -v14
	v_rndne_f32_e32 v16, v14
	v_fmac_f32_e32 v15, 0x32a5705f, v13
	v_sub_f32_e32 v14, v14, v16
	v_add_u32_e32 v0, s7, v0
	v_add_f32_e32 v14, v14, v15
	v_lshlrev_b64 v[11:12], 2, v[0:1]
	v_exp_f32_e32 v14, v14
	v_cvt_i32_f32_e32 v15, v16
	v_add_co_u32_e32 v11, vcc, s10, v11
	v_addc_co_u32_e32 v12, vcc, v3, v12, vcc
	v_mov_b32_e32 v16, 0x554bba10
	global_store_dword v[11:12], v16, off
	v_ldexp_f32 v11, v14, v15
	v_mov_b32_e32 v14, 0x41bedebe
	v_fmac_f32_e32 v14, 0x3f866666, v5
	v_fmac_f32_e32 v14, 0xc4ce011b, v4
	v_mul_f32_e32 v15, 0x3fb8aa3b, v14
	v_fma_f32 v16, v14, s6, -v15
	v_rndne_f32_e32 v17, v15
	v_cmp_ngt_f32_e32 vcc, s4, v13
	v_fmac_f32_e32 v16, 0x32a5705f, v14
	v_sub_f32_e32 v15, v15, v17
	v_cndmask_b32_e32 v11, 0, v11, vcc
	v_cmp_nlt_f32_e32 vcc, s5, v13
	v_add_u32_e32 v0, s7, v0
	v_add_f32_e32 v15, v15, v16
	v_cndmask_b32_e32 v13, v2, v11, vcc
	v_lshlrev_b64 v[11:12], 2, v[0:1]
	v_exp_f32_e32 v15, v15
	v_cvt_i32_f32_e32 v16, v17
	v_add_co_u32_e32 v11, vcc, s10, v11
	v_addc_co_u32_e32 v12, vcc, v3, v12, vcc
	global_store_dword v[11:12], v13, off
	v_ldexp_f32 v11, v15, v16
	v_cmp_ngt_f32_e32 vcc, s4, v14
	v_cndmask_b32_e32 v11, 0, v11, vcc
	v_cmp_nlt_f32_e32 vcc, s5, v14
	v_mov_b32_e32 v14, 0x41fa5b4e
	v_fmac_f32_e32 v14, 0xc4deac62, v4
	v_mul_f32_e32 v15, 0x3fb8aa3b, v14
	v_fma_f32 v16, v14, s6, -v15
	v_rndne_f32_e32 v17, v15
	v_fmac_f32_e32 v16, 0x32a5705f, v14
	v_sub_f32_e32 v15, v15, v17
	v_add_u32_e32 v0, s7, v0
	v_add_f32_e32 v15, v15, v16
	v_cndmask_b32_e32 v13, v2, v11, vcc
	v_lshlrev_b64 v[11:12], 2, v[0:1]
	v_exp_f32_e32 v15, v15
	v_cvt_i32_f32_e32 v16, v17
	v_add_co_u32_e32 v11, vcc, s10, v11
	v_addc_co_u32_e32 v12, vcc, v3, v12, vcc
	global_store_dword v[11:12], v13, off
	v_ldexp_f32 v11, v15, v16
	v_cmp_ngt_f32_e32 vcc, s4, v14
	v_cndmask_b32_e32 v11, 0, v11, vcc
	v_cmp_nlt_f32_e32 vcc, s5, v14
	v_mov_b32_e32 v14, 0x41afa588
	v_fmac_f32_e32 v14, 0x3f970a3d, v5
	v_fmac_f32_e32 v14, 0x4360f017, v4
	v_mul_f32_e32 v15, 0x3fb8aa3b, v14
	v_fma_f32 v16, v14, s6, -v15
	v_rndne_f32_e32 v17, v15
	v_fmac_f32_e32 v16, 0x32a5705f, v14
	v_sub_f32_e32 v15, v15, v17
	v_add_u32_e32 v0, s7, v0
	v_add_f32_e32 v15, v15, v16
	v_cndmask_b32_e32 v13, v2, v11, vcc
	v_lshlrev_b64 v[11:12], 2, v[0:1]
	v_exp_f32_e32 v15, v15
	v_cvt_i32_f32_e32 v16, v17
	v_add_co_u32_e32 v11, vcc, s10, v11
	v_addc_co_u32_e32 v12, vcc, v3, v12, vcc
	global_store_dword v[11:12], v13, off
	v_ldexp_f32 v11, v15, v16
	v_cmp_ngt_f32_e32 vcc, s4, v14
	v_cndmask_b32_e32 v11, 0, v11, vcc
	v_cmp_nlt_f32_e32 vcc, s5, v14
	v_mov_b32_e32 v14, 0x4200f1dc
	v_fmac_f32_e32 v14, 0xc69d4155, v4
	v_mul_f32_e32 v15, 0x3fb8aa3b, v14
	v_fma_f32 v16, v14, s6, -v15
	v_rndne_f32_e32 v17, v15
	v_fmac_f32_e32 v16, 0x32a5705f, v14
	v_sub_f32_e32 v15, v15, v17
	v_add_u32_e32 v0, s7, v0
	v_add_f32_e32 v15, v15, v16
	v_cndmask_b32_e32 v13, v2, v11, vcc
	v_lshlrev_b64 v[11:12], 2, v[0:1]
	v_exp_f32_e32 v15, v15
	v_cvt_i32_f32_e32 v16, v17
	v_add_co_u32_e32 v11, vcc, s10, v11
	v_addc_co_u32_e32 v12, vcc, v3, v12, vcc
	global_store_dword v[11:12], v13, off
	v_ldexp_f32 v11, v15, v16
	v_cmp_ngt_f32_e32 vcc, s4, v14
	v_cndmask_b32_e32 v11, 0, v11, vcc
	v_cmp_nlt_f32_e32 vcc, s5, v14
	v_mul_f32_e32 v14, 0xc57b9bbc, v4
	v_mul_f32_e32 v15, 0x3fb8aa3b, v14
	v_fma_f32 v16, v14, s6, -v15
	v_rndne_f32_e32 v17, v15
	v_fmac_f32_e32 v16, 0x32a5705f, v14
	v_sub_f32_e32 v15, v15, v17
	v_add_u32_e32 v0, s7, v0
	v_add_f32_e32 v15, v15, v16
	v_cndmask_b32_e32 v13, v2, v11, vcc
	v_lshlrev_b64 v[11:12], 2, v[0:1]
	v_exp_f32_e32 v15, v15
	v_cvt_i32_f32_e32 v16, v17
	v_add_co_u32_e32 v11, vcc, s10, v11
	v_addc_co_u32_e32 v12, vcc, v3, v12, vcc
	global_store_dword v[11:12], v13, off
	v_ldexp_f32 v11, v15, v16
	v_cmp_ngt_f32_e32 vcc, s4, v14
	v_cndmask_b32_e32 v11, 0, v11, vcc
	v_cmp_nlt_f32_e32 vcc, s5, v14
	v_add_u32_e32 v0, s7, v0
	v_cndmask_b32_e32 v15, v2, v11, vcc
	v_lshlrev_b64 v[11:12], 2, v[0:1]
	v_mad_u64_u32 v[13:14], s[0:1], s7, 51, v[0:1]
	v_add_co_u32_e32 v11, vcc, s10, v11
	v_mul_f32_e32 v16, 0x5368d4a5, v15
	v_addc_co_u32_e32 v12, vcc, v3, v12, vcc
	v_mov_b32_e32 v14, v1
	global_store_dword v[11:12], v16, off
	v_lshlrev_b64 v[11:12], 2, v[13:14]
	v_mul_f32_e32 v0, 0x5635e621, v15
	v_add_co_u32_e32 v11, vcc, s10, v11
	v_addc_co_u32_e32 v12, vcc, v3, v12, vcc
	s_lshl_b32 s0, s7, 1
	global_store_dword v[11:12], v0, off
	v_add_u32_e32 v0, s0, v13
	v_mov_b32_e32 v13, 0x4200b904
	v_fmac_f32_e32 v13, 0x4381940b, v4
	v_mul_f32_e32 v14, 0x551184e7, v15
	v_mul_f32_e32 v15, 0x3fb8aa3b, v13
	v_lshlrev_b64 v[11:12], 2, v[0:1]
	v_fma_f32 v16, v13, s6, -v15
	v_rndne_f32_e32 v17, v15
	v_fmac_f32_e32 v16, 0x32a5705f, v13
	v_sub_f32_e32 v15, v15, v17
	v_add_f32_e32 v15, v15, v16
	v_add_co_u32_e32 v11, vcc, s10, v11
	v_exp_f32_e32 v15, v15
	v_cvt_i32_f32_e32 v16, v17
	v_addc_co_u32_e32 v12, vcc, v3, v12, vcc
	global_store_dword v[11:12], v14, off
	v_mov_b32_e32 v14, 0x4214524f
	v_fmac_f32_e32 v14, 0xbf2147ae, v5
	v_fmac_f32_e32 v14, 0xc340bb63, v4
	v_ldexp_f32 v11, v15, v16
	v_mul_f32_e32 v15, 0x3fb8aa3b, v14
	v_fma_f32 v16, v14, s6, -v15
	v_rndne_f32_e32 v17, v15
	v_cmp_ngt_f32_e32 vcc, s4, v13
	s_mul_i32 s1, s7, 0xffffffcc
	v_fmac_f32_e32 v16, 0x32a5705f, v14
	v_sub_f32_e32 v15, v15, v17
	v_cndmask_b32_e32 v11, 0, v11, vcc
	v_cmp_nlt_f32_e32 vcc, s5, v13
	v_add_u32_e32 v0, s1, v0
	v_add_f32_e32 v15, v15, v16
	v_cndmask_b32_e32 v13, v2, v11, vcc
	v_lshlrev_b64 v[11:12], 2, v[0:1]
	v_exp_f32_e32 v15, v15
	v_cvt_i32_f32_e32 v16, v17
	v_add_co_u32_e32 v11, vcc, s10, v11
	v_addc_co_u32_e32 v12, vcc, v3, v12, vcc
	global_store_dword v[11:12], v13, off
	v_ldexp_f32 v11, v15, v16
	v_cmp_ngt_f32_e32 vcc, s4, v14
	v_cndmask_b32_e32 v11, 0, v11, vcc
	v_cmp_nlt_f32_e32 vcc, s5, v14
	v_add_u32_e32 v0, s7, v0
	v_cndmask_b32_e32 v13, v2, v11, vcc
	v_lshlrev_b64 v[11:12], 2, v[0:1]
	v_add_u32_e32 v0, s7, v0
	v_add_co_u32_e32 v11, vcc, s10, v11
	v_addc_co_u32_e32 v12, vcc, v3, v12, vcc
	global_store_dword v[11:12], v13, off
	v_mov_b32_e32 v13, 0x418eba16
	v_fmac_f32_e32 v13, 0x3fcccccd, v5
	v_fmac_f32_e32 v13, 0xc52a76f3, v4
	v_mul_f32_e32 v14, 0x3fb8aa3b, v13
	v_fma_f32 v15, v13, s6, -v14
	v_rndne_f32_e32 v16, v14
	v_fmac_f32_e32 v15, 0x32a5705f, v13
	v_sub_f32_e32 v14, v14, v16
	v_add_f32_e32 v14, v14, v15
	v_lshlrev_b64 v[11:12], 2, v[0:1]
	v_exp_f32_e32 v14, v14
	v_cvt_i32_f32_e32 v15, v16
	v_add_co_u32_e32 v11, vcc, s10, v11
	v_addc_co_u32_e32 v12, vcc, v3, v12, vcc
	v_mov_b32_e32 v16, 0x5699573f
	global_store_dword v[11:12], v16, off
	v_ldexp_f32 v11, v14, v15
	v_cmp_ngt_f32_e32 vcc, s4, v13
	v_cndmask_b32_e32 v11, 0, v11, vcc
	v_cmp_nlt_f32_e32 vcc, s5, v13
	v_add_u32_e32 v0, s7, v0
	v_cndmask_b32_e32 v13, v2, v11, vcc
	v_lshlrev_b64 v[11:12], 2, v[0:1]
	v_add_u32_e32 v0, s7, v0
	v_add_co_u32_e32 v11, vcc, s10, v11
	v_addc_co_u32_e32 v12, vcc, v3, v12, vcc
	global_store_dword v[11:12], v13, off
	v_mov_b32_e32 v13, 0x41f879e0
	v_fmac_f32_e32 v13, 0xc662728f, v4
	v_mul_f32_e32 v14, 0x3fb8aa3b, v13
	v_fma_f32 v15, v13, s6, -v14
	v_rndne_f32_e32 v16, v14
	v_fmac_f32_e32 v15, 0x32a5705f, v13
	v_sub_f32_e32 v14, v14, v16
	v_add_f32_e32 v14, v14, v15
	v_lshlrev_b64 v[11:12], 2, v[0:1]
	v_exp_f32_e32 v14, v14
	v_cvt_i32_f32_e32 v15, v16
	v_add_co_u32_e32 v11, vcc, s10, v11
	v_addc_co_u32_e32 v12, vcc, v3, v12, vcc
	v_mov_b32_e32 v16, 0x55b5f8c1
	global_store_dword v[11:12], v16, off
	v_ldexp_f32 v11, v14, v15
	v_mov_b32_e32 v14, 0x41c2744c
	v_fmac_f32_e32 v14, 0xc58c960e, v4
	v_mul_f32_e32 v15, 0x3fb8aa3b, v14
	v_fma_f32 v16, v14, s6, -v15
	v_rndne_f32_e32 v17, v15
	v_cmp_ngt_f32_e32 vcc, s4, v13
	v_fmac_f32_e32 v16, 0x32a5705f, v14
	v_sub_f32_e32 v15, v15, v17
	v_cndmask_b32_e32 v11, 0, v11, vcc
	v_cmp_nlt_f32_e32 vcc, s5, v13
	v_add_u32_e32 v0, s7, v0
	v_add_f32_e32 v15, v15, v16
	v_cndmask_b32_e32 v13, v2, v11, vcc
	v_lshlrev_b64 v[11:12], 2, v[0:1]
	v_exp_f32_e32 v15, v15
	v_cvt_i32_f32_e32 v16, v17
	v_add_co_u32_e32 v11, vcc, s10, v11
	v_addc_co_u32_e32 v12, vcc, v3, v12, vcc
	global_store_dword v[11:12], v13, off
	v_ldexp_f32 v11, v15, v16
	v_cmp_ngt_f32_e32 vcc, s4, v14
	v_cndmask_b32_e32 v11, 0, v11, vcc
	v_cmp_nlt_f32_e32 vcc, s5, v14
	v_add_u32_e32 v0, s7, v0
	v_cndmask_b32_e32 v13, v2, v11, vcc
	v_lshlrev_b64 v[11:12], 2, v[0:1]
	v_add_u32_e32 v0, s7, v0
	v_add_co_u32_e32 v11, vcc, s10, v11
	v_addc_co_u32_e32 v12, vcc, v3, v12, vcc
	global_store_dword v[11:12], v13, off
	v_lshlrev_b64 v[11:12], 2, v[0:1]
	v_mov_b32_e32 v13, 0x5368d4a5
	v_add_co_u32_e32 v11, vcc, s10, v11
	v_addc_co_u32_e32 v12, vcc, v3, v12, vcc
	global_store_dword v[11:12], v13, off
	v_mov_b32_e32 v13, 0x4121b3ee
	v_fmac_f32_e32 v13, 0x401e147b, v5
	v_fmac_f32_e32 v13, 0xc522ea99, v4
	v_mul_f32_e32 v14, 0x3fb8aa3b, v13
	v_fma_f32 v15, v13, s6, -v14
	v_rndne_f32_e32 v16, v14
	v_fmac_f32_e32 v15, 0x32a5705f, v13
	v_sub_f32_e32 v14, v14, v16
	v_add_u32_e32 v0, s7, v0
	v_add_f32_e32 v14, v14, v15
	v_lshlrev_b64 v[11:12], 2, v[0:1]
	v_exp_f32_e32 v14, v14
	v_cvt_i32_f32_e32 v15, v16
	v_add_co_u32_e32 v11, vcc, s10, v11
	v_addc_co_u32_e32 v12, vcc, v3, v12, vcc
	v_mov_b32_e32 v16, 0x5542fee4
	global_store_dword v[11:12], v16, off
	v_ldexp_f32 v11, v14, v15
	v_cmp_ngt_f32_e32 vcc, s4, v13
	v_cndmask_b32_e32 v11, 0, v11, vcc
	v_cmp_nlt_f32_e32 vcc, s5, v13
	v_add_u32_e32 v0, s7, v0
	v_cndmask_b32_e32 v13, v2, v11, vcc
	v_lshlrev_b64 v[11:12], 2, v[0:1]
	v_add_u32_e32 v0, s7, v0
	v_add_co_u32_e32 v11, vcc, s10, v11
	v_addc_co_u32_e32 v12, vcc, v3, v12, vcc
	global_store_dword v[11:12], v13, off
	v_lshlrev_b64 v[11:12], 2, v[0:1]
	v_add_u32_e32 v0, s7, v0
	v_add_co_u32_e32 v11, vcc, s10, v11
	v_addc_co_u32_e32 v12, vcc, v3, v12, vcc
	global_store_dword v[11:12], v8, off
	v_lshlrev_b64 v[11:12], 2, v[0:1]
	v_mov_b32_e32 v13, 0x54f6ccec
	v_add_co_u32_e32 v11, vcc, s10, v11
	v_addc_co_u32_e32 v12, vcc, v3, v12, vcc
	global_store_dword v[11:12], v13, off
	v_mov_b32_e32 v13, 0x4101b939
	v_fmac_f32_e32 v13, 0x4033d70a, v5
	v_fmac_f32_e32 v13, 0xc5384d98, v4
	v_mul_f32_e32 v14, 0x3fb8aa3b, v13
	v_fma_f32 v15, v13, s6, -v14
	v_rndne_f32_e32 v16, v14
	v_fmac_f32_e32 v15, 0x32a5705f, v13
	v_sub_f32_e32 v14, v14, v16
	v_add_u32_e32 v0, s7, v0
	v_add_f32_e32 v14, v14, v15
	v_lshlrev_b64 v[11:12], 2, v[0:1]
	v_exp_f32_e32 v14, v14
	v_cvt_i32_f32_e32 v15, v16
	v_add_co_u32_e32 v11, vcc, s10, v11
	v_addc_co_u32_e32 v12, vcc, v3, v12, vcc
	v_mov_b32_e32 v16, 0x5582f79d
	global_store_dword v[11:12], v16, off
	v_ldexp_f32 v11, v14, v15
	v_cmp_ngt_f32_e32 vcc, s4, v13
	v_cndmask_b32_e32 v11, 0, v11, vcc
	v_cmp_nlt_f32_e32 vcc, s5, v13
	v_add_u32_e32 v0, s7, v0
	v_cndmask_b32_e32 v13, v2, v11, vcc
	v_lshlrev_b64 v[11:12], 2, v[0:1]
	v_add_u32_e32 v0, s7, v0
	v_add_co_u32_e32 v11, vcc, s10, v11
	v_addc_co_u32_e32 v12, vcc, v3, v12, vcc
	global_store_dword v[11:12], v13, off
	v_mul_f32_e32 v13, 0x438f6ab0, v4
	v_mul_f32_e32 v14, 0x3fb8aa3b, v13
	v_fma_f32 v15, v13, s6, -v14
	v_rndne_f32_e32 v16, v14
	v_fmac_f32_e32 v15, 0x32a5705f, v13
	v_sub_f32_e32 v14, v14, v16
	v_add_f32_e32 v14, v14, v15
	v_lshlrev_b64 v[11:12], 2, v[0:1]
	v_exp_f32_e32 v14, v14
	v_cvt_i32_f32_e32 v15, v16
	v_add_co_u32_e32 v11, vcc, s10, v11
	v_addc_co_u32_e32 v12, vcc, v3, v12, vcc
	global_store_dword v[11:12], v10, off
	v_ldexp_f32 v10, v14, v15
	v_cmp_ngt_f32_e32 vcc, s4, v13
	v_cndmask_b32_e32 v10, 0, v10, vcc
	v_cmp_nlt_f32_e32 vcc, s5, v13
	v_add_u32_e32 v0, s7, v0
	v_cndmask_b32_e32 v14, v2, v10, vcc
	v_lshlrev_b64 v[10:11], 2, v[0:1]
	v_mad_u64_u32 v[12:13], s[2:3], s7, 15, v[0:1]
	v_add_co_u32_e32 v10, vcc, s10, v10
	v_mul_f32_e32 v15, 0x552e9f7c, v14
	v_addc_co_u32_e32 v11, vcc, v3, v11, vcc
	v_mov_b32_e32 v13, v1
	global_store_dword v[10:11], v15, off
	v_lshlrev_b64 v[10:11], 2, v[12:13]
	v_mov_b32_e32 v13, 0x42165f01
	v_fmac_f32_e32 v13, 0xbf7851ec, v5
	v_fmac_f32_e32 v13, 0xc39bff46, v4
	v_mul_f32_e32 v0, 0x5568d4a5, v14
	v_mul_f32_e32 v14, 0x3fb8aa3b, v13
	v_fma_f32 v15, v13, s6, -v14
	v_rndne_f32_e32 v16, v14
	v_fmac_f32_e32 v15, 0x32a5705f, v13
	v_sub_f32_e32 v14, v14, v16
	v_add_f32_e32 v14, v14, v15
	v_exp_f32_e32 v14, v14
	v_cvt_i32_f32_e32 v15, v16
	v_add_co_u32_e32 v10, vcc, s10, v10
	v_addc_co_u32_e32 v11, vcc, v3, v11, vcc
	global_store_dword v[10:11], v0, off
	v_ldexp_f32 v0, v14, v15
	v_cmp_ngt_f32_e32 vcc, s4, v13
	v_cndmask_b32_e32 v0, 0, v0, vcc
	v_mad_u64_u32 v[10:11], s[2:3], s7, -14, v[12:13]
	v_cmp_nlt_f32_e32 vcc, s5, v13
	v_mov_b32_e32 v13, 0x41e9e85c
	v_fmac_f32_e32 v13, 0x3dcccccd, v5
	v_fmac_f32_e32 v13, 0xc5a6b0c6, v4
	v_mul_f32_e32 v14, 0x3fb8aa3b, v13
	v_fma_f32 v15, v13, s6, -v14
	v_rndne_f32_e32 v16, v14
	v_fmac_f32_e32 v15, 0x32a5705f, v13
	v_sub_f32_e32 v14, v14, v16
	v_mov_b32_e32 v11, v1
	v_add_f32_e32 v14, v14, v15
	v_lshlrev_b64 v[11:12], 2, v[10:11]
	v_exp_f32_e32 v14, v14
	v_cvt_i32_f32_e32 v15, v16
	v_cndmask_b32_e32 v0, v2, v0, vcc
	v_add_co_u32_e32 v11, vcc, s10, v11
	v_addc_co_u32_e32 v12, vcc, v3, v12, vcc
	global_store_dword v[11:12], v0, off
	v_ldexp_f32 v0, v14, v15
	v_cmp_ngt_f32_e32 vcc, s4, v13
	v_cndmask_b32_e32 v0, 0, v0, vcc
	v_cmp_nlt_f32_e32 vcc, s5, v13
	v_cndmask_b32_e32 v12, v2, v0, vcc
	v_add_u32_e32 v0, s7, v10
	v_lshlrev_b64 v[10:11], 2, v[0:1]
	v_add_u32_e32 v0, s7, v0
	v_add_co_u32_e32 v10, vcc, s10, v10
	v_addc_co_u32_e32 v11, vcc, v3, v11, vcc
	global_store_dword v[10:11], v12, off
	v_lshlrev_b64 v[10:11], 2, v[0:1]
	v_add_u32_e32 v0, s7, v0
	v_add_co_u32_e32 v10, vcc, s10, v10
	v_addc_co_u32_e32 v11, vcc, v3, v11, vcc
	global_store_dword v[10:11], v6, off
	;; [unrolled: 5-line block ×4, first 2 shown]
	v_lshlrev_b64 v[9:10], 2, v[0:1]
	v_mov_b32_e32 v12, 0xc1e3d654
	v_add_co_u32_e32 v9, vcc, s10, v9
	v_fmac_f32_e32 v12, 0x40f33333, v5
	v_addc_co_u32_e32 v10, vcc, v3, v10, vcc
	v_mov_b32_e32 v11, 0x5568d4a5
	v_add_u32_e32 v0, s7, v0
	v_fmac_f32_e32 v12, 0x44de0b5b, v4
	global_store_dword v[9:10], v11, off
	v_lshlrev_b64 v[9:10], 2, v[0:1]
	v_mul_f32_e32 v13, 0x3fb8aa3b, v12
	v_fma_f32 v14, v12, s6, -v13
	v_rndne_f32_e32 v15, v13
	v_add_co_u32_e32 v9, vcc, s10, v9
	v_fmac_f32_e32 v14, 0x32a5705f, v12
	v_sub_f32_e32 v13, v13, v15
	v_addc_co_u32_e32 v10, vcc, v3, v10, vcc
	v_mov_b32_e32 v11, 0x551184e7
	v_add_u32_e32 v0, s7, v0
	v_add_f32_e32 v13, v13, v14
	global_store_dword v[9:10], v11, off
	v_lshlrev_b64 v[9:10], 2, v[0:1]
	v_exp_f32_e32 v13, v13
	v_cvt_i32_f32_e32 v14, v15
	v_add_co_u32_e32 v9, vcc, s10, v9
	v_addc_co_u32_e32 v10, vcc, v3, v10, vcc
	v_mov_b32_e32 v15, 0x549184e7
	global_store_dword v[9:10], v15, off
	v_ldexp_f32 v9, v13, v14
	v_mov_b32_e32 v13, 0x41a27646
	v_fmac_f32_e32 v13, 0x3fcf5c29, v5
	v_fmac_f32_e32 v13, 0xc5aa76f3, v4
	v_mul_f32_e32 v14, 0x3fb8aa3b, v13
	v_fma_f32 v15, v13, s6, -v14
	v_rndne_f32_e32 v16, v14
	v_cmp_ngt_f32_e32 vcc, s4, v12
	v_fmac_f32_e32 v15, 0x32a5705f, v13
	v_sub_f32_e32 v14, v14, v16
	v_cndmask_b32_e32 v9, 0, v9, vcc
	v_cmp_nlt_f32_e32 vcc, s5, v12
	v_add_u32_e32 v0, s7, v0
	v_add_f32_e32 v14, v14, v15
	v_cndmask_b32_e32 v12, v2, v9, vcc
	v_lshlrev_b64 v[9:10], 2, v[0:1]
	v_exp_f32_e32 v14, v14
	v_cvt_i32_f32_e32 v15, v16
	v_add_co_u32_e32 v9, vcc, s10, v9
	v_addc_co_u32_e32 v10, vcc, v3, v10, vcc
	global_store_dword v[9:10], v12, off
	v_ldexp_f32 v9, v14, v15
	v_cmp_ngt_f32_e32 vcc, s4, v13
	v_cndmask_b32_e32 v9, 0, v9, vcc
	v_cmp_nlt_f32_e32 vcc, s5, v13
	v_mov_b32_e32 v13, 0x41a5f1ce
	v_fmac_f32_e32 v13, 0x3fc00000, v5
	v_fmac_f32_e32 v13, 0xc5873d4f, v4
	v_mul_f32_e32 v14, 0x3fb8aa3b, v13
	v_fma_f32 v15, v13, s6, -v14
	v_rndne_f32_e32 v16, v14
	v_fmac_f32_e32 v15, 0x32a5705f, v13
	v_sub_f32_e32 v14, v14, v16
	v_add_u32_e32 v0, s7, v0
	v_add_f32_e32 v14, v14, v15
	v_cndmask_b32_e32 v12, v2, v9, vcc
	v_lshlrev_b64 v[9:10], 2, v[0:1]
	v_exp_f32_e32 v14, v14
	v_cvt_i32_f32_e32 v15, v16
	v_add_co_u32_e32 v9, vcc, s10, v9
	v_addc_co_u32_e32 v10, vcc, v3, v10, vcc
	global_store_dword v[9:10], v12, off
	v_ldexp_f32 v9, v14, v15
	v_cmp_ngt_f32_e32 vcc, s4, v13
	v_cndmask_b32_e32 v9, 0, v9, vcc
	v_cmp_nlt_f32_e32 vcc, s5, v13
	v_mov_b32_e32 v13, 0x41935d8e
	v_fmac_f32_e32 v13, 0x3fcccccd, v5
	v_fmac_f32_e32 v13, 0xc4c44127, v4
	v_mul_f32_e32 v14, 0x3fb8aa3b, v13
	v_fma_f32 v15, v13, s6, -v14
	v_rndne_f32_e32 v16, v14
	v_fmac_f32_e32 v15, 0x32a5705f, v13
	v_sub_f32_e32 v14, v14, v16
	v_add_u32_e32 v0, s7, v0
	v_add_f32_e32 v14, v14, v15
	v_cndmask_b32_e32 v12, v2, v9, vcc
	v_lshlrev_b64 v[9:10], 2, v[0:1]
	v_exp_f32_e32 v14, v14
	v_cvt_i32_f32_e32 v15, v16
	v_add_co_u32_e32 v9, vcc, s10, v9
	v_addc_co_u32_e32 v10, vcc, v3, v10, vcc
	global_store_dword v[9:10], v12, off
	v_ldexp_f32 v9, v14, v15
	v_cmp_ngt_f32_e32 vcc, s4, v13
	v_cndmask_b32_e32 v9, 0, v9, vcc
	v_cmp_nlt_f32_e32 vcc, s5, v13
	v_add_u32_e32 v0, s7, v0
	v_cndmask_b32_e32 v12, v2, v9, vcc
	v_lshlrev_b64 v[9:10], 2, v[0:1]
	v_mov_b32_e32 v14, 0x416b7364
	v_add_co_u32_e32 v9, vcc, s10, v9
	v_fmac_f32_e32 v14, 2.0, v5
	v_addc_co_u32_e32 v10, vcc, v3, v10, vcc
	v_fmac_f32_e32 v14, 0xc5820cd1, v4
	global_store_dword v[9:10], v12, off
	v_mul_f32_e32 v12, 0x3fb8aa3b, v14
	v_fma_f32 v13, v14, s6, -v12
	v_rndne_f32_e32 v15, v12
	v_fmac_f32_e32 v13, 0x32a5705f, v14
	v_sub_f32_e32 v12, v12, v15
	v_add_u32_e32 v0, s7, v0
	v_add_f32_e32 v12, v12, v13
	v_lshlrev_b64 v[9:10], 2, v[0:1]
	v_exp_f32_e32 v16, v12
	v_cvt_i32_f32_e32 v15, v15
	v_add_co_u32_e32 v12, vcc, s10, v9
	v_addc_co_u32_e32 v13, vcc, v3, v10, vcc
	v_mov_b32_e32 v9, 0x565a475b
	v_add_u32_e32 v0, s7, v0
	global_store_dword v[12:13], v9, off
	v_ldexp_f32 v10, v16, v15
	v_cmp_ngt_f32_e32 vcc, s4, v14
	v_lshlrev_b64 v[12:13], 2, v[0:1]
	v_cndmask_b32_e32 v10, 0, v10, vcc
	v_cmp_nlt_f32_e32 vcc, s5, v14
	v_cndmask_b32_e32 v10, v2, v10, vcc
	v_add_co_u32_e32 v12, vcc, s10, v12
	v_addc_co_u32_e32 v13, vcc, v3, v13, vcc
	v_add_u32_e32 v0, s0, v0
	global_store_dword v[12:13], v10, off
	v_lshlrev_b64 v[12:13], 2, v[0:1]
	v_mov_b32_e32 v10, 0x41e0cee6
	v_add_co_u32_e32 v14, vcc, s10, v12
	v_addc_co_u32_e32 v15, vcc, v3, v13, vcc
	v_mov_b32_e32 v12, 0x56b5e621
	v_fmac_f32_e32 v10, 0xc3d6df9f, v4
	global_store_dword v[14:15], v12, off
	v_mul_f32_e32 v15, 0x3fb8aa3b, v10
	v_fma_f32 v16, v10, s6, -v15
	v_rndne_f32_e32 v17, v15
	v_fmac_f32_e32 v16, 0x32a5705f, v10
	v_sub_f32_e32 v15, v15, v17
	v_add_u32_e32 v0, s7, v0
	v_add_f32_e32 v15, v15, v16
	v_lshlrev_b64 v[13:14], 2, v[0:1]
	v_exp_f32_e32 v15, v15
	v_cvt_i32_f32_e32 v16, v17
	v_add_co_u32_e32 v13, vcc, s10, v13
	v_addc_co_u32_e32 v14, vcc, v3, v14, vcc
	global_store_dword v[13:14], v12, off
	v_ldexp_f32 v13, v15, v16
	v_cmp_ngt_f32_e32 vcc, s4, v10
	v_cndmask_b32_e32 v13, 0, v13, vcc
	v_cmp_nlt_f32_e32 vcc, s5, v10
	v_add_u32_e32 v0, s7, v0
	v_cndmask_b32_e32 v10, v2, v13, vcc
	v_lshlrev_b64 v[13:14], 2, v[0:1]
	v_add_u32_e32 v0, s7, v0
	v_add_co_u32_e32 v13, vcc, s10, v13
	v_addc_co_u32_e32 v14, vcc, v3, v14, vcc
	global_store_dword v[13:14], v10, off
	v_mov_b32_e32 v10, 0x42094335
	v_fmac_f32_e32 v10, 0xbf051eb8, v5
	v_fmac_f32_e32 v10, 0xc6c7847e, v4
	v_lshlrev_b64 v[13:14], 2, v[0:1]
	v_mul_f32_e32 v15, 0x3fb8aa3b, v10
	v_fma_f32 v16, v10, s6, -v15
	v_rndne_f32_e32 v17, v15
	v_add_co_u32_e32 v13, vcc, s10, v13
	v_fmac_f32_e32 v16, 0x32a5705f, v10
	v_sub_f32_e32 v15, v15, v17
	v_addc_co_u32_e32 v14, vcc, v3, v14, vcc
	v_add_u32_e32 v0, s7, v0
	v_add_f32_e32 v15, v15, v16
	global_store_dword v[13:14], v6, off
	v_lshlrev_b64 v[13:14], 2, v[0:1]
	v_exp_f32_e32 v15, v15
	v_cvt_i32_f32_e32 v16, v17
	v_add_co_u32_e32 v13, vcc, s10, v13
	v_addc_co_u32_e32 v14, vcc, v3, v14, vcc
	v_add_u32_e32 v0, s7, v0
	global_store_dword v[13:14], v8, off
	v_lshlrev_b64 v[13:14], 2, v[0:1]
	v_ldexp_f32 v15, v15, v16
	v_mov_b32_e32 v16, 0x419e2bb8
	v_fmac_f32_e32 v16, 0x3fcf5c29, v5
	v_add_co_u32_e32 v13, vcc, s10, v13
	v_fmac_f32_e32 v16, 0xc691a690, v4
	v_addc_co_u32_e32 v14, vcc, v3, v14, vcc
	v_add_u32_e32 v0, s7, v0
	v_mul_f32_e32 v17, 0x3fb8aa3b, v16
	global_store_dword v[13:14], v11, off
	v_lshlrev_b64 v[13:14], 2, v[0:1]
	v_fma_f32 v18, v16, s6, -v17
	v_rndne_f32_e32 v19, v17
	v_fmac_f32_e32 v18, 0x32a5705f, v16
	v_sub_f32_e32 v17, v17, v19
	v_add_co_u32_e32 v13, vcc, s10, v13
	v_add_f32_e32 v17, v17, v18
	v_addc_co_u32_e32 v14, vcc, v3, v14, vcc
	v_exp_f32_e32 v17, v17
	v_cvt_i32_f32_e32 v19, v19
	v_cmp_ngt_f32_e32 vcc, s4, v10
	v_add_f32_e32 v18, v5, v5
	v_cndmask_b32_e32 v15, 0, v15, vcc
	v_cmp_nlt_f32_e32 vcc, s5, v10
	v_cndmask_b32_e32 v10, v2, v15, vcc
	v_fmac_f32_e32 v18, 0xc46f0726, v4
	global_store_dword v[13:14], v10, off
	v_ldexp_f32 v10, v17, v19
	v_cmp_ngt_f32_e32 vcc, s4, v16
	v_mul_f32_e32 v15, 0x3fb8aa3b, v18
	v_cndmask_b32_e32 v10, 0, v10, vcc
	v_cmp_nlt_f32_e32 vcc, s5, v16
	v_fma_f32 v16, v18, s6, -v15
	v_rndne_f32_e32 v17, v15
	v_fmac_f32_e32 v16, 0x32a5705f, v18
	v_sub_f32_e32 v15, v15, v17
	v_add_u32_e32 v0, s7, v0
	v_add_f32_e32 v15, v15, v16
	v_lshlrev_b64 v[13:14], 2, v[0:1]
	v_exp_f32_e32 v15, v15
	v_cvt_i32_f32_e32 v16, v17
	v_cndmask_b32_e32 v10, v2, v10, vcc
	v_add_co_u32_e32 v13, vcc, s10, v13
	v_addc_co_u32_e32 v14, vcc, v3, v14, vcc
	v_add_u32_e32 v0, s7, v0
	global_store_dword v[13:14], v10, off
	v_ldexp_f32 v10, v15, v16
	v_cmp_ngt_f32_e32 vcc, s4, v18
	v_lshlrev_b64 v[13:14], 2, v[0:1]
	v_cndmask_b32_e32 v10, 0, v10, vcc
	v_cmp_nlt_f32_e32 vcc, s5, v18
	v_cndmask_b32_e32 v10, v2, v10, vcc
	v_add_co_u32_e32 v13, vcc, s10, v13
	v_mul_f32_e32 v15, 0x4b790600, v10
	v_addc_co_u32_e32 v14, vcc, v3, v14, vcc
	global_store_dword v[13:14], v15, off
	v_mov_b32_e32 v15, 0xc106e571
	v_fmac_f32_e32 v15, 0x40900000, v5
	v_fmac_f32_e32 v15, 0x43fb9bbc, v4
	v_mul_f32_e32 v16, 0x3fb8aa3b, v15
	v_fma_f32 v17, v15, s6, -v16
	v_rndne_f32_e32 v18, v16
	v_fmac_f32_e32 v17, 0x32a5705f, v15
	v_sub_f32_e32 v16, v16, v18
	v_add_u32_e32 v0, s7, v0
	v_add_f32_e32 v16, v16, v17
	v_lshlrev_b64 v[13:14], 2, v[0:1]
	v_exp_f32_e32 v16, v16
	v_cvt_i32_f32_e32 v17, v18
	v_add_co_u32_e32 v13, vcc, s10, v13
	v_mul_f32_e32 v10, 0x4a790600, v10
	v_addc_co_u32_e32 v14, vcc, v3, v14, vcc
	global_store_dword v[13:14], v10, off
	v_ldexp_f32 v10, v16, v17
	v_cmp_ngt_f32_e32 vcc, s4, v15
	v_cndmask_b32_e32 v10, 0, v10, vcc
	v_cmp_nlt_f32_e32 vcc, s5, v15
	v_mov_b32_e32 v15, 0xc0f455f7
	v_fmac_f32_e32 v15, 4.0, v5
	v_fmac_f32_e32 v15, 0x447b9bbc, v4
	v_mul_f32_e32 v16, 0x3fb8aa3b, v15
	v_add_u32_e32 v0, s7, v0
	v_fma_f32 v17, v15, s6, -v16
	v_rndne_f32_e32 v18, v16
	v_lshlrev_b64 v[13:14], 2, v[0:1]
	v_fmac_f32_e32 v17, 0x32a5705f, v15
	v_sub_f32_e32 v16, v16, v18
	v_add_f32_e32 v16, v16, v17
	v_cndmask_b32_e32 v10, v2, v10, vcc
	v_exp_f32_e32 v16, v16
	v_cvt_i32_f32_e32 v17, v18
	v_add_co_u32_e32 v13, vcc, s10, v13
	v_addc_co_u32_e32 v14, vcc, v3, v14, vcc
	global_store_dword v[13:14], v10, off
	v_mov_b32_e32 v10, 0x4180f1dc
	v_fmac_f32_e32 v10, 2.0, v5
	v_ldexp_f32 v16, v16, v17
	v_add_u32_e32 v0, s7, v0
	v_mov_b32_e32 v17, v10
	v_lshlrev_b64 v[13:14], 2, v[0:1]
	v_fmac_f32_e32 v17, 0xc53cb4cd, v4
	v_mul_f32_e32 v18, 0x3fb8aa3b, v17
	v_add_co_u32_e32 v13, vcc, s10, v13
	v_fma_f32 v19, v17, s6, -v18
	v_rndne_f32_e32 v20, v18
	v_addc_co_u32_e32 v14, vcc, v3, v14, vcc
	v_fmac_f32_e32 v19, 0x32a5705f, v17
	v_sub_f32_e32 v18, v18, v20
	v_add_f32_e32 v18, v18, v19
	v_cmp_ngt_f32_e32 vcc, s4, v15
	v_cndmask_b32_e32 v16, 0, v16, vcc
	v_exp_f32_e32 v18, v18
	v_cvt_i32_f32_e32 v19, v20
	v_cmp_nlt_f32_e32 vcc, s5, v15
	v_cndmask_b32_e32 v15, v2, v16, vcc
	v_mov_b32_e32 v16, 0x42fedc7c
	v_fmac_f32_e32 v16, 0xc13d1eb8, v5
	v_fmac_f32_e32 v16, 0xc68c77dd, v4
	global_store_dword v[13:14], v15, off
	v_ldexp_f32 v15, v18, v19
	v_add_u32_e32 v0, s7, v0
	v_mul_f32_e32 v18, 0x3fb8aa3b, v16
	v_lshlrev_b64 v[13:14], 2, v[0:1]
	v_fma_f32 v19, v16, s6, -v18
	v_rndne_f32_e32 v20, v18
	v_fmac_f32_e32 v19, 0x32a5705f, v16
	v_sub_f32_e32 v18, v18, v20
	v_add_co_u32_e32 v13, vcc, s10, v13
	v_add_f32_e32 v18, v18, v19
	v_addc_co_u32_e32 v14, vcc, v3, v14, vcc
	v_exp_f32_e32 v18, v18
	v_cvt_i32_f32_e32 v19, v20
	v_cmp_ngt_f32_e32 vcc, s4, v17
	v_cndmask_b32_e32 v15, 0, v15, vcc
	v_cmp_nlt_f32_e32 vcc, s5, v17
	v_cndmask_b32_e32 v15, v2, v15, vcc
	global_store_dword v[13:14], v15, off
	v_ldexp_f32 v13, v18, v19
	v_cmp_ngt_f32_e32 vcc, s4, v16
	v_cndmask_b32_e32 v13, 0, v13, vcc
	v_cmp_nlt_f32_e32 vcc, s5, v16
	v_add_u32_e32 v0, s7, v0
	v_cndmask_b32_e32 v15, v2, v13, vcc
	v_lshlrev_b64 v[13:14], 2, v[0:1]
	v_add_u32_e32 v0, s7, v0
	v_add_co_u32_e32 v13, vcc, s10, v13
	v_addc_co_u32_e32 v14, vcc, v3, v14, vcc
	global_store_dword v[13:14], v15, off
	v_lshlrev_b64 v[13:14], 2, v[0:1]
	v_add_u32_e32 v0, s7, v0
	v_add_co_u32_e32 v13, vcc, s10, v13
	v_addc_co_u32_e32 v14, vcc, v3, v14, vcc
	global_store_dword v[13:14], v12, off
	;; [unrolled: 5-line block ×4, first 2 shown]
	v_mov_b32_e32 v7, 0x4205b870
	v_fmac_f32_e32 v7, 0xbd75c28f, v5
	v_fmac_f32_e32 v7, 0xc585aabc, v4
	v_mul_f32_e32 v15, 0x3fb8aa3b, v7
	v_fma_f32 v16, v7, s6, -v15
	v_rndne_f32_e32 v17, v15
	v_fmac_f32_e32 v16, 0x32a5705f, v7
	v_sub_f32_e32 v15, v15, v17
	v_add_f32_e32 v15, v15, v16
	v_exp_f32_e32 v15, v15
	v_cvt_i32_f32_e32 v16, v17
	v_lshlrev_b64 v[13:14], 2, v[0:1]
	v_add_u32_e32 v0, s7, v0
	v_add_co_u32_e32 v13, vcc, s10, v13
	v_ldexp_f32 v15, v15, v16
	v_mov_b32_e32 v16, 0x41a907a4
	v_fmac_f32_e32 v16, 0x3fb70a3d, v5
	v_fmac_f32_e32 v16, 0xc4a934e4, v4
	v_addc_co_u32_e32 v14, vcc, v3, v14, vcc
	v_mul_f32_e32 v17, 0x3fb8aa3b, v16
	global_store_dword v[13:14], v11, off
	v_lshlrev_b64 v[13:14], 2, v[0:1]
	v_fma_f32 v18, v16, s6, -v17
	v_rndne_f32_e32 v19, v17
	v_fmac_f32_e32 v18, 0x32a5705f, v16
	v_sub_f32_e32 v17, v17, v19
	v_add_co_u32_e32 v13, vcc, s10, v13
	v_add_f32_e32 v17, v17, v18
	v_addc_co_u32_e32 v14, vcc, v3, v14, vcc
	v_exp_f32_e32 v17, v17
	v_cvt_i32_f32_e32 v19, v19
	v_cmp_ngt_f32_e32 vcc, s4, v7
	v_mov_b32_e32 v18, 0x41e1866d
	v_cndmask_b32_e32 v15, 0, v15, vcc
	v_cmp_nlt_f32_e32 vcc, s5, v7
	v_cndmask_b32_e32 v7, v2, v15, vcc
	v_fmac_f32_e32 v18, 0xc429d5ec, v4
	global_store_dword v[13:14], v7, off
	v_ldexp_f32 v7, v17, v19
	v_cmp_ngt_f32_e32 vcc, s4, v16
	v_mul_f32_e32 v15, 0x3fb8aa3b, v18
	v_cndmask_b32_e32 v7, 0, v7, vcc
	v_cmp_nlt_f32_e32 vcc, s5, v16
	v_fma_f32 v16, v18, s6, -v15
	v_rndne_f32_e32 v17, v15
	v_fmac_f32_e32 v16, 0x32a5705f, v18
	v_sub_f32_e32 v15, v15, v17
	v_add_u32_e32 v0, s0, v0
	v_add_f32_e32 v15, v15, v16
	v_lshlrev_b64 v[13:14], 2, v[0:1]
	v_exp_f32_e32 v15, v15
	v_cvt_i32_f32_e32 v16, v17
	v_cndmask_b32_e32 v7, v2, v7, vcc
	v_add_co_u32_e32 v13, vcc, s10, v13
	v_addc_co_u32_e32 v14, vcc, v3, v14, vcc
	global_store_dword v[13:14], v7, off
	v_ldexp_f32 v7, v15, v16
	v_mul_f32_e32 v15, 0xc47b9bbc, v4
	v_cmp_ngt_f32_e32 vcc, s4, v18
	v_mul_f32_e32 v16, 0x3fb8aa3b, v15
	v_cndmask_b32_e32 v7, 0, v7, vcc
	v_cmp_nlt_f32_e32 vcc, s5, v18
	v_fma_f32 v17, v15, s6, -v16
	v_rndne_f32_e32 v18, v16
	v_fmac_f32_e32 v17, 0x32a5705f, v15
	v_sub_f32_e32 v16, v16, v18
	v_add_u32_e32 v0, s0, v0
	v_add_f32_e32 v16, v16, v17
	v_lshlrev_b64 v[13:14], 2, v[0:1]
	v_exp_f32_e32 v16, v16
	v_cvt_i32_f32_e32 v17, v18
	v_cndmask_b32_e32 v7, v2, v7, vcc
	v_add_co_u32_e32 v13, vcc, s10, v13
	v_addc_co_u32_e32 v14, vcc, v3, v14, vcc
	global_store_dword v[13:14], v7, off
	v_ldexp_f32 v7, v16, v17
	v_cmp_ngt_f32_e32 vcc, s4, v15
	v_add_u32_e32 v0, s7, v0
	v_cndmask_b32_e32 v7, 0, v7, vcc
	v_cmp_nlt_f32_e32 vcc, s5, v15
	v_lshlrev_b64 v[13:14], 2, v[0:1]
	v_mad_u64_u32 v[15:16], s[2:3], s7, 21, v[0:1]
	v_cndmask_b32_e32 v7, v2, v7, vcc
	v_add_co_u32_e32 v13, vcc, s10, v13
	v_mul_f32_e32 v17, 0x54da475b, v7
	v_addc_co_u32_e32 v14, vcc, v3, v14, vcc
	v_mov_b32_e32 v16, v1
	global_store_dword v[13:14], v17, off
	v_lshlrev_b64 v[13:14], 2, v[15:16]
	v_mul_f32_e32 v0, 0x551184e7, v7
	v_add_co_u32_e32 v13, vcc, s10, v13
	v_mad_u64_u32 v[15:16], s[2:3], s7, 34, v[15:16]
	v_addc_co_u32_e32 v14, vcc, v3, v14, vcc
	global_store_dword v[13:14], v0, off
	v_mov_b32_e32 v0, 0x41eb7cfb
	v_fmac_f32_e32 v0, 0x3e8a3d71, v5
	v_mov_b32_e32 v16, v1
	v_fmac_f32_e32 v0, 0xc30ce692, v4
	v_lshlrev_b64 v[13:14], 2, v[15:16]
	v_mul_f32_e32 v16, 0x3fb8aa3b, v0
	v_fma_f32 v17, v0, s6, -v16
	v_rndne_f32_e32 v18, v16
	v_fmac_f32_e32 v17, 0x32a5705f, v0
	v_sub_f32_e32 v16, v16, v18
	v_add_f32_e32 v16, v16, v17
	v_exp_f32_e32 v16, v16
	v_cvt_i32_f32_e32 v17, v18
	v_add_co_u32_e32 v13, vcc, s10, v13
	v_addc_co_u32_e32 v14, vcc, v3, v14, vcc
	v_mul_f32_e32 v7, 0x559184e7, v7
	global_store_dword v[13:14], v7, off
	v_ldexp_f32 v7, v16, v17
	v_cmp_ngt_f32_e32 vcc, s4, v0
	s_mul_i32 s1, s7, 0xffffffca
	v_cndmask_b32_e32 v7, 0, v7, vcc
	v_cmp_nlt_f32_e32 vcc, s5, v0
	v_add_u32_e32 v0, s1, v15
	v_lshlrev_b64 v[13:14], 2, v[0:1]
	v_cndmask_b32_e32 v7, v2, v7, vcc
	v_add_co_u32_e32 v13, vcc, s10, v13
	v_addc_co_u32_e32 v14, vcc, v3, v14, vcc
	v_add_u32_e32 v0, s7, v0
	global_store_dword v[13:14], v7, off
	v_lshlrev_b64 v[13:14], 2, v[0:1]
	v_add_u32_e32 v0, s7, v0
	v_add_co_u32_e32 v13, vcc, s10, v13
	v_addc_co_u32_e32 v14, vcc, v3, v14, vcc
	global_store_dword v[13:14], v8, off
	v_lshlrev_b64 v[7:8], 2, v[0:1]
	v_add_u32_e32 v0, s7, v0
	v_add_co_u32_e32 v7, vcc, s10, v7
	v_addc_co_u32_e32 v8, vcc, v3, v8, vcc
	global_store_dword v[7:8], v9, off
	v_lshlrev_b64 v[7:8], 2, v[0:1]
	v_mov_b32_e32 v13, 0x562e9f7c
	v_add_co_u32_e32 v7, vcc, s10, v7
	v_addc_co_u32_e32 v8, vcc, v3, v8, vcc
	v_add_u32_e32 v0, s7, v0
	global_store_dword v[7:8], v13, off
	v_lshlrev_b64 v[7:8], 2, v[0:1]
	v_add_u32_e32 v0, s7, v0
	v_add_co_u32_e32 v7, vcc, s10, v7
	v_addc_co_u32_e32 v8, vcc, v3, v8, vcc
	global_store_dword v[7:8], v13, off
	v_mov_b32_e32 v13, 0x4161bb1b
	v_fmac_f32_e32 v13, 0x3fce147b, v5
	v_fmac_f32_e32 v13, 0x4340eeeb, v4
	v_mul_f32_e32 v14, 0x3fb8aa3b, v13
	v_fma_f32 v15, v13, s6, -v14
	v_rndne_f32_e32 v16, v14
	v_fmac_f32_e32 v15, 0x32a5705f, v13
	v_sub_f32_e32 v14, v14, v16
	v_add_f32_e32 v14, v14, v15
	v_lshlrev_b64 v[7:8], 2, v[0:1]
	v_exp_f32_e32 v14, v14
	v_cvt_i32_f32_e32 v15, v16
	v_add_co_u32_e32 v7, vcc, s10, v7
	v_addc_co_u32_e32 v8, vcc, v3, v8, vcc
	v_mov_b32_e32 v16, 0x55db143f
	global_store_dword v[7:8], v16, off
	v_ldexp_f32 v7, v14, v15
	v_mov_b32_e32 v14, 0x41d36a98
	v_fmac_f32_e32 v14, 0x3e947ae1, v5
	v_fmac_f32_e32 v14, 0xc0b121dc, v4
	v_mul_f32_e32 v15, 0x3fb8aa3b, v14
	v_fma_f32 v16, v14, s6, -v15
	v_rndne_f32_e32 v17, v15
	v_cmp_ngt_f32_e32 vcc, s4, v13
	v_fmac_f32_e32 v16, 0x32a5705f, v14
	v_sub_f32_e32 v15, v15, v17
	v_cndmask_b32_e32 v7, 0, v7, vcc
	v_cmp_nlt_f32_e32 vcc, s5, v13
	v_add_u32_e32 v0, s7, v0
	v_add_f32_e32 v15, v15, v16
	v_cndmask_b32_e32 v13, v2, v7, vcc
	v_lshlrev_b64 v[7:8], 2, v[0:1]
	v_exp_f32_e32 v15, v15
	v_cvt_i32_f32_e32 v16, v17
	v_add_co_u32_e32 v7, vcc, s10, v7
	v_addc_co_u32_e32 v8, vcc, v3, v8, vcc
	global_store_dword v[7:8], v13, off
	v_ldexp_f32 v7, v15, v16
	v_cmp_ngt_f32_e32 vcc, s4, v14
	v_cndmask_b32_e32 v7, 0, v7, vcc
	v_cmp_nlt_f32_e32 vcc, s5, v14
	v_mov_b32_e32 v14, 0x4219783c
	v_fmac_f32_e32 v14, 0xbfb1eb85, v5
	v_fmac_f32_e32 v14, 0xc3fe1fda, v4
	v_mul_f32_e32 v15, 0x3fb8aa3b, v14
	v_fma_f32 v16, v14, s6, -v15
	v_rndne_f32_e32 v17, v15
	v_fmac_f32_e32 v16, 0x32a5705f, v14
	v_sub_f32_e32 v15, v15, v17
	v_add_u32_e32 v0, s7, v0
	v_add_f32_e32 v15, v15, v16
	v_cndmask_b32_e32 v13, v2, v7, vcc
	v_lshlrev_b64 v[7:8], 2, v[0:1]
	v_exp_f32_e32 v15, v15
	v_cvt_i32_f32_e32 v16, v17
	v_add_co_u32_e32 v7, vcc, s10, v7
	v_addc_co_u32_e32 v8, vcc, v3, v8, vcc
	global_store_dword v[7:8], v13, off
	v_ldexp_f32 v7, v15, v16
	v_cmp_ngt_f32_e32 vcc, s4, v14
	v_cndmask_b32_e32 v7, 0, v7, vcc
	v_cmp_nlt_f32_e32 vcc, s5, v14
	v_add_u32_e32 v0, s7, v0
	v_cndmask_b32_e32 v13, v2, v7, vcc
	v_lshlrev_b64 v[7:8], 2, v[0:1]
	v_add_u32_e32 v0, s7, v0
	v_add_co_u32_e32 v7, vcc, s10, v7
	v_addc_co_u32_e32 v8, vcc, v3, v8, vcc
	global_store_dword v[7:8], v13, off
	v_mov_b32_e32 v13, 0x41b9bb55
	v_fmac_f32_e32 v13, 0x4395f565, v4
	v_mul_f32_e32 v14, 0x3fb8aa3b, v13
	v_fma_f32 v15, v13, s6, -v14
	v_rndne_f32_e32 v16, v14
	v_fmac_f32_e32 v15, 0x32a5705f, v13
	v_sub_f32_e32 v14, v14, v16
	v_add_f32_e32 v14, v14, v15
	v_lshlrev_b64 v[7:8], 2, v[0:1]
	v_exp_f32_e32 v14, v14
	v_cvt_i32_f32_e32 v15, v16
	v_add_co_u32_e32 v7, vcc, s10, v7
	v_addc_co_u32_e32 v8, vcc, v3, v8, vcc
	global_store_dword v[7:8], v11, off
	v_ldexp_f32 v7, v14, v15
	v_cmp_ngt_f32_e32 vcc, s4, v13
	v_cndmask_b32_e32 v7, 0, v7, vcc
	v_cmp_nlt_f32_e32 vcc, s5, v13
	v_add_u32_e32 v0, s7, v0
	v_cndmask_b32_e32 v11, v2, v7, vcc
	v_lshlrev_b64 v[7:8], 2, v[0:1]
	v_add_u32_e32 v0, s7, v0
	v_add_co_u32_e32 v7, vcc, s10, v7
	v_addc_co_u32_e32 v8, vcc, v3, v8, vcc
	global_store_dword v[7:8], v11, off
	v_lshlrev_b64 v[7:8], 2, v[0:1]
	v_mov_b32_e32 v11, 0x56a44f2f
	v_add_co_u32_e32 v7, vcc, s10, v7
	v_addc_co_u32_e32 v8, vcc, v3, v8, vcc
	v_add_u32_e32 v0, s7, v0
	global_store_dword v[7:8], v11, off
	v_lshlrev_b64 v[7:8], 2, v[0:1]
	v_mov_b32_e32 v11, 0x52b68a0b
	v_add_co_u32_e32 v7, vcc, s10, v7
	v_addc_co_u32_e32 v8, vcc, v3, v8, vcc
	global_store_dword v[7:8], v11, off
	v_mov_b32_e32 v11, 0x425eab87
	v_fmac_f32_e32 v11, 0xc0351eb8, v5
	v_fmac_f32_e32 v11, 0xc612638d, v4
	v_mul_f32_e32 v13, 0x3fb8aa3b, v11
	v_fma_f32 v14, v11, s6, -v13
	v_rndne_f32_e32 v15, v13
	v_fmac_f32_e32 v14, 0x32a5705f, v11
	v_sub_f32_e32 v13, v13, v15
	v_add_u32_e32 v0, s7, v0
	v_add_f32_e32 v13, v13, v14
	v_lshlrev_b64 v[7:8], 2, v[0:1]
	v_exp_f32_e32 v13, v13
	v_cvt_i32_f32_e32 v14, v15
	v_add_co_u32_e32 v7, vcc, s10, v7
	v_addc_co_u32_e32 v8, vcc, v3, v8, vcc
	v_mov_b32_e32 v15, 0x55b5e621
	global_store_dword v[7:8], v15, off
	v_ldexp_f32 v7, v13, v14
	v_mov_b32_e32 v13, 0x42c0eb94
	v_fmac_f32_e32 v13, 0xc1125a1d, v5
	v_fmac_f32_e32 v13, 0xc6b861b9, v4
	v_mul_f32_e32 v14, 0x3fb8aa3b, v13
	v_fma_f32 v15, v13, s6, -v14
	v_rndne_f32_e32 v16, v14
	v_cmp_ngt_f32_e32 vcc, s4, v11
	v_fmac_f32_e32 v15, 0x32a5705f, v13
	v_sub_f32_e32 v14, v14, v16
	v_cndmask_b32_e32 v7, 0, v7, vcc
	v_cmp_nlt_f32_e32 vcc, s5, v11
	v_add_u32_e32 v0, s7, v0
	v_add_f32_e32 v14, v14, v15
	v_cndmask_b32_e32 v11, v2, v7, vcc
	v_lshlrev_b64 v[7:8], 2, v[0:1]
	v_exp_f32_e32 v14, v14
	v_cvt_i32_f32_e32 v15, v16
	v_add_co_u32_e32 v7, vcc, s10, v7
	v_addc_co_u32_e32 v8, vcc, v3, v8, vcc
	global_store_dword v[7:8], v11, off
	v_ldexp_f32 v7, v14, v15
	v_cmp_ngt_f32_e32 vcc, s4, v13
	v_cndmask_b32_e32 v7, 0, v7, vcc
	v_cmp_nlt_f32_e32 vcc, s5, v13
	v_add_u32_e32 v0, s7, v0
	v_cndmask_b32_e32 v11, v2, v7, vcc
	v_lshlrev_b64 v[7:8], 2, v[0:1]
	v_add_u32_e32 v0, s7, v0
	v_add_co_u32_e32 v7, vcc, s10, v7
	v_addc_co_u32_e32 v8, vcc, v3, v8, vcc
	global_store_dword v[7:8], v11, off
	v_lshlrev_b64 v[7:8], 2, v[0:1]
	v_mul_f32_e32 v11, 0xc4fb9bbc, v4
	v_add_co_u32_e32 v7, vcc, s10, v7
	v_addc_co_u32_e32 v8, vcc, v3, v8, vcc
	global_store_dword v[7:8], v12, off
	v_mul_f32_e32 v12, 0x3fb8aa3b, v11
	v_fma_f32 v13, v11, s6, -v12
	v_rndne_f32_e32 v14, v12
	v_fmac_f32_e32 v13, 0x32a5705f, v11
	v_sub_f32_e32 v12, v12, v14
	v_add_u32_e32 v0, s7, v0
	v_add_f32_e32 v12, v12, v13
	v_lshlrev_b64 v[7:8], 2, v[0:1]
	v_exp_f32_e32 v12, v12
	v_cvt_i32_f32_e32 v13, v14
	v_add_co_u32_e32 v7, vcc, s10, v7
	v_addc_co_u32_e32 v8, vcc, v3, v8, vcc
	v_mov_b32_e32 v14, 0x56a3b584
	global_store_dword v[7:8], v14, off
	v_ldexp_f32 v7, v12, v13
	v_cmp_ngt_f32_e32 vcc, s4, v11
	v_cndmask_b32_e32 v7, 0, v7, vcc
	v_cmp_nlt_f32_e32 vcc, s5, v11
	v_cndmask_b32_e32 v7, v2, v7, vcc
	v_add_u32_e32 v0, s7, v0
	v_mul_f32_e32 v11, 0x559184e7, v7
	v_lshlrev_b64 v[7:8], 2, v[0:1]
	v_add_u32_e32 v0, s7, v0
	v_add_co_u32_e32 v7, vcc, s10, v7
	v_addc_co_u32_e32 v8, vcc, v3, v8, vcc
	global_store_dword v[7:8], v11, off
	v_lshlrev_b64 v[7:8], 2, v[0:1]
	v_add_u32_e32 v0, s0, v0
	v_add_co_u32_e32 v7, vcc, s10, v7
	v_addc_co_u32_e32 v8, vcc, v3, v8, vcc
	global_store_dword v[7:8], v11, off
	v_lshlrev_b64 v[7:8], 2, v[0:1]
	v_mov_b32_e32 v11, 0x5202629a
	v_add_co_u32_e32 v7, vcc, s10, v7
	v_addc_co_u32_e32 v8, vcc, v3, v8, vcc
	global_store_dword v[7:8], v11, off
	v_mov_b32_e32 v11, 0x41edaf07
	v_fmac_f32_e32 v11, 0x3ee147ae, v5
	v_fmac_f32_e32 v11, 0xc72e7e8b, v4
	v_mul_f32_e32 v12, 0x3fb8aa3b, v11
	v_fma_f32 v13, v11, s6, -v12
	v_rndne_f32_e32 v14, v12
	v_fmac_f32_e32 v13, 0x32a5705f, v11
	v_sub_f32_e32 v12, v12, v14
	v_add_u32_e32 v0, s7, v0
	v_add_f32_e32 v12, v12, v13
	v_lshlrev_b64 v[7:8], 2, v[0:1]
	v_exp_f32_e32 v12, v12
	v_cvt_i32_f32_e32 v13, v14
	v_add_co_u32_e32 v7, vcc, s10, v7
	v_addc_co_u32_e32 v8, vcc, v3, v8, vcc
	v_mov_b32_e32 v14, 0x50861c46
	global_store_dword v[7:8], v14, off
	v_ldexp_f32 v7, v12, v13
	v_mov_b32_e32 v12, 0x41dda9f3
	v_fmac_f32_e32 v12, 0x3ee872b0, v5
	v_fmac_f32_e32 v12, 0xc464f6ad, v4
	v_mul_f32_e32 v13, 0x3fb8aa3b, v12
	v_fma_f32 v14, v12, s6, -v13
	v_rndne_f32_e32 v15, v13
	v_cmp_ngt_f32_e32 vcc, s4, v11
	v_fmac_f32_e32 v14, 0x32a5705f, v12
	v_sub_f32_e32 v13, v13, v15
	v_cndmask_b32_e32 v7, 0, v7, vcc
	v_cmp_nlt_f32_e32 vcc, s5, v11
	v_add_u32_e32 v0, s7, v0
	v_add_f32_e32 v13, v13, v14
	v_cndmask_b32_e32 v11, v2, v7, vcc
	v_lshlrev_b64 v[7:8], 2, v[0:1]
	v_exp_f32_e32 v13, v13
	v_cvt_i32_f32_e32 v14, v15
	v_add_co_u32_e32 v7, vcc, s10, v7
	v_addc_co_u32_e32 v8, vcc, v3, v8, vcc
	global_store_dword v[7:8], v11, off
	v_ldexp_f32 v7, v13, v14
	v_cmp_ngt_f32_e32 vcc, s4, v12
	v_cndmask_b32_e32 v7, 0, v7, vcc
	v_cmp_nlt_f32_e32 vcc, s5, v12
	v_mov_b32_e32 v12, 0x418dee76
	v_fmac_f32_e32 v12, 0x3ff70a3d, v5
	v_fmac_f32_e32 v12, 0xc5cba53f, v4
	v_mul_f32_e32 v13, 0x3fb8aa3b, v12
	v_fma_f32 v14, v12, s6, -v13
	v_rndne_f32_e32 v15, v13
	v_fmac_f32_e32 v14, 0x32a5705f, v12
	v_sub_f32_e32 v13, v13, v15
	v_add_u32_e32 v0, s7, v0
	v_add_f32_e32 v13, v13, v14
	v_cndmask_b32_e32 v11, v2, v7, vcc
	v_lshlrev_b64 v[7:8], 2, v[0:1]
	v_exp_f32_e32 v13, v13
	v_cvt_i32_f32_e32 v14, v15
	v_add_co_u32_e32 v7, vcc, s10, v7
	v_addc_co_u32_e32 v8, vcc, v3, v8, vcc
	global_store_dword v[7:8], v11, off
	v_ldexp_f32 v7, v13, v14
	v_cmp_ngt_f32_e32 vcc, s4, v12
	v_cndmask_b32_e32 v7, 0, v7, vcc
	v_cmp_nlt_f32_e32 vcc, s5, v12
	v_mov_b32_e32 v12, 0x41843ddc
	v_fmac_f32_e32 v12, 0x3ff47ae1, v5
	v_fmac_f32_e32 v12, 0xc4eb40f9, v4
	v_mul_f32_e32 v13, 0x3fb8aa3b, v12
	v_fma_f32 v14, v12, s6, -v13
	v_rndne_f32_e32 v15, v13
	v_fmac_f32_e32 v14, 0x32a5705f, v12
	v_sub_f32_e32 v13, v13, v15
	v_add_u32_e32 v0, s7, v0
	v_add_f32_e32 v13, v13, v14
	v_cndmask_b32_e32 v11, v2, v7, vcc
	v_lshlrev_b64 v[7:8], 2, v[0:1]
	v_exp_f32_e32 v13, v13
	v_cvt_i32_f32_e32 v14, v15
	v_add_co_u32_e32 v7, vcc, s10, v7
	v_addc_co_u32_e32 v8, vcc, v3, v8, vcc
	global_store_dword v[7:8], v11, off
	v_ldexp_f32 v7, v13, v14
	v_cmp_ngt_f32_e32 vcc, s4, v12
	v_cndmask_b32_e32 v7, 0, v7, vcc
	v_cmp_nlt_f32_e32 vcc, s5, v12
	v_mul_f32_e32 v12, 0xc2dd6a53, v4
	v_fmac_f32_e32 v12, 0x3fea3d71, v5
	v_mul_f32_e32 v13, 0x3fb8aa3b, v12
	v_fma_f32 v14, v12, s6, -v13
	v_rndne_f32_e32 v15, v13
	v_fmac_f32_e32 v14, 0x32a5705f, v12
	v_sub_f32_e32 v13, v13, v15
	v_add_u32_e32 v0, s7, v0
	v_add_f32_e32 v13, v13, v14
	v_cndmask_b32_e32 v11, v2, v7, vcc
	v_lshlrev_b64 v[7:8], 2, v[0:1]
	v_exp_f32_e32 v13, v13
	v_cvt_i32_f32_e32 v14, v15
	v_add_co_u32_e32 v7, vcc, s10, v7
	v_addc_co_u32_e32 v8, vcc, v3, v8, vcc
	global_store_dword v[7:8], v11, off
	v_ldexp_f32 v7, v13, v14
	v_cmp_ngt_f32_e32 vcc, s4, v12
	v_cndmask_b32_e32 v7, 0, v7, vcc
	v_cmp_nlt_f32_e32 vcc, s5, v12
	v_add_u32_e32 v0, s7, v0
	v_cndmask_b32_e32 v11, v2, v7, vcc
	v_lshlrev_b64 v[7:8], 2, v[0:1]
	v_mul_f32_e32 v12, 0x4b927c00, v11
	v_add_co_u32_e32 v7, vcc, s10, v7
	v_addc_co_u32_e32 v8, vcc, v3, v8, vcc
	global_store_dword v[7:8], v12, off
	v_mov_b32_e32 v12, 0x41718b09
	v_fmac_f32_e32 v12, 2.0, v5
	v_fmac_f32_e32 v12, 0xc49d4155, v4
	v_mul_f32_e32 v13, 0x3fb8aa3b, v12
	v_fma_f32 v14, v12, s6, -v13
	v_rndne_f32_e32 v15, v13
	v_fmac_f32_e32 v14, 0x32a5705f, v12
	v_sub_f32_e32 v13, v13, v15
	v_add_u32_e32 v0, s7, v0
	v_add_f32_e32 v13, v13, v14
	v_lshlrev_b64 v[7:8], 2, v[0:1]
	v_exp_f32_e32 v13, v13
	v_cvt_i32_f32_e32 v14, v15
	v_add_co_u32_e32 v7, vcc, s10, v7
	v_mul_f32_e32 v11, 0x48bb8000, v11
	v_addc_co_u32_e32 v8, vcc, v3, v8, vcc
	global_store_dword v[7:8], v11, off
	v_ldexp_f32 v7, v13, v14
	v_cmp_ngt_f32_e32 vcc, s4, v12
	v_cndmask_b32_e32 v7, 0, v7, vcc
	v_cmp_nlt_f32_e32 vcc, s5, v12
	v_mov_b32_e32 v12, 0x41fafccf
	v_fmac_f32_e32 v12, 0xc6ef0726, v4
	v_mul_f32_e32 v13, 0x3fb8aa3b, v12
	v_fma_f32 v14, v12, s6, -v13
	v_rndne_f32_e32 v15, v13
	v_fmac_f32_e32 v14, 0x32a5705f, v12
	v_sub_f32_e32 v13, v13, v15
	v_add_u32_e32 v0, s7, v0
	v_add_f32_e32 v13, v13, v14
	v_cndmask_b32_e32 v11, v2, v7, vcc
	v_lshlrev_b64 v[7:8], 2, v[0:1]
	v_exp_f32_e32 v13, v13
	v_cvt_i32_f32_e32 v14, v15
	v_add_co_u32_e32 v7, vcc, s10, v7
	v_addc_co_u32_e32 v8, vcc, v3, v8, vcc
	global_store_dword v[7:8], v11, off
	v_ldexp_f32 v7, v13, v14
	v_cmp_ngt_f32_e32 vcc, s4, v12
	v_cndmask_b32_e32 v7, 0, v7, vcc
	v_cmp_nlt_f32_e32 vcc, s5, v12
	v_mov_b32_e32 v12, 0x41e297e6
	v_fmac_f32_e32 v12, 0xc5dc2844, v4
	v_mul_f32_e32 v13, 0x3fb8aa3b, v12
	v_fma_f32 v14, v12, s6, -v13
	v_rndne_f32_e32 v15, v13
	v_fmac_f32_e32 v14, 0x32a5705f, v12
	v_sub_f32_e32 v13, v13, v15
	v_add_u32_e32 v0, s7, v0
	v_add_f32_e32 v13, v13, v14
	v_cndmask_b32_e32 v11, v2, v7, vcc
	v_lshlrev_b64 v[7:8], 2, v[0:1]
	v_exp_f32_e32 v13, v13
	v_cvt_i32_f32_e32 v14, v15
	v_add_co_u32_e32 v7, vcc, s10, v7
	v_addc_co_u32_e32 v8, vcc, v3, v8, vcc
	global_store_dword v[7:8], v11, off
	v_ldexp_f32 v7, v13, v14
	v_cmp_ngt_f32_e32 vcc, s4, v12
	v_fmac_f32_e32 v10, 0xc57b9bbc, v4
	v_cndmask_b32_e32 v7, 0, v7, vcc
	v_cmp_nlt_f32_e32 vcc, s5, v12
	v_mul_f32_e32 v12, 0x3fb8aa3b, v10
	v_add_u32_e32 v0, s7, v0
	v_fma_f32 v13, v10, s6, -v12
	v_rndne_f32_e32 v14, v12
	v_cndmask_b32_e32 v11, v2, v7, vcc
	v_lshlrev_b64 v[7:8], 2, v[0:1]
	v_fmac_f32_e32 v13, 0x32a5705f, v10
	v_sub_f32_e32 v12, v12, v14
	v_add_f32_e32 v12, v12, v13
	v_exp_f32_e32 v12, v12
	v_cvt_i32_f32_e32 v13, v14
	v_add_co_u32_e32 v7, vcc, s10, v7
	v_addc_co_u32_e32 v8, vcc, v3, v8, vcc
	global_store_dword v[7:8], v11, off
	v_mov_b32_e32 v11, 0x41f50397
	v_fmac_f32_e32 v11, 0xc53cb4cd, v4
	v_ldexp_f32 v7, v12, v13
	v_mul_f32_e32 v12, 0x3fb8aa3b, v11
	v_fma_f32 v13, v11, s6, -v12
	v_rndne_f32_e32 v14, v12
	v_cmp_ngt_f32_e32 vcc, s4, v10
	v_fmac_f32_e32 v13, 0x32a5705f, v11
	v_sub_f32_e32 v12, v12, v14
	v_cndmask_b32_e32 v7, 0, v7, vcc
	v_cmp_nlt_f32_e32 vcc, s5, v10
	v_add_u32_e32 v0, s7, v0
	v_add_f32_e32 v12, v12, v13
	v_cndmask_b32_e32 v10, v2, v7, vcc
	v_lshlrev_b64 v[7:8], 2, v[0:1]
	v_exp_f32_e32 v12, v12
	v_cvt_i32_f32_e32 v13, v14
	v_add_co_u32_e32 v7, vcc, s10, v7
	v_addc_co_u32_e32 v8, vcc, v3, v8, vcc
	global_store_dword v[7:8], v10, off
	v_ldexp_f32 v7, v12, v13
	v_cmp_ngt_f32_e32 vcc, s4, v11
	v_cndmask_b32_e32 v7, 0, v7, vcc
	v_cmp_nlt_f32_e32 vcc, s5, v11
	v_add_u32_e32 v0, s7, v0
	v_cndmask_b32_e32 v10, v2, v7, vcc
	v_lshlrev_b64 v[7:8], 2, v[0:1]
	v_add_u32_e32 v0, s7, v0
	v_add_co_u32_e32 v7, vcc, s10, v7
	v_addc_co_u32_e32 v8, vcc, v3, v8, vcc
	global_store_dword v[7:8], v10, off
	v_mov_b32_e32 v10, 0x414552c3
	v_fmac_f32_e32 v10, 2.0, v5
	v_fmac_f32_e32 v10, 0xc590acbf, v4
	v_lshlrev_b64 v[7:8], 2, v[0:1]
	v_mul_f32_e32 v11, 0x3fb8aa3b, v10
	v_fma_f32 v12, v10, s6, -v11
	v_rndne_f32_e32 v13, v11
	v_add_co_u32_e32 v7, vcc, s10, v7
	v_fmac_f32_e32 v12, 0x32a5705f, v10
	v_sub_f32_e32 v11, v11, v13
	v_addc_co_u32_e32 v8, vcc, v3, v8, vcc
	v_add_u32_e32 v0, s7, v0
	v_add_f32_e32 v11, v11, v12
	global_store_dword v[7:8], v6, off
	v_lshlrev_b64 v[7:8], 2, v[0:1]
	v_exp_f32_e32 v11, v11
	v_cvt_i32_f32_e32 v12, v13
	v_add_co_u32_e32 v7, vcc, s10, v7
	v_addc_co_u32_e32 v8, vcc, v3, v8, vcc
	global_store_dword v[7:8], v6, off
	v_ldexp_f32 v6, v11, v12
	v_cmp_ngt_f32_e32 vcc, s4, v10
	v_cndmask_b32_e32 v6, 0, v6, vcc
	v_cmp_nlt_f32_e32 vcc, s5, v10
	v_mov_b32_e32 v10, 0x41d42dca
	v_fmac_f32_e32 v10, 0xc5722c4b, v4
	v_mul_f32_e32 v11, 0x3fb8aa3b, v10
	v_fma_f32 v12, v10, s6, -v11
	v_rndne_f32_e32 v13, v11
	v_fmac_f32_e32 v12, 0x32a5705f, v10
	v_sub_f32_e32 v11, v11, v13
	v_add_u32_e32 v0, s7, v0
	v_add_f32_e32 v11, v11, v12
	v_cndmask_b32_e32 v8, v2, v6, vcc
	v_lshlrev_b64 v[6:7], 2, v[0:1]
	v_exp_f32_e32 v11, v11
	v_cvt_i32_f32_e32 v12, v13
	v_add_co_u32_e32 v6, vcc, s10, v6
	v_addc_co_u32_e32 v7, vcc, v3, v7, vcc
	global_store_dword v[6:7], v8, off
	v_ldexp_f32 v6, v11, v12
	v_cmp_ngt_f32_e32 vcc, s4, v10
	v_cndmask_b32_e32 v6, 0, v6, vcc
	v_cmp_nlt_f32_e32 vcc, s5, v10
	v_mov_b32_e32 v10, 0x42232d98
	v_fmac_f32_e32 v10, 0xbf7d70a4, v5
	v_fmac_f32_e32 v10, 0xc446c545, v4
	v_mul_f32_e32 v11, 0x3fb8aa3b, v10
	v_fma_f32 v12, v10, s6, -v11
	v_rndne_f32_e32 v13, v11
	v_fmac_f32_e32 v12, 0x32a5705f, v10
	v_sub_f32_e32 v11, v11, v13
	v_add_u32_e32 v0, s7, v0
	v_add_f32_e32 v11, v11, v12
	v_cndmask_b32_e32 v8, v2, v6, vcc
	v_lshlrev_b64 v[6:7], 2, v[0:1]
	v_exp_f32_e32 v11, v11
	v_cvt_i32_f32_e32 v12, v13
	v_add_co_u32_e32 v6, vcc, s10, v6
	v_addc_co_u32_e32 v7, vcc, v3, v7, vcc
	global_store_dword v[6:7], v8, off
	v_ldexp_f32 v6, v11, v12
	v_cmp_ngt_f32_e32 vcc, s4, v10
	v_cndmask_b32_e32 v6, 0, v6, vcc
	v_cmp_nlt_f32_e32 vcc, s5, v10
	v_add_u32_e32 v0, s7, v0
	v_cndmask_b32_e32 v8, v2, v6, vcc
	v_lshlrev_b64 v[6:7], 2, v[0:1]
	v_add_u32_e32 v0, s7, v0
	v_add_co_u32_e32 v6, vcc, s10, v6
	v_addc_co_u32_e32 v7, vcc, v3, v7, vcc
	global_store_dword v[6:7], v8, off
	v_lshlrev_b64 v[6:7], 2, v[0:1]
	v_mov_b32_e32 v8, 0x53e8d4a5
	v_add_co_u32_e32 v6, vcc, s10, v6
	v_addc_co_u32_e32 v7, vcc, v3, v7, vcc
	v_add_u32_e32 v0, s7, v0
	global_store_dword v[6:7], v8, off
	v_lshlrev_b64 v[6:7], 2, v[0:1]
	v_mov_b32_e32 v8, 0x556969a8
	v_add_co_u32_e32 v6, vcc, s10, v6
	v_addc_co_u32_e32 v7, vcc, v3, v7, vcc
	v_add_u32_e32 v0, s7, v0
	;; [unrolled: 6-line block ×5, first 2 shown]
	global_store_dword v[6:7], v8, off
	v_lshlrev_b64 v[6:7], 2, v[0:1]
	v_add_u32_e32 v0, s7, v0
	v_add_co_u32_e32 v6, vcc, s10, v6
	v_addc_co_u32_e32 v7, vcc, v3, v7, vcc
	global_store_dword v[6:7], v8, off
	v_mov_b32_e32 v8, 0x41b717bc
	v_fmac_f32_e32 v8, 0xc3f51107, v4
	v_mul_f32_e32 v10, 0x3fb8aa3b, v8
	v_fma_f32 v11, v8, s6, -v10
	v_rndne_f32_e32 v12, v10
	v_fmac_f32_e32 v11, 0x32a5705f, v8
	v_sub_f32_e32 v10, v10, v12
	v_add_f32_e32 v10, v10, v11
	v_lshlrev_b64 v[6:7], 2, v[0:1]
	v_exp_f32_e32 v13, v10
	v_cvt_i32_f32_e32 v12, v12
	v_add_co_u32_e32 v10, vcc, s10, v6
	v_addc_co_u32_e32 v11, vcc, v3, v7, vcc
	v_ldexp_f32 v7, v13, v12
	v_cmp_ngt_f32_e32 vcc, s4, v8
	v_mov_b32_e32 v6, 0x55ae9f7c
	v_cndmask_b32_e32 v7, 0, v7, vcc
	v_cmp_nlt_f32_e32 vcc, s5, v8
	v_add_u32_e32 v0, s7, v0
	global_store_dword v[10:11], v6, off
	v_cndmask_b32_e32 v10, v2, v7, vcc
	v_lshlrev_b64 v[7:8], 2, v[0:1]
	v_add_u32_e32 v0, s7, v0
	v_add_co_u32_e32 v7, vcc, s10, v7
	v_addc_co_u32_e32 v8, vcc, v3, v8, vcc
	global_store_dword v[7:8], v10, off
	v_mov_b32_e32 v10, 0x41947bc9
	v_fmac_f32_e32 v10, 0x3ff33333, v5
	v_fmac_f32_e32 v10, 0xc56cd38b, v4
	v_mul_f32_e32 v11, 0x3fb8aa3b, v10
	v_fma_f32 v12, v10, s6, -v11
	v_rndne_f32_e32 v13, v11
	v_fmac_f32_e32 v12, 0x32a5705f, v10
	v_sub_f32_e32 v11, v11, v13
	v_add_f32_e32 v11, v11, v12
	v_lshlrev_b64 v[7:8], 2, v[0:1]
	v_exp_f32_e32 v11, v11
	v_cvt_i32_f32_e32 v12, v13
	v_add_co_u32_e32 v7, vcc, s10, v7
	v_addc_co_u32_e32 v8, vcc, v3, v8, vcc
	v_mov_b32_e32 v13, 0x56da475b
	global_store_dword v[7:8], v13, off
	v_ldexp_f32 v7, v11, v12
	v_mov_b32_e32 v11, 0x41928138
	v_fmac_f32_e32 v11, 0x3ff5c28f, v5
	v_fmac_f32_e32 v11, 0xc532f4d8, v4
	v_mul_f32_e32 v12, 0x3fb8aa3b, v11
	v_fma_f32 v13, v11, s6, -v12
	v_rndne_f32_e32 v14, v12
	v_cmp_ngt_f32_e32 vcc, s4, v10
	v_fmac_f32_e32 v13, 0x32a5705f, v11
	v_sub_f32_e32 v12, v12, v14
	v_cndmask_b32_e32 v7, 0, v7, vcc
	v_cmp_nlt_f32_e32 vcc, s5, v10
	v_add_u32_e32 v0, s7, v0
	v_add_f32_e32 v12, v12, v13
	v_cndmask_b32_e32 v10, v2, v7, vcc
	v_lshlrev_b64 v[7:8], 2, v[0:1]
	v_exp_f32_e32 v12, v12
	v_cvt_i32_f32_e32 v13, v14
	v_add_co_u32_e32 v7, vcc, s10, v7
	v_addc_co_u32_e32 v8, vcc, v3, v8, vcc
	global_store_dword v[7:8], v10, off
	v_ldexp_f32 v7, v12, v13
	v_cmp_ngt_f32_e32 vcc, s4, v11
	v_cndmask_b32_e32 v7, 0, v7, vcc
	v_cmp_nlt_f32_e32 vcc, s5, v11
	v_mov_b32_e32 v11, 0x41714632
	v_fmac_f32_e32 v11, 0x4007ae14, v5
	v_fmac_f32_e32 v11, 0xc3dae635, v4
	v_mul_f32_e32 v12, 0x3fb8aa3b, v11
	v_fma_f32 v13, v11, s6, -v12
	v_rndne_f32_e32 v14, v12
	v_fmac_f32_e32 v13, 0x32a5705f, v11
	v_sub_f32_e32 v12, v12, v14
	v_add_u32_e32 v0, s7, v0
	v_add_f32_e32 v12, v12, v13
	v_cndmask_b32_e32 v10, v2, v7, vcc
	v_lshlrev_b64 v[7:8], 2, v[0:1]
	v_exp_f32_e32 v12, v12
	v_cvt_i32_f32_e32 v13, v14
	v_add_co_u32_e32 v7, vcc, s10, v7
	v_addc_co_u32_e32 v8, vcc, v3, v8, vcc
	global_store_dword v[7:8], v10, off
	v_ldexp_f32 v7, v12, v13
	v_cmp_ngt_f32_e32 vcc, s4, v11
	v_cndmask_b32_e32 v7, 0, v7, vcc
	v_cmp_nlt_f32_e32 vcc, s5, v11
	v_mov_b32_e32 v11, 0x41fa8f28
	v_fmac_f32_e32 v11, 0x438a6274, v4
	v_mul_f32_e32 v12, 0x3fb8aa3b, v11
	v_fma_f32 v13, v11, s6, -v12
	v_rndne_f32_e32 v14, v12
	v_fmac_f32_e32 v13, 0x32a5705f, v11
	v_sub_f32_e32 v12, v12, v14
	v_add_u32_e32 v0, s7, v0
	v_add_f32_e32 v12, v12, v13
	v_cndmask_b32_e32 v10, v2, v7, vcc
	v_lshlrev_b64 v[7:8], 2, v[0:1]
	v_exp_f32_e32 v12, v12
	v_cvt_i32_f32_e32 v13, v14
	v_add_co_u32_e32 v7, vcc, s10, v7
	v_addc_co_u32_e32 v8, vcc, v3, v8, vcc
	global_store_dword v[7:8], v10, off
	v_ldexp_f32 v7, v12, v13
	v_cmp_ngt_f32_e32 vcc, s4, v11
	v_cndmask_b32_e32 v7, 0, v7, vcc
	v_cmp_nlt_f32_e32 vcc, s5, v11
	v_mov_b32_e32 v11, 0x417a15da
	v_fmac_f32_e32 v11, 0x3fdeb852, v5
	v_fmac_f32_e32 v11, 0xc5a454ea, v4
	v_mul_f32_e32 v12, 0x3fb8aa3b, v11
	v_fma_f32 v13, v11, s6, -v12
	v_rndne_f32_e32 v14, v12
	v_fmac_f32_e32 v13, 0x32a5705f, v11
	v_sub_f32_e32 v12, v12, v14
	v_add_u32_e32 v0, s7, v0
	v_add_f32_e32 v12, v12, v13
	v_cndmask_b32_e32 v10, v2, v7, vcc
	v_lshlrev_b64 v[7:8], 2, v[0:1]
	v_exp_f32_e32 v12, v12
	v_cvt_i32_f32_e32 v13, v14
	v_add_co_u32_e32 v7, vcc, s10, v7
	v_addc_co_u32_e32 v8, vcc, v3, v8, vcc
	global_store_dword v[7:8], v10, off
	v_ldexp_f32 v7, v12, v13
	v_cmp_ngt_f32_e32 vcc, s4, v11
	v_cndmask_b32_e32 v7, 0, v7, vcc
	v_cmp_nlt_f32_e32 vcc, s5, v11
	v_add_u32_e32 v0, s7, v0
	v_cndmask_b32_e32 v10, v2, v7, vcc
	v_lshlrev_b64 v[7:8], 2, v[0:1]
	v_add_u32_e32 v0, s7, v0
	v_add_co_u32_e32 v7, vcc, s10, v7
	v_addc_co_u32_e32 v8, vcc, v3, v8, vcc
	global_store_dword v[7:8], v10, off
	v_lshlrev_b64 v[7:8], 2, v[0:1]
	v_mov_b32_e32 v10, 0x5735e621
	v_add_co_u32_e32 v7, vcc, s10, v7
	v_addc_co_u32_e32 v8, vcc, v3, v8, vcc
	v_add_u32_e32 v0, s0, v0
	global_store_dword v[7:8], v10, off
	v_lshlrev_b64 v[7:8], 2, v[0:1]
	v_mov_b32_e32 v10, 0x541ad517
	v_add_co_u32_e32 v7, vcc, s10, v7
	v_addc_co_u32_e32 v8, vcc, v3, v8, vcc
	v_add_u32_e32 v0, s7, v0
	global_store_dword v[7:8], v10, off
	v_lshlrev_b64 v[7:8], 2, v[0:1]
	v_mov_b32_e32 v10, 0x54c015d5
	v_add_co_u32_e32 v7, vcc, s10, v7
	v_addc_co_u32_e32 v8, vcc, v3, v8, vcc
	global_store_dword v[7:8], v10, off
	v_mov_b32_e32 v10, 0x41f1c012
	v_fmac_f32_e32 v10, 0xc4cd1ad6, v4
	v_mul_f32_e32 v11, 0x3fb8aa3b, v10
	v_fma_f32 v12, v10, s6, -v11
	v_rndne_f32_e32 v13, v11
	v_fmac_f32_e32 v12, 0x32a5705f, v10
	v_sub_f32_e32 v11, v11, v13
	v_add_u32_e32 v0, s7, v0
	v_add_f32_e32 v11, v11, v12
	v_lshlrev_b64 v[7:8], 2, v[0:1]
	v_exp_f32_e32 v11, v11
	v_cvt_i32_f32_e32 v12, v13
	v_add_co_u32_e32 v7, vcc, s10, v7
	v_addc_co_u32_e32 v8, vcc, v3, v8, vcc
	global_store_dword v[7:8], v9, off
	v_ldexp_f32 v7, v11, v12
	v_cmp_ngt_f32_e32 vcc, s4, v10
	v_cndmask_b32_e32 v7, 0, v7, vcc
	v_cmp_nlt_f32_e32 vcc, s5, v10
	v_mov_b32_e32 v10, 0x424c81ec
	v_fmac_f32_e32 v10, 0xc018f5c3, v5
	v_fmac_f32_e32 v10, 0xc5afcfb3, v4
	v_mul_f32_e32 v11, 0x3fb8aa3b, v10
	v_fma_f32 v12, v10, s6, -v11
	v_rndne_f32_e32 v13, v11
	v_fmac_f32_e32 v12, 0x32a5705f, v10
	v_sub_f32_e32 v11, v11, v13
	v_add_u32_e32 v0, s7, v0
	v_add_f32_e32 v11, v11, v12
	v_cndmask_b32_e32 v9, v2, v7, vcc
	v_lshlrev_b64 v[7:8], 2, v[0:1]
	v_exp_f32_e32 v11, v11
	v_cvt_i32_f32_e32 v12, v13
	v_add_co_u32_e32 v7, vcc, s10, v7
	v_addc_co_u32_e32 v8, vcc, v3, v8, vcc
	global_store_dword v[7:8], v9, off
	v_ldexp_f32 v7, v11, v12
	v_cmp_ngt_f32_e32 vcc, s4, v10
	v_cndmask_b32_e32 v7, 0, v7, vcc
	v_cmp_nlt_f32_e32 vcc, s5, v10
	v_mov_b32_e32 v10, 0x4140b265
	v_fmac_f32_e32 v10, 0x40200000, v5
	v_fmac_f32_e32 v10, 0xc49ca04e, v4
	v_mul_f32_e32 v11, 0x3fb8aa3b, v10
	v_fma_f32 v12, v10, s6, -v11
	v_rndne_f32_e32 v13, v11
	v_fmac_f32_e32 v12, 0x32a5705f, v10
	v_sub_f32_e32 v11, v11, v13
	v_add_u32_e32 v0, s7, v0
	v_add_f32_e32 v11, v11, v12
	v_cndmask_b32_e32 v9, v2, v7, vcc
	;; [unrolled: 21-line block ×5, first 2 shown]
	v_lshlrev_b64 v[7:8], 2, v[0:1]
	v_exp_f32_e32 v11, v11
	v_cvt_i32_f32_e32 v12, v13
	v_add_co_u32_e32 v7, vcc, s10, v7
	v_addc_co_u32_e32 v8, vcc, v3, v8, vcc
	global_store_dword v[7:8], v9, off
	v_ldexp_f32 v7, v11, v12
	v_cmp_ngt_f32_e32 vcc, s4, v10
	v_cndmask_b32_e32 v7, 0, v7, vcc
	v_cmp_nlt_f32_e32 vcc, s5, v10
	v_mov_b32_e32 v10, 0x416f268e
	v_fmac_f32_e32 v10, 2.0, v5
	v_fmac_f32_e32 v10, 0x4315f565, v4
	v_mul_f32_e32 v11, 0x3fb8aa3b, v10
	v_fma_f32 v12, v10, s6, -v11
	v_rndne_f32_e32 v13, v11
	v_fmac_f32_e32 v12, 0x32a5705f, v10
	v_sub_f32_e32 v11, v11, v13
	v_add_u32_e32 v0, s7, v0
	v_add_f32_e32 v11, v11, v12
	v_cndmask_b32_e32 v9, v2, v7, vcc
	v_lshlrev_b64 v[7:8], 2, v[0:1]
	v_exp_f32_e32 v11, v11
	v_cvt_i32_f32_e32 v12, v13
	v_add_co_u32_e32 v7, vcc, s10, v7
	v_addc_co_u32_e32 v8, vcc, v3, v8, vcc
	global_store_dword v[7:8], v9, off
	v_ldexp_f32 v7, v11, v12
	v_cmp_ngt_f32_e32 vcc, s4, v10
	v_cndmask_b32_e32 v7, 0, v7, vcc
	v_cmp_nlt_f32_e32 vcc, s5, v10
	v_mov_b32_e32 v10, 0x4112b659
	v_fmac_f32_e32 v10, 0x40266666, v5
	v_fmac_f32_e32 v10, 0xc5dabdf3, v4
	v_mul_f32_e32 v11, 0x3fb8aa3b, v10
	v_fma_f32 v12, v10, s6, -v11
	v_rndne_f32_e32 v13, v11
	v_fmac_f32_e32 v12, 0x32a5705f, v10
	v_sub_f32_e32 v11, v11, v13
	v_add_u32_e32 v0, s7, v0
	v_add_f32_e32 v11, v11, v12
	v_cndmask_b32_e32 v9, v2, v7, vcc
	v_lshlrev_b64 v[7:8], 2, v[0:1]
	v_exp_f32_e32 v11, v11
	v_cvt_i32_f32_e32 v12, v13
	v_add_co_u32_e32 v7, vcc, s10, v7
	v_addc_co_u32_e32 v8, vcc, v3, v8, vcc
	global_store_dword v[7:8], v9, off
	v_ldexp_f32 v7, v11, v12
	v_cmp_ngt_f32_e32 vcc, s4, v10
	v_cndmask_b32_e32 v7, 0, v7, vcc
	v_cmp_nlt_f32_e32 vcc, s5, v10
	v_mov_b32_e32 v10, 0x3f49d857
	v_fmac_f32_e32 v10, 0x40600000, v5
	;; [unrolled: 21-line block ×3, first 2 shown]
	v_fmac_f32_e32 v10, 0xc5c4a5cc, v4
	v_mul_f32_e32 v11, 0x3fb8aa3b, v10
	v_fma_f32 v12, v10, s6, -v11
	v_rndne_f32_e32 v13, v11
	v_fmac_f32_e32 v12, 0x32a5705f, v10
	v_sub_f32_e32 v11, v11, v13
	v_add_u32_e32 v0, s7, v0
	v_add_f32_e32 v11, v11, v12
	v_cndmask_b32_e32 v9, v2, v7, vcc
	v_lshlrev_b64 v[7:8], 2, v[0:1]
	v_exp_f32_e32 v11, v11
	v_cvt_i32_f32_e32 v12, v13
	v_add_co_u32_e32 v7, vcc, s10, v7
	v_addc_co_u32_e32 v8, vcc, v3, v8, vcc
	global_store_dword v[7:8], v9, off
	v_ldexp_f32 v7, v11, v12
	v_cmp_ngt_f32_e32 vcc, s4, v10
	v_cndmask_b32_e32 v7, 0, v7, vcc
	v_cmp_nlt_f32_e32 vcc, s5, v10
	v_add_u32_e32 v0, s7, v0
	v_cndmask_b32_e32 v9, v2, v7, vcc
	v_lshlrev_b64 v[7:8], 2, v[0:1]
	v_add_u32_e32 v0, s7, v0
	v_add_co_u32_e32 v7, vcc, s10, v7
	v_addc_co_u32_e32 v8, vcc, v3, v8, vcc
	global_store_dword v[7:8], v9, off
	v_lshlrev_b64 v[7:8], 2, v[0:1]
	v_mov_b32_e32 v9, 0x53d18c2e
	v_add_co_u32_e32 v7, vcc, s10, v7
	v_addc_co_u32_e32 v8, vcc, v3, v8, vcc
	v_add_u32_e32 v0, s7, v0
	global_store_dword v[7:8], v9, off
	v_lshlrev_b64 v[7:8], 2, v[0:1]
	v_mov_b32_e32 v9, 0x56ae9f7c
	v_add_co_u32_e32 v7, vcc, s10, v7
	v_addc_co_u32_e32 v8, vcc, v3, v8, vcc
	v_add_u32_e32 v0, s7, v0
	global_store_dword v[7:8], v9, off
	v_lshlrev_b64 v[7:8], 2, v[0:1]
	v_add_u32_e32 v0, s7, v0
	v_add_co_u32_e32 v7, vcc, s10, v7
	v_addc_co_u32_e32 v8, vcc, v3, v8, vcc
	global_store_dword v[7:8], v6, off
	v_lshlrev_b64 v[7:8], 2, v[0:1]
	v_mov_b32_e32 v9, 0x51a7a358
	v_add_co_u32_e32 v7, vcc, s10, v7
	v_addc_co_u32_e32 v8, vcc, v3, v8, vcc
	v_add_u32_e32 v0, s7, v0
	global_store_dword v[7:8], v9, off
	v_lshlrev_b64 v[7:8], 2, v[0:1]
	v_add_u32_e32 v0, s7, v0
	v_add_co_u32_e32 v7, vcc, s10, v7
	v_addc_co_u32_e32 v8, vcc, v3, v8, vcc
	global_store_dword v[7:8], v6, off
	v_mov_b32_e32 v8, 0x42961660
	v_fmac_f32_e32 v8, 0xc0a70a3d, v5
	v_fmac_f32_e32 v8, 0xc61b4414, v4
	v_mul_f32_e32 v4, 0x3fb8aa3b, v8
	v_fma_f32 v5, v8, s6, -v4
	v_rndne_f32_e32 v9, v4
	v_fmac_f32_e32 v5, 0x32a5705f, v8
	v_sub_f32_e32 v4, v4, v9
	v_add_f32_e32 v4, v4, v5
	v_lshlrev_b64 v[6:7], 2, v[0:1]
	v_exp_f32_e32 v10, v4
	v_cvt_i32_f32_e32 v9, v9
	v_add_co_u32_e32 v4, vcc, s10, v6
	v_addc_co_u32_e32 v5, vcc, v3, v7, vcc
	v_mov_b32_e32 v6, 0x55201231
	v_add_u32_e32 v0, s7, v0
	global_store_dword v[4:5], v6, off
	v_ldexp_f32 v4, v10, v9
	v_cmp_ngt_f32_e32 vcc, s4, v8
	v_lshlrev_b64 v[0:1], 2, v[0:1]
	v_cndmask_b32_e32 v4, 0, v4, vcc
	v_cmp_nlt_f32_e32 vcc, s5, v8
	v_cndmask_b32_e32 v2, v2, v4, vcc
	v_add_co_u32_e32 v0, vcc, s10, v0
	v_addc_co_u32_e32 v1, vcc, v3, v1, vcc
	global_store_dword v[0:1], v2, off
	s_endpgm
	.section	.rodata,"a",@progbits
	.p2align	6, 0x0
	.amdhsa_kernel _Z11ratt_kernelIfEvPKT_PS0_S0_
		.amdhsa_group_segment_fixed_size 0
		.amdhsa_private_segment_fixed_size 0
		.amdhsa_kernarg_size 280
		.amdhsa_user_sgpr_count 6
		.amdhsa_user_sgpr_private_segment_buffer 1
		.amdhsa_user_sgpr_dispatch_ptr 0
		.amdhsa_user_sgpr_queue_ptr 0
		.amdhsa_user_sgpr_kernarg_segment_ptr 1
		.amdhsa_user_sgpr_dispatch_id 0
		.amdhsa_user_sgpr_flat_scratch_init 0
		.amdhsa_user_sgpr_private_segment_size 0
		.amdhsa_uses_dynamic_stack 0
		.amdhsa_system_sgpr_private_segment_wavefront_offset 0
		.amdhsa_system_sgpr_workgroup_id_x 1
		.amdhsa_system_sgpr_workgroup_id_y 0
		.amdhsa_system_sgpr_workgroup_id_z 0
		.amdhsa_system_sgpr_workgroup_info 0
		.amdhsa_system_vgpr_workitem_id 0
		.amdhsa_next_free_vgpr 22
		.amdhsa_next_free_sgpr 12
		.amdhsa_reserve_vcc 1
		.amdhsa_reserve_flat_scratch 0
		.amdhsa_float_round_mode_32 0
		.amdhsa_float_round_mode_16_64 0
		.amdhsa_float_denorm_mode_32 3
		.amdhsa_float_denorm_mode_16_64 3
		.amdhsa_dx10_clamp 1
		.amdhsa_ieee_mode 1
		.amdhsa_fp16_overflow 0
		.amdhsa_exception_fp_ieee_invalid_op 0
		.amdhsa_exception_fp_denorm_src 0
		.amdhsa_exception_fp_ieee_div_zero 0
		.amdhsa_exception_fp_ieee_overflow 0
		.amdhsa_exception_fp_ieee_underflow 0
		.amdhsa_exception_fp_ieee_inexact 0
		.amdhsa_exception_int_div_zero 0
	.end_amdhsa_kernel
	.section	.text._Z11ratt_kernelIfEvPKT_PS0_S0_,"axG",@progbits,_Z11ratt_kernelIfEvPKT_PS0_S0_,comdat
.Lfunc_end0:
	.size	_Z11ratt_kernelIfEvPKT_PS0_S0_, .Lfunc_end0-_Z11ratt_kernelIfEvPKT_PS0_S0_
                                        ; -- End function
	.set _Z11ratt_kernelIfEvPKT_PS0_S0_.num_vgpr, 22
	.set _Z11ratt_kernelIfEvPKT_PS0_S0_.num_agpr, 0
	.set _Z11ratt_kernelIfEvPKT_PS0_S0_.numbered_sgpr, 12
	.set _Z11ratt_kernelIfEvPKT_PS0_S0_.num_named_barrier, 0
	.set _Z11ratt_kernelIfEvPKT_PS0_S0_.private_seg_size, 0
	.set _Z11ratt_kernelIfEvPKT_PS0_S0_.uses_vcc, 1
	.set _Z11ratt_kernelIfEvPKT_PS0_S0_.uses_flat_scratch, 0
	.set _Z11ratt_kernelIfEvPKT_PS0_S0_.has_dyn_sized_stack, 0
	.set _Z11ratt_kernelIfEvPKT_PS0_S0_.has_recursion, 0
	.set _Z11ratt_kernelIfEvPKT_PS0_S0_.has_indirect_call, 0
	.section	.AMDGPU.csdata,"",@progbits
; Kernel info:
; codeLenInByte = 16388
; TotalNumSgprs: 16
; NumVgprs: 22
; ScratchSize: 0
; MemoryBound: 0
; FloatMode: 240
; IeeeMode: 1
; LDSByteSize: 0 bytes/workgroup (compile time only)
; SGPRBlocks: 1
; VGPRBlocks: 5
; NumSGPRsForWavesPerEU: 16
; NumVGPRsForWavesPerEU: 22
; Occupancy: 10
; WaveLimiterHint : 0
; COMPUTE_PGM_RSRC2:SCRATCH_EN: 0
; COMPUTE_PGM_RSRC2:USER_SGPR: 6
; COMPUTE_PGM_RSRC2:TRAP_HANDLER: 0
; COMPUTE_PGM_RSRC2:TGID_X_EN: 1
; COMPUTE_PGM_RSRC2:TGID_Y_EN: 0
; COMPUTE_PGM_RSRC2:TGID_Z_EN: 0
; COMPUTE_PGM_RSRC2:TIDIG_COMP_CNT: 0
	.section	.text._Z12rdsmh_kernelIfEvPKT_PS0_S0_,"axG",@progbits,_Z12rdsmh_kernelIfEvPKT_PS0_S0_,comdat
	.protected	_Z12rdsmh_kernelIfEvPKT_PS0_S0_ ; -- Begin function _Z12rdsmh_kernelIfEvPKT_PS0_S0_
	.globl	_Z12rdsmh_kernelIfEvPKT_PS0_S0_
	.p2align	8
	.type	_Z12rdsmh_kernelIfEvPKT_PS0_S0_,@function
_Z12rdsmh_kernelIfEvPKT_PS0_S0_:        ; @_Z12rdsmh_kernelIfEvPKT_PS0_S0_
; %bb.0:
	s_load_dword s7, s[4:5], 0x24
	s_load_dwordx4 s[0:3], s[4:5], 0x0
	s_load_dword s8, s[4:5], 0x10
	s_load_dword s9, s[4:5], 0x18
	v_mov_b32_e32 v1, 0
	s_waitcnt lgkmcnt(0)
	s_and_b32 s4, s7, 0xffff
	s_mul_i32 s6, s6, s4
	v_add_u32_e32 v0, s6, v0
	v_lshlrev_b64 v[3:4], 2, v[0:1]
	v_mov_b32_e32 v2, s1
	v_add_co_u32_e32 v5, vcc, s0, v3
	v_addc_co_u32_e32 v6, vcc, v2, v4, vcc
	global_load_dword v2, v[5:6], off
	v_mov_b32_e32 v7, 0x41b17218
	s_mov_b32 s5, 0x3f317217
	s_mov_b32 s6, 0x7f800000
	v_mov_b32_e32 v8, s3
	s_mov_b32 s7, 0x447a0000
	s_mul_i32 s4, s9, s4
	s_waitcnt vmcnt(0)
	v_mul_f32_e32 v5, s8, v2
	v_div_scale_f32 v2, s[0:1], v5, v5, 1.0
	v_div_scale_f32 v6, vcc, 1.0, v5, 1.0
	s_mov_b32 s0, 0x800000
	v_cmp_gt_f32_e64 s[0:1], s0, v5
	v_cndmask_b32_e64 v10, 0, 32, s[0:1]
	v_ldexp_f32 v10, v5, v10
	v_log_f32_e32 v10, v10
	v_rcp_f32_e32 v9, v2
	v_fma_f32 v11, -v2, v9, 1.0
	v_fmac_f32_e32 v9, v11, v9
	v_mul_f32_e32 v11, v6, v9
	v_fma_f32 v12, -v2, v11, v6
	v_fmac_f32_e32 v11, v12, v9
	v_fma_f32 v2, -v2, v11, v6
	v_div_fmas_f32 v2, v2, v9, v11
	v_cndmask_b32_e64 v6, 0, v7, s[0:1]
	v_mul_f32_e32 v7, 0x3f317217, v10
	v_fma_f32 v7, v10, s5, -v7
	v_fmac_f32_e32 v7, 0x3377d1cf, v10
	v_fmac_f32_e32 v7, 0x3f317217, v10
	v_cmp_lt_f32_e64 s[0:1], |v10|, s6
	v_cndmask_b32_e64 v7, v10, v7, s[0:1]
	v_add_co_u32_e32 v3, vcc, s2, v3
	v_sub_f32_e32 v6, v7, v6
	v_addc_co_u32_e32 v4, vcc, v8, v4, vcc
	v_add_f32_e32 v6, -1.0, v6
	v_cmp_nlt_f32_e32 vcc, s7, v5
	v_mul_f32_e32 v9, 0x40200000, v6
	v_div_fixup_f32 v7, v2, v5, 1.0
	v_mul_f32_e32 v10, 0x46c70352, v7
	v_add_u32_e32 v2, s4, v0
                                        ; implicit-def: $vgpr8
                                        ; implicit-def: $vgpr11
	s_and_saveexec_b64 s[0:1], vcc
	s_xor_b64 s[0:1], exec, s[0:1]
	s_cbranch_execz .LBB1_2
; %bb.1:
	v_mov_b32_e32 v8, 0x30e6dd90
	v_mov_b32_e32 v11, 0x3f2ed9c2
	v_fmac_f32_e32 v8, 0xaacf9e87, v5
	v_mov_b32_e32 v12, 0xb659dc04
	v_fmac_f32_e32 v11, 0x44657bda, v7
	v_fmac_f32_e32 v12, v5, v8
	v_mov_b32_e32 v8, 0x3b82c0bb
	v_fmac_f32_e32 v11, 0x40160985, v6
	v_fmac_f32_e32 v8, v5, v12
	;; [unrolled: 1-line block ×3, first 2 shown]
	s_mov_b32 s6, 0x3fb8aa3b
	v_mul_f32_e32 v8, 0x3fb8aa3b, v11
	v_fma_f32 v12, v11, s6, -v8
	v_rndne_f32_e32 v13, v8
	v_sub_f32_e32 v10, 0xbee4b39d, v10
	v_fmac_f32_e32 v12, 0x32a5705f, v11
	v_sub_f32_e32 v8, v8, v13
	v_add_f32_e32 v9, v10, v9
	v_mov_b32_e32 v10, 0x20625c41
	v_add_f32_e32 v8, v8, v12
	v_cvt_i32_f32_e32 v12, v13
	v_fmac_f32_e32 v10, 0x9a604fda, v5
	v_mov_b32_e32 v13, 0xa5bfc2f5
	v_fmac_f32_e32 v13, v5, v10
	v_mov_b32_e32 v10, 0x2ac68896
	v_fmac_f32_e32 v10, v5, v13
	v_fmac_f32_e32 v9, v5, v10
	v_mul_f32_e32 v10, 0x3fb8aa3b, v9
	v_exp_f32_e32 v8, v8
	v_fma_f32 v13, v9, s6, -v10
	v_rndne_f32_e32 v14, v10
	v_fmac_f32_e32 v13, 0x32a5705f, v9
	v_sub_f32_e32 v10, v10, v14
	v_add_f32_e32 v10, v10, v13
	s_mov_b32 s5, 0xc2ce8ed0
	v_exp_f32_e32 v10, v10
	v_cvt_i32_f32_e32 v13, v14
	v_ldexp_f32 v8, v8, v12
	v_cmp_ngt_f32_e32 vcc, s5, v11
	s_mov_b32 s7, 0x42b17218
	v_cndmask_b32_e32 v12, 0, v8, vcc
	v_mov_b32_e32 v8, 0x7f800000
	v_cmp_nlt_f32_e32 vcc, s7, v11
	v_cndmask_b32_e32 v11, v8, v12, vcc
	v_mov_b32_e32 v12, 0xb00c5f5c
	global_store_dword v[3:4], v11, off
	v_ldexp_f32 v3, v10, v13
	v_mov_b32_e32 v11, 0x400352e1
	v_fmac_f32_e32 v12, 0x29eddd45, v5
	v_mov_b32_e32 v13, 0x35949a53
	v_fmac_f32_e32 v11, 0xc6e38485, v7
	v_fmac_f32_e32 v13, v5, v12
	v_mov_b32_e32 v12, 0xbad6e9d7
	v_fmac_f32_e32 v11, 0x404ac4e3, v6
	v_fmac_f32_e32 v12, v5, v13
	;; [unrolled: 1-line block ×3, first 2 shown]
	v_mul_f32_e32 v12, 0x3fb8aa3b, v11
	v_cmp_ngt_f32_e32 vcc, s5, v9
	v_fma_f32 v13, v11, s6, -v12
	v_rndne_f32_e32 v14, v12
	v_cndmask_b32_e32 v3, 0, v3, vcc
	v_cmp_nlt_f32_e32 vcc, s7, v9
	v_fmac_f32_e32 v13, 0x32a5705f, v11
	v_sub_f32_e32 v12, v12, v14
	v_cndmask_b32_e32 v9, v8, v3, vcc
	v_mov_b32_e32 v3, v1
	v_add_f32_e32 v12, v12, v13
	v_lshlrev_b64 v[3:4], 2, v[2:3]
	v_exp_f32_e32 v12, v12
	v_cvt_i32_f32_e32 v13, v14
	v_mov_b32_e32 v10, s3
	v_add_co_u32_e32 v3, vcc, s2, v3
	v_addc_co_u32_e32 v4, vcc, v10, v4, vcc
	global_store_dword v[3:4], v9, off
	v_ldexp_f32 v3, v12, v13
	v_cmp_ngt_f32_e32 vcc, s5, v11
	v_mov_b32_e32 v12, 0xb05dc3b7
	v_cndmask_b32_e32 v3, 0, v3, vcc
	v_cmp_nlt_f32_e32 vcc, s7, v11
	v_mov_b32_e32 v11, 0x406a175c
	v_fmac_f32_e32 v12, 0x2a369b0d, v5
	v_mov_b32_e32 v13, 0x35dc47c9
	v_fmac_f32_e32 v11, 0x4484fe32, v7
	v_fmac_f32_e32 v13, v5, v12
	v_mov_b32_e32 v12, 0xbac464db
	v_fmac_f32_e32 v11, 0x407213c4, v6
	v_fmac_f32_e32 v12, v5, v13
	v_fmac_f32_e32 v11, v5, v12
	v_mul_f32_e32 v12, 0x3fb8aa3b, v11
	v_fma_f32 v13, v11, s6, -v12
	v_rndne_f32_e32 v14, v12
	v_fmac_f32_e32 v13, 0x32a5705f, v11
	v_sub_f32_e32 v12, v12, v14
	v_cndmask_b32_e32 v9, v8, v3, vcc
	v_add_u32_e32 v2, s4, v2
	v_mov_b32_e32 v3, v1
	v_add_f32_e32 v12, v12, v13
	v_lshlrev_b64 v[3:4], 2, v[2:3]
	v_exp_f32_e32 v12, v12
	v_cvt_i32_f32_e32 v13, v14
	v_add_co_u32_e32 v3, vcc, s2, v3
	v_addc_co_u32_e32 v4, vcc, v10, v4, vcc
	global_store_dword v[3:4], v9, off
	v_ldexp_f32 v3, v12, v13
	v_cmp_ngt_f32_e32 vcc, s5, v11
	v_mov_b32_e32 v12, 0xafb1ce6a
	v_cndmask_b32_e32 v3, 0, v3, vcc
	v_cmp_nlt_f32_e32 vcc, s7, v11
	v_mov_b32_e32 v11, 0xbdd4d6df
	v_fmac_f32_e32 v12, 0x299995ee, v5
	v_mov_b32_e32 v13, 0x354e9a63
	v_fmac_f32_e32 v11, 0xc561f14a, v7
	v_fmac_f32_e32 v13, v5, v12
	v_mov_b32_e32 v12, 0xba9d5f6c
	v_fmac_f32_e32 v11, 0x407f7d2e, v6
	v_fmac_f32_e32 v12, v5, v13
	v_fmac_f32_e32 v11, v5, v12
	v_mul_f32_e32 v12, 0x3fb8aa3b, v11
	v_fma_f32 v13, v11, s6, -v12
	v_rndne_f32_e32 v14, v12
	v_fmac_f32_e32 v13, 0x32a5705f, v11
	v_sub_f32_e32 v12, v12, v14
	v_cndmask_b32_e32 v9, v8, v3, vcc
	v_add_u32_e32 v2, s4, v2
	v_mov_b32_e32 v3, v1
	v_add_f32_e32 v12, v12, v13
	v_lshlrev_b64 v[3:4], 2, v[2:3]
	v_exp_f32_e32 v12, v12
	v_cvt_i32_f32_e32 v13, v14
	;; [unrolled: 29-line block ×27, first 2 shown]
	v_add_co_u32_e32 v3, vcc, s2, v3
	v_addc_co_u32_e32 v4, vcc, v10, v4, vcc
	global_store_dword v[3:4], v9, off
	v_ldexp_f32 v3, v12, v13
	v_cmp_ngt_f32_e32 vcc, s5, v11
	v_cndmask_b32_e32 v3, 0, v3, vcc
	v_cmp_nlt_f32_e32 vcc, s7, v11
	v_cndmask_b32_e32 v4, v8, v3, vcc
	v_add_u32_e32 v2, s4, v2
	v_mov_b32_e32 v3, v1
	v_lshlrev_b64 v[1:2], 2, v[2:3]
	v_mov_b32_e32 v3, s3
	v_add_co_u32_e32 v1, vcc, s2, v1
	v_mov_b32_e32 v8, 0x41a91699
	v_addc_co_u32_e32 v2, vcc, v3, v2, vcc
	v_fmac_f32_e32 v8, 0xc6212162, v7
	v_mov_b32_e32 v11, 0xb0e06d89
	global_store_dword v[1:2], v4, off
	v_fmac_f32_e32 v8, 0x3f86497a, v6
	v_fmac_f32_e32 v11, 0x2b03e643, v5
                                        ; implicit-def: $vgpr7
                                        ; implicit-def: $vgpr6
                                        ; implicit-def: $vgpr3_vgpr4
                                        ; implicit-def: $vgpr10
                                        ; implicit-def: $vgpr9
                                        ; implicit-def: $vgpr2
.LBB1_2:
	s_or_saveexec_b64 s[0:1], s[0:1]
	v_mov_b32_e32 v12, 0x3c5510c5
	v_mov_b32_e32 v13, 0x34d2a7a5
	v_mov_b32_e32 v1, s4
	s_xor_b64 exec, exec, s[0:1]
	s_cbranch_execz .LBB1_4
; %bb.3:
	v_mov_b32_e32 v1, 0xad839fa2
	v_mov_b32_e32 v8, 0xc04d1f1a
	v_fmac_f32_e32 v1, 0x26904c99, v5
	v_mov_b32_e32 v11, 0x33b2c336
	v_fmac_f32_e32 v8, 0x446d8a2c, v7
	v_fmac_f32_e32 v11, v5, v1
	v_mov_b32_e32 v1, 0xb7cf3580
	v_fmac_f32_e32 v8, 0x405595fb, v6
	v_fmac_f32_e32 v1, v5, v11
	;; [unrolled: 1-line block ×3, first 2 shown]
	s_mov_b32 s6, 0x3fb8aa3b
	v_mul_f32_e32 v1, 0x3fb8aa3b, v8
	v_fma_f32 v11, v8, s6, -v1
	v_rndne_f32_e32 v12, v1
	v_sub_f32_e32 v10, 0xbee4b39f, v10
	v_fmac_f32_e32 v11, 0x32a5705f, v8
	v_sub_f32_e32 v1, v1, v12
	v_add_f32_e32 v9, v10, v9
	v_mov_b32_e32 v10, 0xa0e8edaa
	v_add_f32_e32 v1, v1, v11
	v_cvt_i32_f32_e32 v11, v12
	v_fmac_f32_e32 v10, 0x19f0e9d8, v5
	v_mov_b32_e32 v12, 0x27420788
	v_fmac_f32_e32 v12, v5, v10
	v_mov_b32_e32 v10, 0xad4b0d37
	v_fmac_f32_e32 v10, v5, v12
	v_fmac_f32_e32 v9, v5, v10
	v_mul_f32_e32 v10, 0x3fb8aa3b, v9
	v_exp_f32_e32 v1, v1
	v_fma_f32 v12, v9, s6, -v10
	v_rndne_f32_e32 v13, v10
	v_fmac_f32_e32 v12, 0x32a5705f, v9
	v_sub_f32_e32 v10, v10, v13
	v_add_f32_e32 v10, v10, v12
	s_mov_b32 s5, 0xc2ce8ed0
	v_exp_f32_e32 v10, v10
	v_cvt_i32_f32_e32 v12, v13
	v_ldexp_f32 v1, v1, v11
	v_cmp_ngt_f32_e32 vcc, s5, v8
	s_mov_b32 s7, 0x42b17218
	v_cndmask_b32_e32 v11, 0, v1, vcc
	v_mov_b32_e32 v1, 0x7f800000
	v_cmp_nlt_f32_e32 vcc, s7, v8
	v_cndmask_b32_e32 v8, v1, v11, vcc
	global_store_dword v[3:4], v8, off
	v_ldexp_f32 v3, v10, v12
	v_mov_b32_e32 v12, 0xab6afac3
	v_mov_b32_e32 v11, 0x4099194d
	v_fmac_f32_e32 v12, 0x248d9e1b, v5
	v_mov_b32_e32 v13, 0x31f03917
	v_fmac_f32_e32 v11, 0xc6e44328, v7
	v_fmac_f32_e32 v13, v5, v12
	v_mov_b32_e32 v12, 0xb8344d00
	v_fmac_f32_e32 v11, 0x40247164, v6
	v_fmac_f32_e32 v12, v5, v13
	v_fmac_f32_e32 v11, v5, v12
	v_mul_f32_e32 v12, 0x3fb8aa3b, v11
	v_cmp_ngt_f32_e32 vcc, s5, v9
	v_fma_f32 v13, v11, s6, -v12
	v_rndne_f32_e32 v14, v12
	v_cndmask_b32_e32 v3, 0, v3, vcc
	v_cmp_nlt_f32_e32 vcc, s7, v9
	v_fmac_f32_e32 v13, 0x32a5705f, v11
	v_sub_f32_e32 v12, v12, v14
	v_cndmask_b32_e32 v4, v1, v3, vcc
	v_mov_b32_e32 v3, 0
	v_add_f32_e32 v12, v12, v13
	v_lshlrev_b64 v[8:9], 2, v[2:3]
	v_exp_f32_e32 v12, v12
	v_cvt_i32_f32_e32 v13, v14
	v_mov_b32_e32 v10, s3
	v_add_co_u32_e32 v8, vcc, s2, v8
	v_addc_co_u32_e32 v9, vcc, v10, v9, vcc
	global_store_dword v[8:9], v4, off
	v_ldexp_f32 v4, v12, v13
	v_cmp_ngt_f32_e32 vcc, s5, v11
	v_mov_b32_e32 v12, 0x2d998b25
	v_cndmask_b32_e32 v4, 0, v4, vcc
	v_cmp_nlt_f32_e32 vcc, s7, v11
	v_mov_b32_e32 v11, 0x40ae80df
	v_fmac_f32_e32 v12, 0xa69c2960, v5
	v_mov_b32_e32 v13, 0xb407a4b7
	v_fmac_f32_e32 v11, 0x44880ea6, v7
	v_fmac_f32_e32 v13, v5, v12
	v_mov_b32_e32 v12, 0x3a426429
	v_fmac_f32_e32 v11, 0x4052151a, v6
	v_fmac_f32_e32 v12, v5, v13
	v_fmac_f32_e32 v11, v5, v12
	v_mul_f32_e32 v12, 0x3fb8aa3b, v11
	v_fma_f32 v13, v11, s6, -v12
	v_rndne_f32_e32 v14, v12
	v_fmac_f32_e32 v13, 0x32a5705f, v11
	v_sub_f32_e32 v12, v12, v14
	v_add_u32_e32 v2, s4, v2
	v_add_f32_e32 v12, v12, v13
	v_lshlrev_b64 v[8:9], 2, v[2:3]
	v_exp_f32_e32 v12, v12
	v_cvt_i32_f32_e32 v13, v14
	v_cndmask_b32_e32 v4, v1, v4, vcc
	v_add_co_u32_e32 v8, vcc, s2, v8
	v_addc_co_u32_e32 v9, vcc, v10, v9, vcc
	global_store_dword v[8:9], v4, off
	v_ldexp_f32 v4, v12, v13
	v_cmp_ngt_f32_e32 vcc, s5, v11
	v_mov_b32_e32 v12, 0xad00ee31
	v_cndmask_b32_e32 v4, 0, v4, vcc
	v_cmp_nlt_f32_e32 vcc, s7, v11
	v_mov_b32_e32 v11, 0x408f4118
	v_fmac_f32_e32 v12, 0x26293585, v5
	v_mov_b32_e32 v13, 0x32b51ca8
	v_fmac_f32_e32 v11, 0xc5712a83, v7
	v_fmac_f32_e32 v13, v5, v12
	v_mov_b32_e32 v12, 0x398fc47f
	v_fmac_f32_e32 v11, 0x4045f1df, v6
	v_fmac_f32_e32 v12, v5, v13
	v_fmac_f32_e32 v11, v5, v12
	v_mul_f32_e32 v12, 0x3fb8aa3b, v11
	v_fma_f32 v13, v11, s6, -v12
	v_rndne_f32_e32 v14, v12
	v_fmac_f32_e32 v13, 0x32a5705f, v11
	v_sub_f32_e32 v12, v12, v14
	v_add_u32_e32 v2, s4, v2
	v_add_f32_e32 v12, v12, v13
	v_lshlrev_b64 v[8:9], 2, v[2:3]
	v_exp_f32_e32 v12, v12
	v_cvt_i32_f32_e32 v13, v14
	v_cndmask_b32_e32 v4, v1, v4, vcc
	;; [unrolled: 28-line block ×27, first 2 shown]
	v_add_co_u32_e32 v8, vcc, s2, v8
	v_addc_co_u32_e32 v9, vcc, v10, v9, vcc
	global_store_dword v[8:9], v4, off
	v_ldexp_f32 v4, v12, v13
	v_cmp_ngt_f32_e32 vcc, s5, v11
	v_cndmask_b32_e32 v4, 0, v4, vcc
	v_cmp_nlt_f32_e32 vcc, s7, v11
	v_add_u32_e32 v2, s4, v2
	v_cndmask_b32_e32 v4, v1, v4, vcc
	v_lshlrev_b64 v[1:2], 2, v[2:3]
	v_mov_b32_e32 v3, s3
	v_add_co_u32_e32 v1, vcc, s2, v1
	v_mov_b32_e32 v8, 0xc1783ea8
	v_addc_co_u32_e32 v2, vcc, v3, v2, vcc
	v_fmac_f32_e32 v8, 0xc5f941ca, v7
	v_mov_b32_e32 v11, 0x2e8b111f
	global_store_dword v[1:2], v4, off
	v_fmac_f32_e32 v8, 0x40f6b641, v6
	v_fmac_f32_e32 v11, 0xa70c0488, v5
	v_mov_b32_e32 v12, 0x3c035476
	v_mov_b32_e32 v13, 0xb56bddc9
	;; [unrolled: 1-line block ×3, first 2 shown]
.LBB1_4:
	s_or_b64 exec, exec, s[0:1]
	v_fmac_f32_e32 v13, v5, v11
	v_fmac_f32_e32 v12, v5, v13
	;; [unrolled: 1-line block ×3, first 2 shown]
	s_mov_b32 s0, 0x3fb8aa3b
	v_mul_f32_e32 v2, 0x3fb8aa3b, v8
	v_fma_f32 v3, v8, s0, -v2
	v_rndne_f32_e32 v4, v2
	v_fmac_f32_e32 v3, 0x32a5705f, v8
	v_sub_f32_e32 v2, v2, v4
	v_add_f32_e32 v2, v2, v3
	s_mov_b32 s0, 0xc2ce8ed0
	v_exp_f32_e32 v2, v2
	v_cvt_i32_f32_e32 v3, v4
	v_cmp_ngt_f32_e32 vcc, s0, v8
	v_mad_u64_u32 v[0:1], s[0:1], v1, 30, v[0:1]
	v_mov_b32_e32 v1, 0
	v_ldexp_f32 v2, v2, v3
	s_mov_b32 s4, 0x42b17218
	v_lshlrev_b64 v[0:1], 2, v[0:1]
	v_cndmask_b32_e32 v2, 0, v2, vcc
	v_mov_b32_e32 v3, 0x7f800000
	v_cmp_nlt_f32_e32 vcc, s4, v8
	v_cndmask_b32_e32 v2, v3, v2, vcc
	v_mov_b32_e32 v3, s3
	v_add_co_u32_e32 v0, vcc, s2, v0
	v_addc_co_u32_e32 v1, vcc, v3, v1, vcc
	global_store_dword v[0:1], v2, off
	s_endpgm
	.section	.rodata,"a",@progbits
	.p2align	6, 0x0
	.amdhsa_kernel _Z12rdsmh_kernelIfEvPKT_PS0_S0_
		.amdhsa_group_segment_fixed_size 0
		.amdhsa_private_segment_fixed_size 0
		.amdhsa_kernarg_size 280
		.amdhsa_user_sgpr_count 6
		.amdhsa_user_sgpr_private_segment_buffer 1
		.amdhsa_user_sgpr_dispatch_ptr 0
		.amdhsa_user_sgpr_queue_ptr 0
		.amdhsa_user_sgpr_kernarg_segment_ptr 1
		.amdhsa_user_sgpr_dispatch_id 0
		.amdhsa_user_sgpr_flat_scratch_init 0
		.amdhsa_user_sgpr_private_segment_size 0
		.amdhsa_uses_dynamic_stack 0
		.amdhsa_system_sgpr_private_segment_wavefront_offset 0
		.amdhsa_system_sgpr_workgroup_id_x 1
		.amdhsa_system_sgpr_workgroup_id_y 0
		.amdhsa_system_sgpr_workgroup_id_z 0
		.amdhsa_system_sgpr_workgroup_info 0
		.amdhsa_system_vgpr_workitem_id 0
		.amdhsa_next_free_vgpr 15
		.amdhsa_next_free_sgpr 10
		.amdhsa_reserve_vcc 1
		.amdhsa_reserve_flat_scratch 0
		.amdhsa_float_round_mode_32 0
		.amdhsa_float_round_mode_16_64 0
		.amdhsa_float_denorm_mode_32 3
		.amdhsa_float_denorm_mode_16_64 3
		.amdhsa_dx10_clamp 1
		.amdhsa_ieee_mode 1
		.amdhsa_fp16_overflow 0
		.amdhsa_exception_fp_ieee_invalid_op 0
		.amdhsa_exception_fp_denorm_src 0
		.amdhsa_exception_fp_ieee_div_zero 0
		.amdhsa_exception_fp_ieee_overflow 0
		.amdhsa_exception_fp_ieee_underflow 0
		.amdhsa_exception_fp_ieee_inexact 0
		.amdhsa_exception_int_div_zero 0
	.end_amdhsa_kernel
	.section	.text._Z12rdsmh_kernelIfEvPKT_PS0_S0_,"axG",@progbits,_Z12rdsmh_kernelIfEvPKT_PS0_S0_,comdat
.Lfunc_end1:
	.size	_Z12rdsmh_kernelIfEvPKT_PS0_S0_, .Lfunc_end1-_Z12rdsmh_kernelIfEvPKT_PS0_S0_
                                        ; -- End function
	.set _Z12rdsmh_kernelIfEvPKT_PS0_S0_.num_vgpr, 15
	.set _Z12rdsmh_kernelIfEvPKT_PS0_S0_.num_agpr, 0
	.set _Z12rdsmh_kernelIfEvPKT_PS0_S0_.numbered_sgpr, 10
	.set _Z12rdsmh_kernelIfEvPKT_PS0_S0_.num_named_barrier, 0
	.set _Z12rdsmh_kernelIfEvPKT_PS0_S0_.private_seg_size, 0
	.set _Z12rdsmh_kernelIfEvPKT_PS0_S0_.uses_vcc, 1
	.set _Z12rdsmh_kernelIfEvPKT_PS0_S0_.uses_flat_scratch, 0
	.set _Z12rdsmh_kernelIfEvPKT_PS0_S0_.has_dyn_sized_stack, 0
	.set _Z12rdsmh_kernelIfEvPKT_PS0_S0_.has_recursion, 0
	.set _Z12rdsmh_kernelIfEvPKT_PS0_S0_.has_indirect_call, 0
	.section	.AMDGPU.csdata,"",@progbits
; Kernel info:
; codeLenInByte = 10608
; TotalNumSgprs: 14
; NumVgprs: 15
; ScratchSize: 0
; MemoryBound: 0
; FloatMode: 240
; IeeeMode: 1
; LDSByteSize: 0 bytes/workgroup (compile time only)
; SGPRBlocks: 1
; VGPRBlocks: 3
; NumSGPRsForWavesPerEU: 14
; NumVGPRsForWavesPerEU: 15
; Occupancy: 10
; WaveLimiterHint : 0
; COMPUTE_PGM_RSRC2:SCRATCH_EN: 0
; COMPUTE_PGM_RSRC2:USER_SGPR: 6
; COMPUTE_PGM_RSRC2:TRAP_HANDLER: 0
; COMPUTE_PGM_RSRC2:TGID_X_EN: 1
; COMPUTE_PGM_RSRC2:TGID_Y_EN: 0
; COMPUTE_PGM_RSRC2:TGID_Z_EN: 0
; COMPUTE_PGM_RSRC2:TIDIG_COMP_CNT: 0
	.section	.text._Z7gr_baseIfEvPKT_S2_S2_PS0_S0_S0_,"axG",@progbits,_Z7gr_baseIfEvPKT_S2_S2_PS0_S0_S0_,comdat
	.protected	_Z7gr_baseIfEvPKT_S2_S2_PS0_S0_S0_ ; -- Begin function _Z7gr_baseIfEvPKT_S2_S2_PS0_S0_S0_
	.globl	_Z7gr_baseIfEvPKT_S2_S2_PS0_S0_S0_
	.p2align	8
	.type	_Z7gr_baseIfEvPKT_S2_S2_PS0_S0_S0_,@function
_Z7gr_baseIfEvPKT_S2_S2_PS0_S0_S0_:     ; @_Z7gr_baseIfEvPKT_S2_S2_PS0_S0_S0_
; %bb.0:
	s_load_dwordx8 s[8:15], s[4:5], 0x0
	s_load_dwordx2 s[0:1], s[4:5], 0x20
	s_load_dword s2, s[4:5], 0x28
	s_load_dword s3, s[4:5], 0x34
	v_mov_b32_e32 v1, 0
	s_waitcnt lgkmcnt(0)
	v_mov_b32_e32 v5, s11
	v_mov_b32_e32 v6, s15
	;; [unrolled: 1-line block ×3, first 2 shown]
	s_and_b32 s3, s3, 0xffff
	s_mul_i32 s6, s6, s3
	v_add_u32_e32 v0, s6, v0
	v_lshlrev_b64 v[2:3], 2, v[0:1]
	v_mov_b32_e32 v8, s15
	v_add_co_u32_e32 v4, vcc, s10, v2
	v_addc_co_u32_e32 v5, vcc, v5, v3, vcc
	global_load_dword v4, v[4:5], off
	v_mov_b32_e32 v5, s9
	v_mov_b32_e32 v9, s13
	;; [unrolled: 1-line block ×21, first 2 shown]
	s_waitcnt vmcnt(0)
	v_mul_f32_e32 v39, s0, v4
	v_add_co_u32_e32 v4, vcc, s8, v2
	v_addc_co_u32_e32 v5, vcc, v5, v3, vcc
	global_load_dword v4, v[4:5], off
	v_mov_b32_e32 v5, s13
	s_mov_b32 s0, 0x3efdf9cf
	s_waitcnt vmcnt(0)
	v_mul_f32_e32 v38, s1, v4
	v_add_co_u32_e32 v4, vcc, s12, v2
	v_addc_co_u32_e32 v5, vcc, v5, v3, vcc
	global_load_dword v4, v[4:5], off
	v_add_co_u32_e32 v10, vcc, s14, v2
	v_mov_b32_e32 v2, s15
	v_addc_co_u32_e32 v11, vcc, v2, v3, vcc
	s_waitcnt vmcnt(0)
	v_fma_f32 v40, v4, s0, 0
	s_mul_i32 s0, s2, s3
	v_add_u32_e32 v0, s0, v0
	v_lshlrev_b64 v[2:3], 2, v[0:1]
	v_mul_f32_e32 v5, 0x3efdf9cf, v4
	global_store_dword v[10:11], v5, off
	v_add_co_u32_e32 v4, vcc, s12, v2
	v_mov_b32_e32 v5, s13
	v_addc_co_u32_e32 v5, vcc, v5, v3, vcc
	global_load_dword v4, v[4:5], off
	v_add_co_u32_e32 v16, vcc, s14, v2
	v_mov_b32_e32 v2, s15
	v_add_u32_e32 v0, s0, v0
	v_addc_co_u32_e32 v17, vcc, v2, v3, vcc
	v_lshlrev_b64 v[2:3], 2, v[0:1]
	v_add_u32_e32 v0, s0, v0
	s_mul_i32 s1, s0, 0xffffffed
	s_waitcnt vmcnt(0)
	v_mul_f32_e32 v5, 0x3f7df9cf, v4
	global_store_dword v[16:17], v5, off
	v_fmac_f32_e32 v40, 0x3f7df9cf, v4
	v_add_co_u32_e32 v4, vcc, s12, v2
	v_mov_b32_e32 v5, s13
	v_addc_co_u32_e32 v5, vcc, v5, v3, vcc
	global_load_dword v4, v[4:5], off
	v_add_co_u32_e32 v2, vcc, s14, v2
	v_addc_co_u32_e32 v3, vcc, v6, v3, vcc
	s_waitcnt vmcnt(0)
	v_mul_f32_e32 v5, 0x3d80013b, v4
	global_store_dword v[2:3], v5, off
	v_lshlrev_b64 v[2:3], 2, v[0:1]
	v_fmac_f32_e32 v40, 0x3d80013b, v4
	v_add_co_u32_e32 v4, vcc, s12, v2
	v_mov_b32_e32 v5, s13
	v_addc_co_u32_e32 v5, vcc, v5, v3, vcc
	global_load_dword v4, v[4:5], off
	v_add_co_u32_e32 v12, vcc, s14, v2
	v_mov_b32_e32 v2, s15
	v_add_u32_e32 v0, s0, v0
	v_addc_co_u32_e32 v13, vcc, v2, v3, vcc
	v_lshlrev_b64 v[2:3], 2, v[0:1]
	v_add_u32_e32 v0, s0, v0
	s_waitcnt vmcnt(0)
	v_mul_f32_e32 v5, 0x3d00013a, v4
	global_store_dword v[12:13], v5, off
	v_fmac_f32_e32 v40, 0x3d00013a, v4
	v_add_co_u32_e32 v4, vcc, s12, v2
	v_mov_b32_e32 v5, s13
	v_addc_co_u32_e32 v5, vcc, v5, v3, vcc
	global_load_dword v4, v[4:5], off
	v_add_co_u32_e32 v2, vcc, s14, v2
	v_addc_co_u32_e32 v3, vcc, v6, v3, vcc
	s_waitcnt vmcnt(0)
	v_mul_f32_e32 v5, 0x3d70d636, v4
	global_store_dword v[2:3], v5, off
	v_lshlrev_b64 v[2:3], 2, v[0:1]
	v_fmac_f32_e32 v40, 0x3d70d636, v4
	v_add_co_u32_e32 v4, vcc, s12, v2
	v_mov_b32_e32 v5, s13
	v_addc_co_u32_e32 v5, vcc, v5, v3, vcc
	global_load_dword v4, v[4:5], off
	v_add_co_u32_e32 v18, vcc, s14, v2
	v_mov_b32_e32 v2, s15
	v_add_u32_e32 v0, s0, v0
	v_addc_co_u32_e32 v19, vcc, v2, v3, vcc
	v_lshlrev_b64 v[2:3], 2, v[0:1]
	v_add_u32_e32 v0, s0, v0
	s_waitcnt vmcnt(0)
	v_mul_f32_e32 v5, 0x3d635c9e, v4
	global_store_dword v[18:19], v5, off
	v_fmac_f32_e32 v40, 0x3d635c9e, v4
	v_add_co_u32_e32 v4, vcc, s12, v2
	v_mov_b32_e32 v5, s13
	v_addc_co_u32_e32 v5, vcc, v5, v3, vcc
	global_load_dword v4, v[4:5], off
	v_add_co_u32_e32 v22, vcc, s14, v2
	v_mov_b32_e32 v2, s15
	v_addc_co_u32_e32 v23, vcc, v2, v3, vcc
	v_lshlrev_b64 v[2:3], 2, v[0:1]
	v_add_u32_e32 v0, s0, v0
	s_waitcnt vmcnt(0)
	v_mul_f32_e32 v5, 0x3cf83106, v4
	global_store_dword v[22:23], v5, off
	v_fmac_f32_e32 v40, 0x3cf83106, v4
	v_add_co_u32_e32 v4, vcc, s12, v2
	v_mov_b32_e32 v5, s13
	v_addc_co_u32_e32 v5, vcc, v5, v3, vcc
	global_load_dword v4, v[4:5], off
	v_add_co_u32_e32 v26, vcc, s14, v2
	v_mov_b32_e32 v2, s15
	v_addc_co_u32_e32 v27, vcc, v2, v3, vcc
	v_lshlrev_b64 v[2:3], 2, v[0:1]
	v_add_u32_e32 v0, s0, v0
	s_waitcnt vmcnt(0)
	v_mul_f32_e32 v5, 0x3cf0d636, v4
	global_store_dword v[26:27], v5, off
	v_fmac_f32_e32 v40, 0x3cf0d636, v4
	v_add_co_u32_e32 v4, vcc, s12, v2
	v_mov_b32_e32 v5, s13
	v_addc_co_u32_e32 v5, vcc, v5, v3, vcc
	global_load_dword v4, v[4:5], off
	v_add_co_u32_e32 v2, vcc, s14, v2
	v_addc_co_u32_e32 v3, vcc, v6, v3, vcc
	s_waitcnt vmcnt(0)
	v_mul_f32_e32 v5, 0x3d883707, v4
	global_store_dword v[2:3], v5, off
	v_lshlrev_b64 v[2:3], 2, v[0:1]
	v_fmac_f32_e32 v40, 0x3d883707, v4
	v_add_co_u32_e32 v4, vcc, s12, v2
	v_mov_b32_e32 v5, s13
	v_addc_co_u32_e32 v5, vcc, v5, v3, vcc
	global_load_dword v4, v[4:5], off
	v_add_co_u32_e32 v2, vcc, s14, v2
	v_addc_co_u32_e32 v3, vcc, v6, v3, vcc
	v_add_u32_e32 v0, s0, v0
	s_waitcnt vmcnt(0)
	v_mul_f32_e32 v5, 0x3d7f5039, v4
	global_store_dword v[2:3], v5, off
	v_fmac_f32_e32 v40, 0x3d7f5039, v4
	v_lshlrev_b64 v[4:5], 2, v[0:1]
	v_add_u32_e32 v0, s0, v0
	v_add_co_u32_e32 v6, vcc, s12, v4
	v_addc_co_u32_e32 v7, vcc, v7, v5, vcc
	global_load_dword v6, v[6:7], off
	v_add_co_u32_e32 v4, vcc, s14, v4
	v_addc_co_u32_e32 v5, vcc, v8, v5, vcc
	s_waitcnt vmcnt(0)
	v_mul_f32_e32 v7, 0x3d123b0a, v6
	global_store_dword v[4:5], v7, off
	v_fmac_f32_e32 v40, 0x3d123b0a, v6
	v_lshlrev_b64 v[6:7], 2, v[0:1]
	v_add_u32_e32 v0, s0, v0
	v_add_co_u32_e32 v8, vcc, s12, v6
	v_addc_co_u32_e32 v9, vcc, v9, v7, vcc
	global_load_dword v8, v[8:9], off
	v_add_co_u32_e32 v6, vcc, s14, v6
	v_addc_co_u32_e32 v7, vcc, v14, v7, vcc
	;; [unrolled: 11-line block ×7, first 2 shown]
	s_waitcnt vmcnt(0)
	v_mul_f32_e32 v31, 0x3cc7a90f, v30
	global_store_dword v[28:29], v31, off
	v_lshlrev_b64 v[28:29], 2, v[0:1]
	v_fmac_f32_e32 v40, 0x3cc7a90f, v30
	v_add_co_u32_e32 v30, vcc, s12, v28
	v_mov_b32_e32 v31, s13
	v_addc_co_u32_e32 v31, vcc, v31, v29, vcc
	global_load_dword v30, v[30:31], off
	v_add_co_u32_e32 v28, vcc, s14, v28
	v_addc_co_u32_e32 v29, vcc, v32, v29, vcc
	v_add_u32_e32 v0, s0, v0
	s_waitcnt vmcnt(0)
	v_mul_f32_e32 v31, 0x3cc2df7b, v30
	global_store_dword v[28:29], v31, off
	v_fmac_f32_e32 v40, 0x3cc2df7b, v30
	v_lshlrev_b64 v[30:31], 2, v[0:1]
	v_add_u32_e32 v0, s0, v0
	v_add_co_u32_e32 v32, vcc, s12, v30
	v_addc_co_u32_e32 v33, vcc, v33, v31, vcc
	global_load_dword v32, v[32:33], off
	v_add_co_u32_e32 v30, vcc, s14, v30
	v_addc_co_u32_e32 v31, vcc, v34, v31, vcc
	s_waitcnt vmcnt(0)
	v_mul_f32_e32 v33, 0x3cb9f493, v32
	global_store_dword v[30:31], v33, off
	v_fmac_f32_e32 v40, 0x3cb9f493, v32
	v_lshlrev_b64 v[32:33], 2, v[0:1]
	v_add_u32_e32 v0, s0, v0
	v_add_co_u32_e32 v34, vcc, s12, v32
	v_addc_co_u32_e32 v35, vcc, v35, v33, vcc
	global_load_dword v34, v[34:35], off
	v_add_co_u32_e32 v32, vcc, s14, v32
	v_addc_co_u32_e32 v33, vcc, v36, v33, vcc
	;; [unrolled: 11-line block ×4, first 2 shown]
	s_waitcnt vmcnt(0)
	v_fmac_f32_e32 v40, 0x3d12373b, v41
	v_mul_f32_e32 v39, v39, v40
	v_mul_f32_e32 v39, 0x4c9e9632, v39
	v_div_scale_f32 v40, s[2:3], v39, v39, 1.0
	v_mul_f32_e32 v42, 0x3d12373b, v41
	global_store_dword v[36:37], v42, off
	v_rcp_f32_e32 v41, v40
	v_fma_f32 v42, -v40, v41, 1.0
	v_fmac_f32_e32 v41, v42, v41
	v_div_scale_f32 v42, vcc, 1.0, v39, 1.0
	v_mul_f32_e32 v43, v42, v41
	v_fma_f32 v44, -v40, v43, v42
	v_fmac_f32_e32 v43, v44, v41
	v_fma_f32 v40, -v40, v43, v42
	v_div_fmas_f32 v40, v40, v41, v43
	v_div_fixup_f32 v39, v40, v39, 1.0
	v_mul_f32_e32 v38, v38, v39
	global_load_dword v39, v[10:11], off
	s_waitcnt vmcnt(0)
	v_max_f32_e32 v39, v39, v39
	v_max_f32_e32 v39, 0x800000, v39
	v_mul_f32_e32 v39, v38, v39
	global_store_dword v[10:11], v39, off
	global_load_dword v10, v[16:17], off
	s_waitcnt vmcnt(0)
	v_max_f32_e32 v10, v10, v10
	v_max_f32_e32 v10, 0x800000, v10
	v_mul_f32_e32 v10, v38, v10
	global_store_dword v[16:17], v10, off
	v_lshlrev_b64 v[10:11], 2, v[0:1]
	v_mov_b32_e32 v16, s15
	v_add_co_u32_e32 v10, vcc, s14, v10
	v_addc_co_u32_e32 v11, vcc, v16, v11, vcc
	global_load_dword v16, v[10:11], off
	v_lshl_add_u32 v0, s0, 1, v0
	s_waitcnt vmcnt(0)
	v_max_f32_e32 v16, v16, v16
	v_max_f32_e32 v16, 0x800000, v16
	v_mul_f32_e32 v16, v38, v16
	global_store_dword v[10:11], v16, off
	global_load_dword v10, v[12:13], off
	s_waitcnt vmcnt(0)
	v_max_f32_e32 v10, v10, v10
	v_max_f32_e32 v10, 0x800000, v10
	v_mul_f32_e32 v10, v38, v10
	global_store_dword v[12:13], v10, off
	v_lshlrev_b64 v[10:11], 2, v[0:1]
	v_mov_b32_e32 v12, s15
	v_add_co_u32_e32 v10, vcc, s14, v10
	v_addc_co_u32_e32 v11, vcc, v12, v11, vcc
	global_load_dword v12, v[10:11], off
	v_lshl_add_u32 v0, s0, 2, v0
	s_waitcnt vmcnt(0)
	v_max_f32_e32 v12, v12, v12
	v_max_f32_e32 v12, 0x800000, v12
	v_mul_f32_e32 v12, v38, v12
	global_store_dword v[10:11], v12, off
	global_load_dword v10, v[18:19], off
	v_mov_b32_e32 v12, s15
	s_waitcnt vmcnt(0)
	v_max_f32_e32 v10, v10, v10
	v_max_f32_e32 v10, 0x800000, v10
	v_mul_f32_e32 v10, v38, v10
	global_store_dword v[18:19], v10, off
	global_load_dword v10, v[22:23], off
	s_waitcnt vmcnt(0)
	v_max_f32_e32 v10, v10, v10
	v_max_f32_e32 v10, 0x800000, v10
	v_mul_f32_e32 v10, v38, v10
	global_store_dword v[22:23], v10, off
	global_load_dword v10, v[26:27], off
	s_waitcnt vmcnt(0)
	v_max_f32_e32 v10, v10, v10
	v_max_f32_e32 v10, 0x800000, v10
	v_mul_f32_e32 v10, v38, v10
	global_store_dword v[26:27], v10, off
	v_lshlrev_b64 v[10:11], 2, v[0:1]
	v_lshl_add_u32 v0, s0, 3, v0
	v_add_co_u32_e32 v10, vcc, s14, v10
	v_addc_co_u32_e32 v11, vcc, v12, v11, vcc
	global_load_dword v12, v[10:11], off
	v_lshlrev_b64 v[0:1], 2, v[0:1]
	v_add_co_u32_e32 v0, vcc, s14, v0
	s_waitcnt vmcnt(0)
	v_max_f32_e32 v12, v12, v12
	v_max_f32_e32 v12, 0x800000, v12
	v_mul_f32_e32 v12, v38, v12
	global_store_dword v[10:11], v12, off
	global_load_dword v10, v[2:3], off
	s_waitcnt vmcnt(0)
	v_max_f32_e32 v10, v10, v10
	v_max_f32_e32 v10, 0x800000, v10
	v_mul_f32_e32 v10, v38, v10
	global_store_dword v[2:3], v10, off
	global_load_dword v2, v[4:5], off
	s_waitcnt vmcnt(0)
	v_max_f32_e32 v2, v2, v2
	v_max_f32_e32 v2, 0x800000, v2
	v_mul_f32_e32 v2, v38, v2
	global_store_dword v[4:5], v2, off
	global_load_dword v2, v[6:7], off
	s_waitcnt vmcnt(0)
	v_max_f32_e32 v2, v2, v2
	v_max_f32_e32 v2, 0x800000, v2
	v_mul_f32_e32 v2, v38, v2
	global_store_dword v[6:7], v2, off
	global_load_dword v2, v[8:9], off
	s_waitcnt vmcnt(0)
	v_max_f32_e32 v2, v2, v2
	v_max_f32_e32 v2, 0x800000, v2
	v_mul_f32_e32 v2, v38, v2
	global_store_dword v[8:9], v2, off
	global_load_dword v2, v[14:15], off
	s_waitcnt vmcnt(0)
	v_max_f32_e32 v2, v2, v2
	v_max_f32_e32 v2, 0x800000, v2
	v_mul_f32_e32 v2, v38, v2
	global_store_dword v[14:15], v2, off
	global_load_dword v2, v[20:21], off
	s_waitcnt vmcnt(0)
	v_max_f32_e32 v2, v2, v2
	v_max_f32_e32 v2, 0x800000, v2
	v_mul_f32_e32 v2, v38, v2
	global_store_dword v[20:21], v2, off
	global_load_dword v2, v[24:25], off
	s_waitcnt vmcnt(0)
	v_max_f32_e32 v2, v2, v2
	v_max_f32_e32 v2, 0x800000, v2
	v_mul_f32_e32 v2, v38, v2
	global_store_dword v[24:25], v2, off
	v_mov_b32_e32 v2, s15
	v_addc_co_u32_e32 v1, vcc, v2, v1, vcc
	global_load_dword v2, v[0:1], off
	s_waitcnt vmcnt(0)
	v_max_f32_e32 v2, v2, v2
	v_max_f32_e32 v2, 0x800000, v2
	v_mul_f32_e32 v2, v38, v2
	global_store_dword v[0:1], v2, off
	global_load_dword v0, v[28:29], off
	s_waitcnt vmcnt(0)
	v_max_f32_e32 v0, v0, v0
	v_max_f32_e32 v0, 0x800000, v0
	v_mul_f32_e32 v0, v38, v0
	global_store_dword v[28:29], v0, off
	;; [unrolled: 6-line block ×6, first 2 shown]
	s_endpgm
	.section	.rodata,"a",@progbits
	.p2align	6, 0x0
	.amdhsa_kernel _Z7gr_baseIfEvPKT_S2_S2_PS0_S0_S0_
		.amdhsa_group_segment_fixed_size 0
		.amdhsa_private_segment_fixed_size 0
		.amdhsa_kernarg_size 296
		.amdhsa_user_sgpr_count 6
		.amdhsa_user_sgpr_private_segment_buffer 1
		.amdhsa_user_sgpr_dispatch_ptr 0
		.amdhsa_user_sgpr_queue_ptr 0
		.amdhsa_user_sgpr_kernarg_segment_ptr 1
		.amdhsa_user_sgpr_dispatch_id 0
		.amdhsa_user_sgpr_flat_scratch_init 0
		.amdhsa_user_sgpr_private_segment_size 0
		.amdhsa_uses_dynamic_stack 0
		.amdhsa_system_sgpr_private_segment_wavefront_offset 0
		.amdhsa_system_sgpr_workgroup_id_x 1
		.amdhsa_system_sgpr_workgroup_id_y 0
		.amdhsa_system_sgpr_workgroup_id_z 0
		.amdhsa_system_sgpr_workgroup_info 0
		.amdhsa_system_vgpr_workitem_id 0
		.amdhsa_next_free_vgpr 45
		.amdhsa_next_free_sgpr 16
		.amdhsa_reserve_vcc 1
		.amdhsa_reserve_flat_scratch 0
		.amdhsa_float_round_mode_32 0
		.amdhsa_float_round_mode_16_64 0
		.amdhsa_float_denorm_mode_32 3
		.amdhsa_float_denorm_mode_16_64 3
		.amdhsa_dx10_clamp 1
		.amdhsa_ieee_mode 1
		.amdhsa_fp16_overflow 0
		.amdhsa_exception_fp_ieee_invalid_op 0
		.amdhsa_exception_fp_denorm_src 0
		.amdhsa_exception_fp_ieee_div_zero 0
		.amdhsa_exception_fp_ieee_overflow 0
		.amdhsa_exception_fp_ieee_underflow 0
		.amdhsa_exception_fp_ieee_inexact 0
		.amdhsa_exception_int_div_zero 0
	.end_amdhsa_kernel
	.section	.text._Z7gr_baseIfEvPKT_S2_S2_PS0_S0_S0_,"axG",@progbits,_Z7gr_baseIfEvPKT_S2_S2_PS0_S0_S0_,comdat
.Lfunc_end2:
	.size	_Z7gr_baseIfEvPKT_S2_S2_PS0_S0_S0_, .Lfunc_end2-_Z7gr_baseIfEvPKT_S2_S2_PS0_S0_S0_
                                        ; -- End function
	.set _Z7gr_baseIfEvPKT_S2_S2_PS0_S0_S0_.num_vgpr, 45
	.set _Z7gr_baseIfEvPKT_S2_S2_PS0_S0_S0_.num_agpr, 0
	.set _Z7gr_baseIfEvPKT_S2_S2_PS0_S0_S0_.numbered_sgpr, 16
	.set _Z7gr_baseIfEvPKT_S2_S2_PS0_S0_S0_.num_named_barrier, 0
	.set _Z7gr_baseIfEvPKT_S2_S2_PS0_S0_S0_.private_seg_size, 0
	.set _Z7gr_baseIfEvPKT_S2_S2_PS0_S0_S0_.uses_vcc, 1
	.set _Z7gr_baseIfEvPKT_S2_S2_PS0_S0_S0_.uses_flat_scratch, 0
	.set _Z7gr_baseIfEvPKT_S2_S2_PS0_S0_S0_.has_dyn_sized_stack, 0
	.set _Z7gr_baseIfEvPKT_S2_S2_PS0_S0_S0_.has_recursion, 0
	.set _Z7gr_baseIfEvPKT_S2_S2_PS0_S0_S0_.has_indirect_call, 0
	.section	.AMDGPU.csdata,"",@progbits
; Kernel info:
; codeLenInByte = 2688
; TotalNumSgprs: 20
; NumVgprs: 45
; ScratchSize: 0
; MemoryBound: 0
; FloatMode: 240
; IeeeMode: 1
; LDSByteSize: 0 bytes/workgroup (compile time only)
; SGPRBlocks: 2
; VGPRBlocks: 11
; NumSGPRsForWavesPerEU: 20
; NumVGPRsForWavesPerEU: 45
; Occupancy: 5
; WaveLimiterHint : 0
; COMPUTE_PGM_RSRC2:SCRATCH_EN: 0
; COMPUTE_PGM_RSRC2:USER_SGPR: 6
; COMPUTE_PGM_RSRC2:TRAP_HANDLER: 0
; COMPUTE_PGM_RSRC2:TGID_X_EN: 1
; COMPUTE_PGM_RSRC2:TGID_Y_EN: 0
; COMPUTE_PGM_RSRC2:TGID_Z_EN: 0
; COMPUTE_PGM_RSRC2:TIDIG_COMP_CNT: 0
	.section	.text._Z12ratt2_kernelIfEvPKT_S2_PS0_S2_S0_,"axG",@progbits,_Z12ratt2_kernelIfEvPKT_S2_PS0_S2_S0_,comdat
	.protected	_Z12ratt2_kernelIfEvPKT_S2_PS0_S2_S0_ ; -- Begin function _Z12ratt2_kernelIfEvPKT_S2_PS0_S2_S0_
	.globl	_Z12ratt2_kernelIfEvPKT_S2_PS0_S2_S0_
	.p2align	8
	.type	_Z12ratt2_kernelIfEvPKT_S2_PS0_S2_S0_,@function
_Z12ratt2_kernelIfEvPKT_S2_PS0_S2_S0_:  ; @_Z12ratt2_kernelIfEvPKT_S2_PS0_S2_S0_
; %bb.0:
	s_load_dword s0, s[4:5], 0x34
	s_load_dwordx8 s[8:15], s[4:5], 0x0
	s_load_dword s1, s[4:5], 0x28
	v_mov_b32_e32 v1, 0
	v_mov_b32_e32 v19, v1
	s_waitcnt lgkmcnt(0)
	v_mov_b32_e32 v5, s9
	s_and_b32 s2, s0, 0xffff
	s_mul_i32 s6, s6, s2
	v_add_u32_e32 v0, s6, v0
	s_load_dword s0, s[4:5], 0x20
	s_mul_i32 s4, s1, s2
	v_lshlrev_b64 v[2:3], 2, v[0:1]
	s_lshl_b32 s1, s4, 1
	v_add_u32_e32 v18, s4, v0
	v_add_u32_e32 v0, s1, v0
	v_add_co_u32_e32 v4, vcc, s8, v2
	v_lshlrev_b64 v[6:7], 2, v[0:1]
	v_addc_co_u32_e32 v5, vcc, v5, v3, vcc
	v_add_u32_e32 v0, s1, v0
	global_load_dword v27, v[4:5], off
	v_mov_b32_e32 v26, s15
	v_lshlrev_b64 v[4:5], 2, v[0:1]
	v_add_co_u32_e32 v8, vcc, s14, v6
	v_addc_co_u32_e32 v9, vcc, v26, v7, vcc
	v_add_co_u32_e32 v10, vcc, s14, v4
	v_addc_co_u32_e32 v11, vcc, v26, v5, vcc
	global_load_dword v30, v[8:9], off
	global_load_dword v31, v[10:11], off
	v_lshlrev_b64 v[12:13], 2, v[18:19]
	v_add_u32_e32 v0, s4, v0
	v_add_co_u32_e32 v14, vcc, s14, v12
	v_addc_co_u32_e32 v15, vcc, v26, v13, vcc
	global_load_dword v28, v[14:15], off
	v_lshlrev_b64 v[16:17], 2, v[0:1]
	v_add_u32_e32 v18, s1, v18
	v_add_co_u32_e32 v22, vcc, s14, v16
	v_addc_co_u32_e32 v23, vcc, v26, v17, vcc
	global_load_dword v36, v[22:23], off
	v_lshlrev_b64 v[18:19], 2, v[18:19]
	v_mov_b32_e32 v29, s11
	v_add_co_u32_e32 v24, vcc, s14, v18
	v_addc_co_u32_e32 v25, vcc, v26, v19, vcc
	global_load_dword v33, v[24:25], off
	v_add_co_u32_e32 v20, vcc, s10, v2
	v_addc_co_u32_e32 v21, vcc, v29, v3, vcc
	global_load_dword v37, v[20:21], off
	v_add_co_u32_e32 v20, vcc, s14, v2
	v_addc_co_u32_e32 v21, vcc, v26, v3, vcc
	global_load_dword v34, v[20:21], off
	global_load_dword v32, v[10:11], off
	global_load_dword v35, v[8:9], off
	s_nop 0
	global_load_dword v25, v[24:25], off
	v_add_u32_e32 v0, s4, v0
	s_waitcnt vmcnt(10) lgkmcnt(0)
	v_mul_f32_e32 v8, s0, v27
	v_mul_f32_e32 v10, 0x4c9e9632, v8
	v_div_scale_f32 v11, s[0:1], v10, v10, 1.0
	v_add_co_u32_e32 v8, vcc, s10, v12
	v_addc_co_u32_e32 v9, vcc, v29, v13, vcc
	global_load_dword v39, v[8:9], off
	v_div_scale_f32 v8, vcc, 1.0, v10, 1.0
	s_waitcnt vmcnt(9)
	v_mul_f32_e32 v27, v30, v31
	v_div_scale_f32 v38, s[0:1], v27, v27, 1.0
	global_load_dword v24, v[14:15], off
	s_nop 0
	global_load_dword v23, v[22:23], off
	v_div_scale_f32 v14, s[0:1], 1.0, v27, 1.0
	global_load_dword v20, v[20:21], off
	v_rcp_f32_e32 v15, v11
	s_waitcnt vmcnt(11)
	v_mul_f32_e32 v9, v28, v31
	v_div_scale_f32 v40, s[2:3], v9, v9, 1.0
	v_fma_f32 v42, -v11, v15, 1.0
	v_fmac_f32_e32 v15, v42, v15
	v_div_scale_f32 v41, s[2:3], 1.0, v9, 1.0
	v_mul_f32_e32 v43, v8, v15
	v_rcp_f32_e32 v22, v38
	v_fma_f32 v42, -v38, v22, 1.0
	v_fmac_f32_e32 v22, v42, v22
	v_fma_f32 v42, -v11, v43, v8
	v_fmac_f32_e32 v43, v42, v15
	v_fma_f32 v8, -v11, v43, v8
	v_div_fmas_f32 v43, v8, v15, v43
	v_mul_f32_e32 v8, v14, v22
	v_fma_f32 v15, -v38, v8, v14
	v_fmac_f32_e32 v8, v15, v22
	v_fma_f32 v14, -v38, v8, v14
	s_mov_b64 vcc, s[0:1]
	v_div_fmas_f32 v38, v14, v22, v8
	v_add_co_u32_e32 v14, vcc, s10, v6
	v_addc_co_u32_e32 v15, vcc, v29, v7, vcc
	global_load_dword v15, v[14:15], off
	v_rcp_f32_e32 v44, v40
	s_waitcnt vmcnt(11)
	v_mul_f32_e32 v42, v28, v36
	v_div_scale_f32 v11, s[6:7], v42, v42, 1.0
	v_fma_f32 v8, -v40, v44, 1.0
	v_fmac_f32_e32 v44, v8, v44
	v_mul_f32_e32 v8, v41, v44
	v_fma_f32 v14, -v40, v8, v41
	v_fmac_f32_e32 v8, v14, v44
	v_fma_f32 v14, -v40, v8, v41
	v_div_scale_f32 v40, s[0:1], 1.0, v42, 1.0
	s_mov_b64 vcc, s[2:3]
	v_div_fmas_f32 v14, v14, v44, v8
	s_waitcnt vmcnt(10)
	v_mul_f32_e32 v8, v28, v33
	v_div_fixup_f32 v27, v38, v27, 1.0
	v_mul_f32_e32 v27, v8, v27
	v_mov_b32_e32 v22, s13
	v_rcp_f32_e32 v41, v11
	v_min_f32_e32 v27, 0x7cf0bdc2, v27
	v_add_co_u32_e32 v2, vcc, s12, v2
	s_waitcnt vmcnt(9)
	v_mul_f32_e32 v27, v37, v27
	v_addc_co_u32_e32 v3, vcc, v22, v3, vcc
	global_store_dword v[2:3], v27, off
	v_fma_f32 v2, -v11, v41, 1.0
	v_fmac_f32_e32 v41, v2, v41
	v_mul_f32_e32 v2, v40, v41
	v_fma_f32 v3, -v11, v2, v40
	v_fmac_f32_e32 v2, v3, v41
	v_fma_f32 v3, -v11, v2, v40
	s_mov_b64 vcc, s[0:1]
	v_div_fmas_f32 v11, v3, v41, v2
	v_add_co_u32_e32 v2, vcc, s12, v12
	v_addc_co_u32_e32 v3, vcc, v22, v13, vcc
	v_div_fixup_f32 v12, v14, v9, 1.0
	s_waitcnt vmcnt(9)
	v_mul_f32_e32 v13, v30, v34
	v_mul_f32_e32 v12, v12, v13
	v_min_f32_e32 v12, 0x7cf0bdc2, v12
	s_waitcnt vmcnt(5)
	v_mul_f32_e32 v12, v39, v12
	global_store_dword v[2:3], v12, off
	v_add_co_u32_e32 v2, vcc, s12, v6
	v_addc_co_u32_e32 v3, vcc, v22, v7, vcc
	v_mul_f32_e32 v7, v31, v34
	v_div_fixup_f32 v6, v11, v42, 1.0
	v_mul_f32_e32 v21, v7, v6
	v_add_co_u32_e32 v6, vcc, s10, v18
	v_addc_co_u32_e32 v7, vcc, v29, v19, vcc
	global_load_dword v27, v[6:7], off
	v_add_co_u32_e32 v6, vcc, s10, v4
	v_addc_co_u32_e32 v7, vcc, v29, v5, vcc
	v_add_co_u32_e32 v11, vcc, s10, v16
	v_lshlrev_b64 v[13:14], 2, v[0:1]
	v_addc_co_u32_e32 v12, vcc, v29, v17, vcc
	v_add_u32_e32 v0, s4, v0
	v_add_co_u32_e32 v37, vcc, s10, v13
	v_lshlrev_b64 v[39:40], 2, v[0:1]
	v_addc_co_u32_e32 v38, vcc, v29, v14, vcc
	v_min_f32_e32 v21, 0x7cf0bdc2, v21
	v_add_co_u32_e32 v41, vcc, s10, v39
	v_addc_co_u32_e32 v42, vcc, v29, v40, vcc
	global_load_dword v44, v[6:7], off
	global_load_dword v45, v[11:12], off
	;; [unrolled: 1-line block ×3, first 2 shown]
	s_nop 0
	global_load_dword v41, v[41:42], off
	v_add_u32_e32 v0, s4, v0
	v_lshlrev_b64 v[6:7], 2, v[0:1]
	s_waitcnt vmcnt(7)
	v_mul_f32_e32 v15, v15, v21
	global_store_dword v[2:3], v15, off
	v_mul_f32_e32 v2, v30, v36
	v_div_scale_f32 v3, s[0:1], v2, v2, 1.0
	v_add_co_u32_e32 v11, vcc, s10, v6
	v_addc_co_u32_e32 v12, vcc, v29, v7, vcc
	v_add_u32_e32 v0, s4, v0
	global_load_dword v42, v[11:12], off
	v_lshlrev_b64 v[11:12], 2, v[0:1]
	v_add_u32_e32 v0, s4, v0
	v_add_co_u32_e32 v37, vcc, s10, v11
	v_addc_co_u32_e32 v38, vcc, v29, v12, vcc
	global_load_dword v37, v[37:38], off
	v_rcp_f32_e32 v15, v3
	v_fma_f32 v21, -v3, v15, 1.0
	v_fmac_f32_e32 v15, v21, v15
	v_div_scale_f32 v21, vcc, 1.0, v2, 1.0
	v_mul_f32_e32 v38, v21, v15
	v_fma_f32 v47, -v3, v38, v21
	v_fmac_f32_e32 v38, v47, v15
	v_fma_f32 v3, -v3, v38, v21
	v_div_fmas_f32 v3, v3, v15, v38
	v_add_co_u32_e32 v18, vcc, s12, v18
	v_addc_co_u32_e32 v19, vcc, v22, v19, vcc
	v_div_fixup_f32 v21, v3, v2, 1.0
	v_mul_f32_e32 v2, v31, v31
	v_mul_f32_e32 v3, v2, v21
	v_min_f32_e32 v3, 0x7cf0bdc2, v3
	s_waitcnt vmcnt(7)
	v_mul_f32_e32 v3, v27, v3
	global_store_dword v[18:19], v3, off
	v_div_scale_f32 v3, s[0:1], v34, v34, 1.0
	v_rcp_f32_e32 v15, v3
	v_fma_f32 v18, -v3, v15, 1.0
	v_fmac_f32_e32 v15, v18, v15
	v_div_scale_f32 v18, vcc, 1.0, v34, 1.0
	v_mul_f32_e32 v19, v18, v15
	v_fma_f32 v27, -v3, v19, v18
	v_fmac_f32_e32 v19, v27, v15
	v_fma_f32 v3, -v3, v19, v18
	v_div_fmas_f32 v15, v3, v15, v19
	v_div_fixup_f32 v3, v43, v10, 1.0
	v_div_scale_f32 v18, s[0:1], v36, v36, 1.0
	v_mul_f32_e32 v3, 0x49776020, v3
	v_mul_f32_e32 v10, v28, v28
	;; [unrolled: 1-line block ×3, first 2 shown]
	v_add_co_u32_e32 v4, vcc, s12, v4
	v_addc_co_u32_e32 v5, vcc, v22, v5, vcc
	v_mul_f32_e32 v2, v3, v2
	v_div_fixup_f32 v15, v15, v34, 1.0
	v_mul_f32_e32 v10, v10, v15
	v_min_f32_e32 v10, 0x7cf0bdc2, v10
	s_waitcnt vmcnt(7)
	v_mul_f32_e32 v15, v10, v44
	global_store_dword v[4:5], v15, off
	v_div_scale_f32 v15, vcc, 1.0, v36, 1.0
	v_add_co_u32_e64 v4, s[0:1], s12, v16
	v_addc_co_u32_e64 v5, s[0:1], v22, v17, s[0:1]
	s_waitcnt vmcnt(7)
	v_mul_f32_e32 v16, v10, v45
	global_store_dword v[4:5], v16, off
	v_add_co_u32_e64 v4, s[0:1], s12, v13
	s_waitcnt vmcnt(7)
	v_mul_f32_e32 v16, v10, v46
	v_addc_co_u32_e64 v5, s[0:1], v22, v14, s[0:1]
	global_store_dword v[4:5], v16, off
	v_rcp_f32_e32 v16, v18
	v_div_scale_f32 v17, s[0:1], v31, v31, 1.0
	v_div_scale_f32 v27, s[0:1], 1.0, v31, 1.0
	v_fma_f32 v4, -v18, v16, 1.0
	v_fmac_f32_e32 v16, v4, v16
	v_mul_f32_e32 v19, v15, v16
	v_fma_f32 v4, -v18, v19, v15
	v_fmac_f32_e32 v19, v4, v16
	v_add_co_u32_e64 v4, s[2:3], s14, v13
	v_addc_co_u32_e64 v5, s[2:3], v26, v14, s[2:3]
	v_fma_f32 v15, -v18, v19, v15
	global_load_dword v18, v[4:5], off
	v_div_fmas_f32 v13, v15, v16, v19
	v_rcp_f32_e32 v14, v17
	v_add_co_u32_e32 v4, vcc, s12, v39
	v_addc_co_u32_e32 v5, vcc, v22, v40, vcc
	v_fma_f32 v15, -v17, v14, 1.0
	v_fmac_f32_e32 v14, v15, v14
	v_mul_f32_e32 v15, v27, v14
	v_fma_f32 v16, -v17, v15, v27
	v_fmac_f32_e32 v15, v16, v14
	v_fma_f32 v16, -v17, v15, v27
	s_mov_b64 vcc, s[0:1]
	v_div_fmas_f32 v14, v16, v14, v15
	s_waitcnt vmcnt(8)
	v_mul_f32_e32 v10, v10, v41
	global_store_dword v[4:5], v10, off
	v_add_co_u32_e32 v4, vcc, s12, v6
	v_addc_co_u32_e32 v5, vcc, v22, v7, vcc
	v_div_fixup_f32 v6, v13, v36, 1.0
	v_mul_f32_e32 v7, v3, v9
	v_mul_f32_e32 v6, v7, v6
	v_min_f32_e32 v6, 0x7cf0bdc2, v6
	s_waitcnt vmcnt(7)
	v_mul_f32_e32 v6, v6, v42
	global_store_dword v[4:5], v6, off
	v_add_co_u32_e32 v4, vcc, s12, v11
	v_lshlrev_b64 v[6:7], 2, v[0:1]
	v_addc_co_u32_e32 v5, vcc, v22, v12, vcc
	v_add_co_u32_e32 v9, vcc, s10, v6
	v_addc_co_u32_e32 v10, vcc, v29, v7, vcc
	v_div_fixup_f32 v15, v14, v31, 1.0
	global_load_dword v31, v[9:10], off
	v_add_co_u32_e32 v9, vcc, s14, v39
	v_addc_co_u32_e32 v10, vcc, v26, v40, vcc
	v_add_u32_e32 v0, s4, v0
	global_load_dword v19, v[9:10], off
	v_lshlrev_b64 v[9:10], 2, v[0:1]
	v_add_u32_e32 v0, s4, v0
	v_add_co_u32_e32 v11, vcc, s10, v9
	v_addc_co_u32_e32 v12, vcc, v29, v10, vcc
	global_load_dword v38, v[11:12], off
	v_lshlrev_b64 v[11:12], 2, v[0:1]
	v_add_u32_e32 v0, s4, v0
	v_add_co_u32_e32 v13, vcc, s10, v11
	v_addc_co_u32_e32 v14, vcc, v29, v12, vcc
	global_load_dword v39, v[13:14], off
	v_mul_f32_e32 v13, v28, v30
	v_mul_f32_e32 v13, v13, v3
	;; [unrolled: 1-line block ×3, first 2 shown]
	v_min_f32_e32 v13, 0x7cf0bdc2, v13
	v_div_scale_f32 v36, s[0:1], v33, v33, 1.0
	s_waitcnt vmcnt(11)
	v_mul_f32_e32 v37, v13, v37
	v_lshlrev_b64 v[13:14], 2, v[0:1]
	v_div_scale_f32 v40, vcc, 1.0, v33, 1.0
	v_add_co_u32_e64 v15, s[0:1], s10, v13
	v_addc_co_u32_e64 v16, s[0:1], v29, v14, s[0:1]
	global_load_dword v15, v[15:16], off
	v_add_u32_e32 v0, s4, v0
	global_store_dword v[4:5], v37, off
	v_mul_f32_e32 v34, v33, v34
	v_rcp_f32_e32 v41, v36
	s_waitcnt vmcnt(8)
	v_div_scale_f32 v43, s[0:1], v18, v18, 1.0
	v_fma_f32 v17, -v36, v41, 1.0
	v_fmac_f32_e32 v41, v17, v41
	v_mul_f32_e32 v42, v40, v41
	v_fma_f32 v16, -v36, v42, v40
	v_fmac_f32_e32 v42, v16, v41
	v_lshlrev_b64 v[16:17], 2, v[0:1]
	v_fma_f32 v36, -v36, v42, v40
	v_add_co_u32_e64 v26, s[0:1], s10, v16
	v_addc_co_u32_e64 v27, s[0:1], v29, v17, s[0:1]
	global_load_dword v26, v[26:27], off
	v_div_scale_f32 v27, s[0:1], 1.0, v18, 1.0
	v_rcp_f32_e32 v40, v43
	v_div_fmas_f32 v36, v36, v41, v42
	s_mov_b64 vcc, s[0:1]
	v_add_u32_e32 v0, s4, v0
	v_fma_f32 v4, -v43, v40, 1.0
	v_fmac_f32_e32 v40, v4, v40
	v_mul_f32_e32 v4, v27, v40
	v_fma_f32 v5, -v43, v4, v27
	v_fmac_f32_e32 v4, v5, v40
	v_fma_f32 v5, -v43, v4, v27
	v_div_fmas_f32 v27, v5, v40, v4
	v_add_co_u32_e32 v4, vcc, s12, v6
	v_mul_f32_e32 v6, v30, v30
	v_addc_co_u32_e32 v5, vcc, v22, v7, vcc
	v_mul_f32_e32 v6, v6, v3
	v_div_fixup_f32 v7, v36, v33, 1.0
	v_mul_f32_e32 v6, v7, v6
	v_min_f32_e32 v6, 0x7cf0bdc2, v6
	s_waitcnt vmcnt(6)
	v_mul_f32_e32 v6, v6, v31
	global_store_dword v[4:5], v6, off
	v_mul_f32_e32 v6, v8, v3
	s_waitcnt vmcnt(6)
	v_div_scale_f32 v30, s[0:1], v19, v19, 1.0
	v_add_co_u32_e32 v4, vcc, s12, v9
	v_div_fixup_f32 v7, v27, v18, 1.0
	v_mul_f32_e32 v6, v6, v7
	v_min_f32_e32 v8, 0x7cf0bdc2, v6
	v_addc_co_u32_e32 v5, vcc, v22, v10, vcc
	s_waitcnt vmcnt(5)
	v_mul_f32_e32 v6, v38, v8
	global_store_dword v[4:5], v6, off
	v_add_co_u32_e32 v4, vcc, s12, v11
	v_addc_co_u32_e32 v5, vcc, v22, v12, vcc
	s_waitcnt vmcnt(5)
	v_mul_f32_e32 v6, v39, v8
	global_store_dword v[4:5], v6, off
	v_lshlrev_b64 v[4:5], 2, v[0:1]
	v_div_scale_f32 v10, vcc, 1.0, v19, 1.0
	v_add_co_u32_e64 v6, s[0:1], s10, v4
	v_addc_co_u32_e64 v7, s[0:1], v29, v5, s[0:1]
	global_load_dword v37, v[6:7], off
	v_rcp_f32_e32 v9, v30
	v_add_co_u32_e64 v6, s[0:1], s12, v13
	v_addc_co_u32_e64 v7, s[0:1], v22, v14, s[0:1]
	s_waitcnt vmcnt(6)
	v_mul_f32_e32 v11, v8, v15
	global_store_dword v[6:7], v11, off
	v_fma_f32 v6, -v30, v9, 1.0
	v_fmac_f32_e32 v9, v6, v9
	v_mul_f32_e32 v6, v10, v9
	v_fma_f32 v7, -v30, v6, v10
	v_add_u32_e32 v0, s4, v0
	v_fmac_f32_e32 v6, v7, v9
	v_lshlrev_b64 v[14:15], 2, v[0:1]
	v_fma_f32 v7, -v30, v6, v10
	v_div_fmas_f32 v9, v7, v9, v6
	v_add_co_u32_e32 v6, vcc, s10, v14
	v_addc_co_u32_e32 v7, vcc, v29, v15, vcc
	global_load_dword v36, v[6:7], off
	v_add_co_u32_e32 v6, vcc, s12, v16
	v_addc_co_u32_e32 v7, vcc, v22, v17, vcc
	v_add_u32_e32 v0, s4, v0
	v_add_co_u32_e32 v16, vcc, s12, v4
	v_lshlrev_b64 v[12:13], 2, v[0:1]
	v_addc_co_u32_e32 v17, vcc, v22, v5, vcc
	v_add_co_u32_e32 v4, vcc, s10, v12
	v_addc_co_u32_e32 v5, vcc, v29, v13, vcc
	global_load_dword v38, v[4:5], off
	s_waitcnt vmcnt(7)
	v_mul_f32_e32 v8, v8, v26
	v_add_u32_e32 v0, s4, v0
	global_store_dword v[6:7], v8, off
	v_div_fixup_f32 v3, v9, v19, 1.0
	v_lshlrev_b64 v[8:9], 2, v[0:1]
	v_add_u32_e32 v0, s4, v0
	v_mul_f32_e32 v4, v2, v3
	v_lshlrev_b64 v[10:11], 2, v[0:1]
	v_add_u32_e32 v0, s4, v0
	v_add_co_u32_e32 v2, vcc, s10, v8
	v_min_f32_e32 v41, 0x7cf0bdc2, v4
	v_lshlrev_b64 v[4:5], 2, v[0:1]
	v_addc_co_u32_e32 v3, vcc, v29, v9, vcc
	v_div_scale_f32 v42, s[0:1], v34, v34, 1.0
	v_add_co_u32_e32 v6, vcc, s10, v10
	v_add_co_u32_e64 v30, s[0:1], s10, v4
	v_addc_co_u32_e32 v7, vcc, v29, v11, vcc
	v_addc_co_u32_e64 v31, s[0:1], v29, v5, s[0:1]
	global_load_dword v33, v[2:3], off
	global_load_dword v27, v[6:7], off
	;; [unrolled: 1-line block ×3, first 2 shown]
	v_div_scale_f32 v43, vcc, 1.0, v34, 1.0
	v_add_u32_e32 v0, s4, v0
	v_lshlrev_b64 v[6:7], 2, v[0:1]
	v_add_u32_e32 v0, s4, v0
	v_add_co_u32_e64 v30, s[0:1], s10, v6
	v_lshlrev_b64 v[2:3], 2, v[0:1]
	v_addc_co_u32_e64 v31, s[0:1], v29, v7, s[0:1]
	v_add_co_u32_e64 v39, s[0:1], s10, v2
	v_addc_co_u32_e64 v40, s[0:1], v29, v3, s[0:1]
	global_load_dword v31, v[30:31], off
	s_nop 0
	global_load_dword v30, v[39:40], off
	v_add_co_u32_e64 v14, s[0:1], s12, v14
	s_waitcnt vmcnt(9)
	v_mul_f32_e32 v37, v37, v41
	global_store_dword v[16:17], v37, off
	v_rcp_f32_e32 v16, v42
	v_mul_f32_e32 v17, v28, v18
	v_addc_co_u32_e64 v15, s[0:1], v22, v15, s[0:1]
	v_fma_f32 v28, -v42, v16, 1.0
	v_fmac_f32_e32 v16, v28, v16
	v_mul_f32_e32 v28, v43, v16
	v_fma_f32 v37, -v42, v28, v43
	v_fmac_f32_e32 v28, v37, v16
	v_fma_f32 v37, -v42, v28, v43
	v_div_fmas_f32 v16, v37, v16, v28
	v_mul_f32_e32 v28, v32, v32
	v_div_scale_f32 v37, s[0:1], v28, v28, 1.0
	v_mul_f32_e32 v21, v21, v17
	v_min_f32_e32 v21, 0x7cf0bdc2, v21
	v_add_u32_e32 v0, s4, v0
	s_waitcnt vmcnt(8)
	v_mul_f32_e32 v21, v21, v36
	global_store_dword v[14:15], v21, off
	v_div_scale_f32 v14, vcc, 1.0, v28, 1.0
	v_mul_f32_e32 v15, v25, v32
	v_div_scale_f32 v21, s[0:1], v15, v15, 1.0
	v_add_co_u32_e64 v12, s[0:1], s12, v12
	v_addc_co_u32_e64 v13, s[0:1], v22, v13, s[0:1]
	v_div_fixup_f32 v16, v16, v34, 1.0
	v_mul_f32_e32 v16, v16, v17
	v_div_scale_f32 v17, s[0:1], 1.0, v15, 1.0
	v_rcp_f32_e32 v34, v37
	v_min_f32_e32 v16, 0x7cf0bdc2, v16
	s_waitcnt vmcnt(8)
	v_mul_f32_e32 v16, v16, v38
	global_store_dword v[12:13], v16, off
	v_fma_f32 v12, -v37, v34, 1.0
	v_fmac_f32_e32 v34, v12, v34
	v_mul_f32_e32 v12, v14, v34
	v_fma_f32 v13, -v37, v12, v14
	v_fmac_f32_e32 v12, v13, v34
	v_rcp_f32_e32 v13, v21
	v_fma_f32 v14, -v37, v12, v14
	v_div_fmas_f32 v12, v14, v34, v12
	s_mov_b64 vcc, s[0:1]
	v_fma_f32 v14, -v21, v13, 1.0
	v_fmac_f32_e32 v13, v14, v13
	v_mul_f32_e32 v14, v17, v13
	v_fma_f32 v16, -v21, v14, v17
	v_fmac_f32_e32 v14, v16, v13
	v_fma_f32 v16, -v21, v14, v17
	v_div_fmas_f32 v13, v16, v13, v14
	v_mul_f32_e32 v14, v25, v23
	v_div_scale_f32 v16, s[0:1], v14, v14, 1.0
	v_add_co_u32_e32 v8, vcc, s12, v8
	v_addc_co_u32_e32 v9, vcc, v22, v9, vcc
	v_div_scale_f32 v17, vcc, 1.0, v14, 1.0
	v_div_fixup_f32 v12, v12, v28, 1.0
	v_mul_f32_e32 v21, v24, v18
	v_mul_f32_e32 v12, v21, v12
	v_min_f32_e32 v12, 0x7cf0bdc2, v12
	s_waitcnt vmcnt(7)
	v_mul_f32_e32 v12, v33, v12
	global_store_dword v[8:9], v12, off
	v_add_co_u32_e64 v8, s[0:1], s12, v10
	v_rcp_f32_e32 v10, v16
	v_addc_co_u32_e64 v9, s[0:1], v22, v11, s[0:1]
	v_div_fixup_f32 v11, v13, v15, 1.0
	v_mul_f32_e32 v12, v35, v18
	v_mul_f32_e32 v15, v12, v11
	v_fma_f32 v11, -v16, v10, 1.0
	v_fmac_f32_e32 v10, v11, v10
	v_mul_f32_e32 v11, v17, v10
	v_fma_f32 v12, -v16, v11, v17
	v_fmac_f32_e32 v11, v12, v10
	v_fma_f32 v12, -v16, v11, v17
	v_div_fmas_f32 v16, v12, v10, v11
	v_lshlrev_b64 v[10:11], 2, v[0:1]
	v_mul_f32_e32 v17, v25, v19
	v_add_co_u32_e32 v12, vcc, s10, v10
	v_addc_co_u32_e32 v13, vcc, v29, v11, vcc
	global_load_dword v25, v[12:13], off
	v_add_u32_e32 v0, s4, v0
	v_lshlrev_b64 v[0:1], 2, v[0:1]
	v_div_scale_f32 v21, s[0:1], v17, v17, 1.0
	v_add_co_u32_e64 v12, s[0:1], s10, v0
	v_addc_co_u32_e64 v13, s[0:1], v29, v1, s[0:1]
	global_load_dword v12, v[12:13], off
	v_div_scale_f32 v28, vcc, 1.0, v17, 1.0
	v_min_f32_e32 v13, 0x7cf0bdc2, v15
	s_waitcnt vmcnt(9)
	v_mul_f32_e32 v13, v27, v13
	global_store_dword v[8:9], v13, off
	v_div_fixup_f32 v9, v16, v14, 1.0
	v_mul_f32_e32 v13, v32, v18
	v_mul_f32_e32 v9, v13, v9
	v_add_co_u32_e64 v4, s[0:1], s12, v4
	v_rcp_f32_e32 v8, v21
	v_addc_co_u32_e64 v5, s[0:1], v22, v5, s[0:1]
	v_min_f32_e32 v9, 0x7cf0bdc2, v9
	v_fma_f32 v13, -v21, v8, 1.0
	v_fmac_f32_e32 v8, v13, v8
	v_mul_f32_e32 v13, v28, v8
	v_fma_f32 v14, -v21, v13, v28
	v_fmac_f32_e32 v13, v14, v8
	v_fma_f32 v14, -v21, v13, v28
	v_div_fmas_f32 v8, v14, v8, v13
	v_mul_f32_e32 v13, v20, v18
	v_div_scale_f32 v14, s[0:1], v13, v13, 1.0
	s_waitcnt vmcnt(9)
	v_mul_f32_e32 v9, v26, v9
	global_store_dword v[4:5], v9, off
	v_div_scale_f32 v9, vcc, 1.0, v13, 1.0
	v_add_co_u32_e64 v4, s[0:1], s12, v6
	v_mul_f32_e32 v6, v32, v23
	v_addc_co_u32_e64 v5, s[0:1], v22, v7, s[0:1]
	v_div_scale_f32 v7, s[0:1], v6, v6, 1.0
	v_mul_f32_e32 v15, v18, v18
	v_div_fixup_f32 v8, v8, v17, 1.0
	v_div_scale_f32 v16, s[0:1], 1.0, v6, 1.0
	v_mul_f32_e32 v8, v15, v8
	v_rcp_f32_e32 v15, v14
	v_min_f32_e32 v8, 0x7cf0bdc2, v8
	s_waitcnt vmcnt(9)
	v_mul_f32_e32 v17, v31, v8
	global_store_dword v[4:5], v17, off
	v_fma_f32 v4, -v14, v15, 1.0
	v_fmac_f32_e32 v15, v4, v15
	v_mul_f32_e32 v4, v9, v15
	v_fma_f32 v5, -v14, v4, v9
	v_fmac_f32_e32 v4, v5, v15
	v_fma_f32 v5, -v14, v4, v9
	v_rcp_f32_e32 v9, v7
	v_div_fmas_f32 v4, v5, v15, v4
	s_waitcnt vmcnt(9)
	v_mul_f32_e32 v5, v30, v8
	s_mov_b64 vcc, s[0:1]
	v_fma_f32 v8, -v7, v9, 1.0
	v_fmac_f32_e32 v9, v8, v9
	v_mul_f32_e32 v8, v16, v9
	v_fma_f32 v14, -v7, v8, v16
	v_fmac_f32_e32 v8, v14, v9
	v_fma_f32 v7, -v7, v8, v16
	v_div_fmas_f32 v7, v7, v9, v8
	v_add_co_u32_e32 v2, vcc, s12, v2
	v_addc_co_u32_e32 v3, vcc, v22, v3, vcc
	global_store_dword v[2:3], v5, off
	v_mul_f32_e32 v5, v24, v19
	v_div_fixup_f32 v2, v4, v13, 1.0
	v_mul_f32_e32 v2, v5, v2
	v_min_f32_e32 v2, 0x7cf0bdc2, v2
	s_waitcnt vmcnt(5)
	v_mul_f32_e32 v4, v25, v2
	v_add_co_u32_e32 v2, vcc, s12, v10
	v_addc_co_u32_e32 v3, vcc, v22, v11, vcc
	global_store_dword v[2:3], v4, off
	v_div_fixup_f32 v2, v7, v6, 1.0
	v_mul_f32_e32 v2, v5, v2
	v_min_f32_e32 v2, 0x7cf0bdc2, v2
	v_add_co_u32_e32 v0, vcc, s12, v0
	s_waitcnt vmcnt(5)
	v_mul_f32_e32 v2, v12, v2
	v_addc_co_u32_e32 v1, vcc, v22, v1, vcc
	global_store_dword v[0:1], v2, off
	s_endpgm
	.section	.rodata,"a",@progbits
	.p2align	6, 0x0
	.amdhsa_kernel _Z12ratt2_kernelIfEvPKT_S2_PS0_S2_S0_
		.amdhsa_group_segment_fixed_size 0
		.amdhsa_private_segment_fixed_size 0
		.amdhsa_kernarg_size 296
		.amdhsa_user_sgpr_count 6
		.amdhsa_user_sgpr_private_segment_buffer 1
		.amdhsa_user_sgpr_dispatch_ptr 0
		.amdhsa_user_sgpr_queue_ptr 0
		.amdhsa_user_sgpr_kernarg_segment_ptr 1
		.amdhsa_user_sgpr_dispatch_id 0
		.amdhsa_user_sgpr_flat_scratch_init 0
		.amdhsa_user_sgpr_private_segment_size 0
		.amdhsa_uses_dynamic_stack 0
		.amdhsa_system_sgpr_private_segment_wavefront_offset 0
		.amdhsa_system_sgpr_workgroup_id_x 1
		.amdhsa_system_sgpr_workgroup_id_y 0
		.amdhsa_system_sgpr_workgroup_id_z 0
		.amdhsa_system_sgpr_workgroup_info 0
		.amdhsa_system_vgpr_workitem_id 0
		.amdhsa_next_free_vgpr 48
		.amdhsa_next_free_sgpr 16
		.amdhsa_reserve_vcc 1
		.amdhsa_reserve_flat_scratch 0
		.amdhsa_float_round_mode_32 0
		.amdhsa_float_round_mode_16_64 0
		.amdhsa_float_denorm_mode_32 3
		.amdhsa_float_denorm_mode_16_64 3
		.amdhsa_dx10_clamp 1
		.amdhsa_ieee_mode 1
		.amdhsa_fp16_overflow 0
		.amdhsa_exception_fp_ieee_invalid_op 0
		.amdhsa_exception_fp_denorm_src 0
		.amdhsa_exception_fp_ieee_div_zero 0
		.amdhsa_exception_fp_ieee_overflow 0
		.amdhsa_exception_fp_ieee_underflow 0
		.amdhsa_exception_fp_ieee_inexact 0
		.amdhsa_exception_int_div_zero 0
	.end_amdhsa_kernel
	.section	.text._Z12ratt2_kernelIfEvPKT_S2_PS0_S2_S0_,"axG",@progbits,_Z12ratt2_kernelIfEvPKT_S2_PS0_S2_S0_,comdat
.Lfunc_end3:
	.size	_Z12ratt2_kernelIfEvPKT_S2_PS0_S2_S0_, .Lfunc_end3-_Z12ratt2_kernelIfEvPKT_S2_PS0_S2_S0_
                                        ; -- End function
	.set _Z12ratt2_kernelIfEvPKT_S2_PS0_S2_S0_.num_vgpr, 48
	.set _Z12ratt2_kernelIfEvPKT_S2_PS0_S2_S0_.num_agpr, 0
	.set _Z12ratt2_kernelIfEvPKT_S2_PS0_S2_S0_.numbered_sgpr, 16
	.set _Z12ratt2_kernelIfEvPKT_S2_PS0_S2_S0_.num_named_barrier, 0
	.set _Z12ratt2_kernelIfEvPKT_S2_PS0_S2_S0_.private_seg_size, 0
	.set _Z12ratt2_kernelIfEvPKT_S2_PS0_S2_S0_.uses_vcc, 1
	.set _Z12ratt2_kernelIfEvPKT_S2_PS0_S2_S0_.uses_flat_scratch, 0
	.set _Z12ratt2_kernelIfEvPKT_S2_PS0_S2_S0_.has_dyn_sized_stack, 0
	.set _Z12ratt2_kernelIfEvPKT_S2_PS0_S2_S0_.has_recursion, 0
	.set _Z12ratt2_kernelIfEvPKT_S2_PS0_S2_S0_.has_indirect_call, 0
	.section	.AMDGPU.csdata,"",@progbits
; Kernel info:
; codeLenInByte = 3432
; TotalNumSgprs: 20
; NumVgprs: 48
; ScratchSize: 0
; MemoryBound: 0
; FloatMode: 240
; IeeeMode: 1
; LDSByteSize: 0 bytes/workgroup (compile time only)
; SGPRBlocks: 2
; VGPRBlocks: 11
; NumSGPRsForWavesPerEU: 20
; NumVGPRsForWavesPerEU: 48
; Occupancy: 5
; WaveLimiterHint : 0
; COMPUTE_PGM_RSRC2:SCRATCH_EN: 0
; COMPUTE_PGM_RSRC2:USER_SGPR: 6
; COMPUTE_PGM_RSRC2:TRAP_HANDLER: 0
; COMPUTE_PGM_RSRC2:TGID_X_EN: 1
; COMPUTE_PGM_RSRC2:TGID_Y_EN: 0
; COMPUTE_PGM_RSRC2:TGID_Z_EN: 0
; COMPUTE_PGM_RSRC2:TIDIG_COMP_CNT: 0
	.section	.text._Z12ratt3_kernelIfEvPKT_S2_PS0_S2_S0_,"axG",@progbits,_Z12ratt3_kernelIfEvPKT_S2_PS0_S2_S0_,comdat
	.protected	_Z12ratt3_kernelIfEvPKT_S2_PS0_S2_S0_ ; -- Begin function _Z12ratt3_kernelIfEvPKT_S2_PS0_S2_S0_
	.globl	_Z12ratt3_kernelIfEvPKT_S2_PS0_S2_S0_
	.p2align	8
	.type	_Z12ratt3_kernelIfEvPKT_S2_PS0_S2_S0_,@function
_Z12ratt3_kernelIfEvPKT_S2_PS0_S2_S0_:  ; @_Z12ratt3_kernelIfEvPKT_S2_PS0_S2_S0_
; %bb.0:
	s_load_dword s0, s[4:5], 0x34
	s_load_dwordx8 s[8:15], s[4:5], 0x0
	v_mov_b32_e32 v1, 0
	v_mov_b32_e32 v9, v1
	;; [unrolled: 1-line block ×3, first 2 shown]
	s_waitcnt lgkmcnt(0)
	s_and_b32 s1, s0, 0xffff
	s_mul_i32 s6, s6, s1
	v_add_u32_e32 v0, s6, v0
	v_lshlrev_b64 v[6:7], 2, v[0:1]
	v_mov_b32_e32 v3, s9
	v_add_co_u32_e32 v2, vcc, s8, v6
	v_addc_co_u32_e32 v3, vcc, v3, v7, vcc
	global_load_dword v4, v[2:3], off
	s_load_dword s0, s[4:5], 0x20
	s_load_dword s2, s[4:5], 0x28
	v_mov_b32_e32 v3, v1
	v_mov_b32_e32 v27, s15
	;; [unrolled: 1-line block ×4, first 2 shown]
	s_waitcnt lgkmcnt(0)
	s_mul_i32 s4, s2, s1
	s_lshl_b32 s1, s4, 1
	v_add_u32_e32 v2, s1, v0
	v_mad_u64_u32 v[15:16], s[2:3], s4, 5, v[2:3]
	v_lshlrev_b64 v[13:14], 2, v[2:3]
	v_mov_b32_e32 v16, v1
	v_add_co_u32_e32 v2, vcc, s14, v13
	v_addc_co_u32_e32 v3, vcc, v27, v14, vcc
	v_lshlrev_b64 v[13:14], 2, v[15:16]
	v_mad_u64_u32 v[15:16], s[2:3], s4, -3, v[15:16]
	s_mul_i32 s5, s4, 19
	v_mov_b32_e32 v16, v1
	v_add_u32_e32 v8, s1, v15
	v_lshlrev_b64 v[20:21], 2, v[8:9]
	v_add_u32_e32 v9, s5, v8
	v_add_co_u32_e32 v18, vcc, s14, v13
	v_lshlrev_b64 v[16:17], 2, v[15:16]
	v_addc_co_u32_e32 v19, vcc, v27, v14, vcc
	v_add_co_u32_e32 v14, vcc, s14, v16
	v_addc_co_u32_e32 v15, vcc, v27, v17, vcc
	s_mul_i32 s6, s4, 0xffffffec
	v_lshlrev_b64 v[22:23], 2, v[9:10]
	v_add_u32_e32 v11, s6, v9
	v_mov_b32_e32 v24, s13
	v_lshlrev_b64 v[9:10], 2, v[11:12]
	global_load_dword v12, v[14:15], off
	v_add_u32_e32 v0, s4, v0
	s_mul_i32 s6, s4, 28
	s_waitcnt vmcnt(1)
	v_mul_f32_e32 v4, s0, v4
	v_mul_f32_e32 v8, 0x4c9e9632, v4
	v_div_scale_f32 v13, s[0:1], v8, v8, 1.0
	v_add_co_u32_e32 v4, vcc, s14, v20
	v_addc_co_u32_e32 v5, vcc, v27, v21, vcc
	v_div_scale_f32 v26, vcc, 1.0, v8, 1.0
	v_add_co_u32_e64 v20, s[0:1], s10, v22
	v_add_co_u32_e64 v22, s[2:3], s12, v22
	v_addc_co_u32_e64 v21, s[0:1], v25, v23, s[0:1]
	v_addc_co_u32_e64 v23, s[0:1], v24, v23, s[2:3]
	v_rcp_f32_e32 v28, v13
	v_add_co_u32_e64 v16, s[0:1], s14, v9
	v_addc_co_u32_e64 v17, s[0:1], v27, v10, s[0:1]
	v_fma_f32 v9, -v13, v28, 1.0
	v_fmac_f32_e32 v28, v9, v28
	v_mul_f32_e32 v9, v26, v28
	v_fma_f32 v10, -v13, v9, v26
	v_fmac_f32_e32 v9, v10, v28
	global_load_dword v10, v[4:5], off
	v_fma_f32 v13, -v13, v9, v26
	v_div_fmas_f32 v9, v13, v28, v9
	v_div_fixup_f32 v8, v9, v8, 1.0
	s_waitcnt vmcnt(0)
	v_mul_f32_e32 v13, v12, v10
	v_div_scale_f32 v26, s[0:1], v13, v13, 1.0
	v_rcp_f32_e32 v28, v26
	v_fma_f32 v29, -v26, v28, 1.0
	v_fmac_f32_e32 v28, v29, v28
	v_div_scale_f32 v29, vcc, 1.0, v13, 1.0
	v_mul_f32_e32 v30, v29, v28
	v_fma_f32 v31, -v26, v30, v29
	v_fmac_f32_e32 v30, v31, v28
	v_fma_f32 v26, -v26, v30, v29
	v_div_fmas_f32 v26, v26, v28, v30
	global_load_dword v29, v[18:19], off
	global_load_dword v28, v[2:3], off
	;; [unrolled: 1-line block ×3, first 2 shown]
	v_mad_u64_u32 v[18:19], s[0:1], s4, 21, v[11:12]
	v_mov_b32_e32 v19, v1
	v_lshlrev_b64 v[19:20], 2, v[18:19]
	v_add_co_u32_e32 v21, vcc, s10, v19
	v_add_co_u32_e64 v19, s[0:1], s12, v19
	v_div_fixup_f32 v13, v26, v13, 1.0
	s_waitcnt vmcnt(1)
	v_mul_f32_e32 v11, v28, v29
	v_mul_f32_e32 v11, v11, v13
	v_min_f32_e32 v11, 0x7cf0bdc2, v11
	s_waitcnt vmcnt(0)
	v_mul_f32_e32 v11, v30, v11
	global_load_dword v30, v[16:17], off
	s_nop 0
	global_store_dword v[22:23], v11, off
	v_addc_co_u32_e32 v22, vcc, v25, v20, vcc
	v_addc_co_u32_e64 v20, vcc, v24, v20, s[0:1]
	s_waitcnt vmcnt(1)
	v_mul_f32_e32 v11, v10, v30
	v_div_scale_f32 v13, s[0:1], v11, v11, 1.0
	v_rcp_f32_e32 v23, v13
	v_fma_f32 v26, -v13, v23, 1.0
	v_fmac_f32_e32 v23, v26, v23
	v_div_scale_f32 v26, vcc, 1.0, v11, 1.0
	v_mul_f32_e32 v31, v26, v23
	v_fma_f32 v32, -v13, v31, v26
	v_fmac_f32_e32 v31, v32, v23
	v_fma_f32 v13, -v13, v31, v26
	global_load_dword v26, v[21:22], off
	v_div_fmas_f32 v13, v13, v23, v31
	v_add_u32_e32 v21, s4, v18
	v_mov_b32_e32 v22, v1
	v_mul_f32_e32 v18, v29, v12
	v_lshlrev_b64 v[22:23], 2, v[21:22]
	v_mad_u64_u32 v[31:32], s[0:1], s4, -14, v[21:22]
	v_mov_b32_e32 v32, v1
	v_div_fixup_f32 v11, v13, v11, 1.0
	v_mul_f32_e32 v11, v18, v11
	v_min_f32_e32 v11, 0x7cf0bdc2, v11
	v_add_co_u32_e32 v18, vcc, s10, v22
	s_waitcnt vmcnt(0)
	v_mul_f32_e32 v13, v26, v11
	global_store_dword v[19:20], v13, off
	v_addc_co_u32_e32 v19, vcc, v25, v23, vcc
	global_load_dword v13, v[18:19], off
	v_add_co_u32_e32 v18, vcc, s12, v22
	v_addc_co_u32_e32 v19, vcc, v24, v23, vcc
	v_add_u32_e32 v22, s4, v31
	v_mov_b32_e32 v23, v1
	s_waitcnt vmcnt(0)
	v_mul_f32_e32 v11, v13, v11
	global_store_dword v[18:19], v11, off
	v_lshlrev_b64 v[18:19], 2, v[31:32]
	v_add_co_u32_e32 v20, vcc, s14, v18
	v_addc_co_u32_e32 v21, vcc, v27, v19, vcc
	v_lshlrev_b64 v[18:19], 2, v[22:23]
	v_add_co_u32_e32 v18, vcc, s14, v18
	v_addc_co_u32_e32 v19, vcc, v27, v19, vcc
	global_load_dword v29, v[18:19], off
	s_waitcnt vmcnt(0)
	v_div_scale_f32 v11, s[0:1], v29, v29, 1.0
	s_mul_i32 s0, s4, 14
	v_add_u32_e32 v22, s0, v22
	s_mul_i32 s1, s4, -13
	v_rcp_f32_e32 v13, v11
	v_fma_f32 v23, -v11, v13, 1.0
	v_fmac_f32_e32 v13, v23, v13
	v_div_scale_f32 v23, vcc, 1.0, v29, 1.0
	v_mul_f32_e32 v26, v23, v13
	v_fma_f32 v31, -v11, v26, v23
	v_fmac_f32_e32 v26, v31, v13
	v_fma_f32 v11, -v11, v26, v23
	v_mov_b32_e32 v23, v1
	v_lshlrev_b64 v[22:23], 2, v[22:23]
	v_div_fmas_f32 v11, v11, v13, v26
	v_add_co_u32_e32 v31, vcc, s10, v22
	v_addc_co_u32_e32 v32, vcc, v25, v23, vcc
	global_load_dword v9, v[31:32], off
	v_mul_f32_e32 v26, 0x49776020, v8
	global_load_dword v31, v[20:21], off
	v_add_co_u32_e32 v22, vcc, s12, v22
	v_addc_co_u32_e32 v23, vcc, v24, v23, vcc
	v_div_fixup_f32 v11, v11, v29, 1.0
	s_waitcnt vmcnt(0)
	v_mul_f32_e32 v8, v28, v31
	v_mul_f32_e32 v8, v26, v8
	;; [unrolled: 1-line block ×3, first 2 shown]
	v_min_f32_e32 v8, 0x7cf0bdc2, v8
	v_mul_f32_e32 v8, v9, v8
	global_store_dword v[22:23], v8, off
	v_lshlrev_b64 v[8:9], 2, v[0:1]
	v_add_u32_e32 v0, s6, v0
	v_add_co_u32_e32 v22, vcc, s14, v8
	v_addc_co_u32_e32 v23, vcc, v27, v9, vcc
	global_load_dword v34, v[22:23], off
	v_mul_f32_e32 v10, v10, v31
	s_waitcnt vmcnt(0)
	v_mul_f32_e32 v11, v29, v34
	v_div_scale_f32 v8, s[2:3], v11, v11, 1.0
	v_rcp_f32_e32 v9, v8
	v_fma_f32 v13, -v8, v9, 1.0
	v_fmac_f32_e32 v9, v13, v9
	v_div_scale_f32 v13, vcc, 1.0, v11, 1.0
	v_mul_f32_e32 v32, v13, v9
	v_fma_f32 v33, -v8, v32, v13
	v_fmac_f32_e32 v32, v33, v9
	v_fma_f32 v8, -v8, v32, v13
	v_div_fmas_f32 v13, v8, v9, v32
	v_lshlrev_b64 v[8:9], 2, v[0:1]
	v_add_u32_e32 v0, s1, v0
	v_add_co_u32_e32 v32, vcc, s10, v8
	v_addc_co_u32_e32 v33, vcc, v25, v9, vcc
	global_load_dword v32, v[32:33], off
	v_add_co_u32_e32 v8, vcc, s12, v8
	v_addc_co_u32_e32 v9, vcc, v24, v9, vcc
	v_div_fixup_f32 v11, v13, v11, 1.0
	v_mul_f32_e32 v13, v12, v31
	v_mul_f32_e32 v11, v13, v11
	v_min_f32_e32 v11, 0x7cf0bdc2, v11
	s_waitcnt vmcnt(0)
	v_mul_f32_e32 v11, v32, v11
	global_store_dword v[8:9], v11, off
	v_lshlrev_b64 v[8:9], 2, v[0:1]
	v_add_u32_e32 v0, s0, v0
	v_add_co_u32_e32 v8, vcc, s14, v8
	v_addc_co_u32_e32 v9, vcc, v27, v9, vcc
	global_load_dword v36, v[8:9], off
	s_waitcnt vmcnt(0)
	v_div_scale_f32 v8, s[2:3], v36, v36, 1.0
	v_rcp_f32_e32 v9, v8
	v_fma_f32 v11, -v8, v9, 1.0
	v_fmac_f32_e32 v9, v11, v9
	v_div_scale_f32 v11, vcc, 1.0, v36, 1.0
	v_mul_f32_e32 v13, v11, v9
	v_fma_f32 v32, -v8, v13, v11
	v_fmac_f32_e32 v13, v32, v9
	v_fma_f32 v8, -v8, v13, v11
	v_div_fmas_f32 v11, v8, v9, v13
	v_add_co_u32_e32 v6, vcc, s14, v6
	v_addc_co_u32_e32 v7, vcc, v27, v7, vcc
	v_lshlrev_b64 v[8:9], 2, v[0:1]
	global_load_dword v39, v[6:7], off
	v_add_co_u32_e32 v32, vcc, s10, v8
	v_addc_co_u32_e32 v33, vcc, v25, v9, vcc
	global_load_dword v13, v[32:33], off
	v_add_co_u32_e32 v8, vcc, s12, v8
	v_addc_co_u32_e32 v9, vcc, v24, v9, vcc
	v_div_fixup_f32 v33, v11, v36, 1.0
	s_waitcnt vmcnt(1)
	v_mul_f32_e32 v32, v31, v39
	v_mul_f32_e32 v11, v26, v32
	;; [unrolled: 1-line block ×3, first 2 shown]
	v_min_f32_e32 v11, 0x7cf0bdc2, v11
	s_waitcnt vmcnt(0)
	v_mul_f32_e32 v11, v13, v11
	global_store_dword v[8:9], v11, off
	v_mul_f32_e32 v11, v28, v29
	v_div_scale_f32 v8, s[2:3], v11, v11, 1.0
	s_mul_i32 s2, s4, 0xffffffe5
	v_add_u32_e32 v0, s2, v0
	v_rcp_f32_e32 v9, v8
	v_fma_f32 v13, -v8, v9, 1.0
	v_fmac_f32_e32 v9, v13, v9
	v_div_scale_f32 v13, vcc, 1.0, v11, 1.0
	v_mul_f32_e32 v35, v13, v9
	v_fma_f32 v37, -v8, v35, v13
	v_fmac_f32_e32 v35, v37, v9
	v_fma_f32 v8, -v8, v35, v13
	v_div_fmas_f32 v13, v8, v9, v35
	v_lshlrev_b64 v[8:9], 2, v[0:1]
	v_add_u32_e32 v0, s6, v0
	v_add_co_u32_e32 v8, vcc, s14, v8
	v_lshlrev_b64 v[37:38], 2, v[0:1]
	v_addc_co_u32_e32 v9, vcc, v27, v9, vcc
	v_add_co_u32_e32 v40, vcc, s10, v37
	v_addc_co_u32_e32 v41, vcc, v25, v38, vcc
	v_add_co_u32_e32 v42, vcc, s12, v37
	v_addc_co_u32_e32 v43, vcc, v24, v38, vcc
	v_div_fixup_f32 v11, v13, v11, 1.0
	global_load_dword v13, v[40:41], off
	global_load_dword v37, v[8:9], off
	v_add_u32_e32 v0, s4, v0
	s_waitcnt vmcnt(0)
	v_mul_f32_e32 v35, v31, v37
	v_mul_f32_e32 v11, v11, v35
	v_min_f32_e32 v11, 0x7cf0bdc2, v11
	v_mul_f32_e32 v11, v13, v11
	global_store_dword v[42:43], v11, off
	v_mul_f32_e32 v11, v12, v29
	v_div_scale_f32 v13, s[2:3], v11, v11, 1.0
	s_mul_i32 s2, s4, 0xffffffe8
	v_rcp_f32_e32 v35, v13
	v_fma_f32 v38, -v13, v35, 1.0
	v_fmac_f32_e32 v35, v38, v35
	v_div_scale_f32 v38, vcc, 1.0, v11, 1.0
	v_mul_f32_e32 v40, v38, v35
	v_fma_f32 v41, -v13, v40, v38
	v_fmac_f32_e32 v40, v41, v35
	v_fma_f32 v13, -v13, v40, v38
	v_div_fmas_f32 v13, v13, v35, v40
	v_lshlrev_b64 v[40:41], 2, v[0:1]
	v_add_u32_e32 v0, s2, v0
	v_add_co_u32_e32 v42, vcc, s10, v40
	v_addc_co_u32_e32 v43, vcc, v25, v41, vcc
	global_load_dword v35, v[42:43], off
	v_add_co_u32_e32 v40, vcc, s12, v40
	v_addc_co_u32_e32 v41, vcc, v24, v41, vcc
	v_div_fixup_f32 v11, v13, v11, 1.0
	v_mul_f32_e32 v10, v10, v11
	v_min_f32_e32 v10, 0x7cf0bdc2, v10
	v_mul_f32_e32 v13, v31, v34
	s_waitcnt vmcnt(0)
	v_mul_f32_e32 v10, v10, v35
	v_div_scale_f32 v35, s[2:3], v13, v13, 1.0
	global_store_dword v[40:41], v10, off
	v_lshlrev_b64 v[10:11], 2, v[0:1]
	v_add_co_u32_e32 v10, vcc, s14, v10
	v_addc_co_u32_e32 v11, vcc, v27, v11, vcc
	v_rcp_f32_e32 v38, v35
	v_fma_f32 v40, -v35, v38, 1.0
	v_fmac_f32_e32 v38, v40, v38
	v_div_scale_f32 v40, vcc, 1.0, v13, 1.0
	v_mul_f32_e32 v41, v40, v38
	v_fma_f32 v42, -v35, v41, v40
	v_fmac_f32_e32 v41, v42, v38
	v_fma_f32 v35, -v35, v41, v40
	v_div_fmas_f32 v35, v35, v38, v41
	v_mad_u64_u32 v[40:41], s[2:3], s4, 25, v[0:1]
	v_mov_b32_e32 v41, v1
	s_mul_i32 s2, s4, 0xffffffee
	v_lshlrev_b64 v[41:42], 2, v[40:41]
	v_add_co_u32_e32 v43, vcc, s10, v41
	v_addc_co_u32_e32 v44, vcc, v25, v42, vcc
	global_load_dword v38, v[10:11], off
	global_load_dword v0, v[43:44], off
	v_add_co_u32_e32 v41, vcc, s12, v41
	v_addc_co_u32_e32 v42, vcc, v24, v42, vcc
	v_div_fixup_f32 v10, v35, v13, 1.0
	s_waitcnt vmcnt(1)
	v_mul_f32_e32 v11, v28, v38
	v_mul_f32_e32 v10, v10, v11
	v_min_f32_e32 v10, 0x7cf0bdc2, v10
	s_waitcnt vmcnt(0)
	v_mul_f32_e32 v0, v0, v10
	global_store_dword v[41:42], v0, off
	v_add_u32_e32 v0, s2, v40
	v_lshlrev_b64 v[10:11], 2, v[0:1]
	v_add_u32_e32 v0, s5, v0
	v_add_co_u32_e32 v10, vcc, s14, v10
	v_addc_co_u32_e32 v11, vcc, v27, v11, vcc
	global_load_dword v40, v[10:11], off
	v_mul_f32_e32 v12, v12, v38
	v_mul_f32_e32 v39, v39, v38
	;; [unrolled: 1-line block ×4, first 2 shown]
	s_waitcnt vmcnt(0)
	v_mul_f32_e32 v35, v34, v40
	v_div_scale_f32 v13, s[2:3], v35, v35, 1.0
	s_mul_i32 s2, s4, 0xffffffe7
	v_mul_f32_e32 v28, v28, v40
	v_rcp_f32_e32 v41, v13
	v_fma_f32 v42, -v13, v41, 1.0
	v_fmac_f32_e32 v41, v42, v41
	v_div_scale_f32 v42, vcc, 1.0, v35, 1.0
	v_mul_f32_e32 v43, v42, v41
	v_fma_f32 v44, -v13, v43, v42
	v_fmac_f32_e32 v43, v44, v41
	v_fma_f32 v13, -v13, v43, v42
	v_div_fmas_f32 v13, v13, v41, v43
	v_lshlrev_b64 v[41:42], 2, v[0:1]
	v_add_u32_e32 v0, s2, v0
	v_add_co_u32_e32 v43, vcc, s10, v41
	v_addc_co_u32_e32 v44, vcc, v25, v42, vcc
	global_load_dword v43, v[43:44], off
	v_add_co_u32_e32 v41, vcc, s12, v41
	v_addc_co_u32_e32 v42, vcc, v24, v42, vcc
	v_div_fixup_f32 v13, v13, v35, 1.0
	v_mul_f32_e32 v12, v12, v13
	v_min_f32_e32 v12, 0x7cf0bdc2, v12
	s_waitcnt vmcnt(0)
	v_mul_f32_e32 v12, v43, v12
	global_store_dword v[41:42], v12, off
	v_lshlrev_b64 v[12:13], 2, v[0:1]
	v_add_co_u32_e32 v12, vcc, s14, v12
	v_addc_co_u32_e32 v13, vcc, v27, v13, vcc
	global_load_dword v41, v[12:13], off
	s_waitcnt vmcnt(0)
	v_mul_f32_e32 v46, v34, v41
	v_div_scale_f32 v41, s[2:3], v46, v46, 1.0
	v_mul_f32_e32 v34, v34, v36
	v_rcp_f32_e32 v42, v41
	v_fma_f32 v43, -v41, v42, 1.0
	v_fmac_f32_e32 v42, v43, v42
	v_div_scale_f32 v43, vcc, 1.0, v46, 1.0
	v_mul_f32_e32 v44, v43, v42
	v_fma_f32 v45, -v41, v44, v43
	v_fmac_f32_e32 v44, v45, v42
	v_fma_f32 v41, -v41, v44, v43
	v_div_fmas_f32 v47, v41, v42, v44
	v_mad_u64_u32 v[41:42], s[2:3], s4, 26, v[0:1]
	v_mov_b32_e32 v42, v1
	v_lshlrev_b64 v[42:43], 2, v[41:42]
	v_add_co_u32_e32 v44, vcc, s10, v42
	v_addc_co_u32_e32 v45, vcc, v25, v43, vcc
	global_load_dword v0, v[44:45], off
	v_add_co_u32_e32 v42, vcc, s12, v42
	v_addc_co_u32_e32 v43, vcc, v24, v43, vcc
	v_div_fixup_f32 v44, v47, v46, 1.0
	v_mul_f32_e32 v39, v39, v44
	v_min_f32_e32 v39, 0x7cf0bdc2, v39
	s_waitcnt vmcnt(0)
	v_mul_f32_e32 v0, v0, v39
	global_store_dword v[42:43], v0, off
	v_div_scale_f32 v0, s[2:3], v34, v34, 1.0
	v_rcp_f32_e32 v36, v0
	v_fma_f32 v39, -v0, v36, 1.0
	v_fmac_f32_e32 v36, v39, v36
	v_div_scale_f32 v39, vcc, 1.0, v34, 1.0
	v_mul_f32_e32 v42, v39, v36
	v_fma_f32 v43, -v0, v42, v39
	v_fmac_f32_e32 v42, v43, v36
	v_fma_f32 v0, -v0, v42, v39
	v_div_fmas_f32 v36, v0, v36, v42
	v_add_u32_e32 v0, s4, v41
	v_lshlrev_b64 v[41:42], 2, v[0:1]
	v_add_u32_e32 v0, s4, v0
	v_add_co_u32_e32 v43, vcc, s10, v41
	v_addc_co_u32_e32 v44, vcc, v25, v42, vcc
	global_load_dword v39, v[43:44], off
	v_add_co_u32_e32 v41, vcc, s12, v41
	v_addc_co_u32_e32 v42, vcc, v24, v42, vcc
	v_div_fixup_f32 v34, v36, v34, 1.0
	v_mul_f32_e32 v30, v34, v30
	v_min_f32_e32 v30, 0x7cf0bdc2, v30
	s_waitcnt vmcnt(0)
	v_mul_f32_e32 v30, v30, v39
	global_store_dword v[41:42], v30, off
	v_div_scale_f32 v30, s[2:3], v28, v28, 1.0
	v_rcp_f32_e32 v34, v30
	v_fma_f32 v36, -v30, v34, 1.0
	v_fmac_f32_e32 v34, v36, v34
	v_div_scale_f32 v36, vcc, 1.0, v28, 1.0
	v_mul_f32_e32 v39, v36, v34
	v_fma_f32 v41, -v30, v39, v36
	v_fmac_f32_e32 v39, v41, v34
	v_lshlrev_b64 v[41:42], 2, v[0:1]
	v_fma_f32 v30, -v30, v39, v36
	v_div_fmas_f32 v30, v30, v34, v39
	v_add_co_u32_e32 v43, vcc, s10, v41
	v_addc_co_u32_e32 v44, vcc, v25, v42, vcc
	global_load_dword v34, v[43:44], off
	v_add_u32_e32 v0, s1, v0
	v_add_co_u32_e32 v41, vcc, s12, v41
	v_addc_co_u32_e32 v42, vcc, v24, v42, vcc
	v_div_fixup_f32 v28, v30, v28, 1.0
	v_mul_f32_e32 v30, v37, v38
	v_lshlrev_b64 v[36:37], 2, v[0:1]
	v_mul_f32_e32 v28, v30, v28
	v_min_f32_e32 v28, 0x7cf0bdc2, v28
	v_add_co_u32_e32 v36, vcc, s14, v36
	v_addc_co_u32_e32 v37, vcc, v27, v37, vcc
	v_add_u32_e32 v0, s0, v0
	s_waitcnt vmcnt(0)
	v_mul_f32_e32 v28, v28, v34
	global_store_dword v[41:42], v28, off
	global_load_dword v28, v[36:37], off
	s_waitcnt vmcnt(0)
	v_div_scale_f32 v30, s[2:3], v28, v28, 1.0
	v_rcp_f32_e32 v34, v30
	v_fma_f32 v36, -v30, v34, 1.0
	v_fmac_f32_e32 v34, v36, v34
	v_div_scale_f32 v36, vcc, 1.0, v28, 1.0
	v_mul_f32_e32 v37, v36, v34
	v_fma_f32 v39, -v30, v37, v36
	v_fmac_f32_e32 v37, v39, v34
	v_fma_f32 v30, -v30, v37, v36
	v_div_fmas_f32 v30, v30, v34, v37
	v_lshlrev_b64 v[36:37], 2, v[0:1]
	v_add_u32_e32 v0, s4, v0
	v_add_co_u32_e32 v41, vcc, s10, v36
	v_addc_co_u32_e32 v42, vcc, v25, v37, vcc
	global_load_dword v34, v[41:42], off
	v_add_co_u32_e32 v36, vcc, s12, v36
	v_addc_co_u32_e32 v37, vcc, v24, v37, vcc
	v_div_fixup_f32 v28, v30, v28, 1.0
	v_mul_f32_e32 v30, v31, v38
	v_mul_f32_e32 v30, v26, v30
	v_mul_f32_e32 v28, v30, v28
	v_min_f32_e32 v28, 0x7cf0bdc2, v28
	s_waitcnt vmcnt(0)
	v_mul_f32_e32 v28, v34, v28
	global_store_dword v[36:37], v28, off
	v_mul_f32_e32 v28, v31, v40
	v_div_scale_f32 v30, s[0:1], v28, v28, 1.0
	v_rcp_f32_e32 v31, v30
	v_fma_f32 v34, -v30, v31, 1.0
	v_fmac_f32_e32 v31, v34, v31
	v_div_scale_f32 v34, vcc, 1.0, v28, 1.0
	v_mul_f32_e32 v36, v34, v31
	v_fma_f32 v37, -v30, v36, v34
	v_fmac_f32_e32 v36, v37, v31
	v_fma_f32 v30, -v30, v36, v34
	v_div_fmas_f32 v34, v30, v31, v36
	v_lshlrev_b64 v[30:31], 2, v[0:1]
	v_add_u32_e32 v0, s4, v0
	v_add_co_u32_e32 v36, vcc, s10, v30
	v_addc_co_u32_e32 v37, vcc, v25, v31, vcc
	global_load_dword v36, v[36:37], off
	v_add_co_u32_e32 v30, vcc, s12, v30
	v_addc_co_u32_e32 v31, vcc, v24, v31, vcc
	v_div_fixup_f32 v28, v34, v28, 1.0
	v_mul_f32_e32 v28, v29, v28
	v_min_f32_e32 v28, 0x7cf0bdc2, v28
	s_waitcnt vmcnt(0)
	v_mul_f32_e32 v28, v28, v36
	global_store_dword v[30:31], v28, off
	v_lshlrev_b64 v[28:29], 2, v[0:1]
	v_add_u32_e32 v0, s4, v0
	v_add_co_u32_e32 v30, vcc, s10, v28
	v_addc_co_u32_e32 v31, vcc, v25, v29, vcc
	global_load_dword v30, v[30:31], off
	v_mul_f32_e32 v31, v26, v35
	v_mul_f32_e32 v31, v33, v31
	v_add_co_u32_e32 v28, vcc, s12, v28
	v_min_f32_e32 v31, 0x7cf0bdc2, v31
	v_addc_co_u32_e32 v29, vcc, v24, v29, vcc
	s_waitcnt vmcnt(0)
	v_mul_f32_e32 v30, v31, v30
	global_store_dword v[28:29], v30, off
	v_div_scale_f32 v28, s[0:1], v32, v32, 1.0
	v_rcp_f32_e32 v29, v28
	v_fma_f32 v30, -v28, v29, 1.0
	v_fmac_f32_e32 v29, v30, v29
	v_div_scale_f32 v30, vcc, 1.0, v32, 1.0
	v_mul_f32_e32 v31, v30, v29
	v_fma_f32 v33, -v28, v31, v30
	v_fmac_f32_e32 v31, v33, v29
	v_fma_f32 v28, -v28, v31, v30
	v_div_fmas_f32 v36, v28, v29, v31
	v_lshlrev_b64 v[28:29], 2, v[0:1]
	v_add_u32_e32 v0, s4, v0
	v_add_co_u32_e32 v30, vcc, s10, v28
	v_addc_co_u32_e32 v31, vcc, v25, v29, vcc
	v_add_co_u32_e32 v33, vcc, s12, v28
	v_addc_co_u32_e32 v34, vcc, v24, v29, vcc
	global_load_dword v29, v[30:31], off
	global_load_dword v28, v[14:15], off
	s_nop 0
	global_load_dword v21, v[20:21], off
	v_div_fixup_f32 v14, v36, v32, 1.0
	v_mul_f32_e32 v14, v14, v35
	v_min_f32_e32 v14, 0x7cf0bdc2, v14
	s_waitcnt vmcnt(2)
	v_mul_f32_e32 v14, v14, v29
	global_store_dword v[33:34], v14, off
	s_waitcnt vmcnt(1)
	v_mul_f32_e32 v20, v28, v21
	v_div_scale_f32 v14, s[0:1], v20, v20, 1.0
	v_rcp_f32_e32 v15, v14
	v_fma_f32 v29, -v14, v15, 1.0
	v_fmac_f32_e32 v15, v29, v15
	v_div_scale_f32 v29, vcc, 1.0, v20, 1.0
	v_mul_f32_e32 v30, v29, v15
	v_fma_f32 v31, -v14, v30, v29
	v_fmac_f32_e32 v30, v31, v15
	v_fma_f32 v14, -v14, v30, v29
	v_div_fmas_f32 v31, v14, v15, v30
	v_lshlrev_b64 v[14:15], 2, v[0:1]
	v_add_u32_e32 v0, s4, v0
	v_add_co_u32_e32 v29, vcc, s10, v14
	v_addc_co_u32_e32 v30, vcc, v25, v15, vcc
	v_add_co_u32_e32 v14, vcc, s12, v14
	v_addc_co_u32_e32 v15, vcc, v24, v15, vcc
	v_div_fixup_f32 v31, v31, v20, 1.0
	global_load_dword v29, v[29:30], off
	s_nop 0
	global_load_dword v20, v[22:23], off
	global_load_dword v30, v[18:19], off
                                        ; kill: killed $vgpr22 killed $vgpr23
                                        ; kill: killed $vgpr18 killed $vgpr19
	s_nop 0
	global_load_dword v19, v[2:3], off
	global_load_dword v18, v[10:11], off
	s_waitcnt vmcnt(2)
	v_mul_f32_e32 v33, v20, v30
	global_load_dword v16, v[16:17], off
	s_waitcnt vmcnt(1)
	v_mul_f32_e32 v19, v19, v18
	v_mul_f32_e32 v22, v19, v31
	v_min_f32_e32 v22, 0x7cf0bdc2, v22
	v_mul_f32_e32 v22, v29, v22
	global_store_dword v[14:15], v22, off
	v_div_scale_f32 v14, s[0:1], v33, v33, 1.0
	global_load_dword v12, v[12:13], off
	v_rcp_f32_e32 v15, v14
	v_fma_f32 v22, -v14, v15, 1.0
	v_fmac_f32_e32 v15, v22, v15
	v_div_scale_f32 v22, vcc, 1.0, v33, 1.0
	v_mul_f32_e32 v23, v22, v15
	v_fma_f32 v29, -v14, v23, v22
	v_fmac_f32_e32 v23, v29, v15
	v_fma_f32 v14, -v14, v23, v22
	v_div_fmas_f32 v34, v14, v15, v23
	v_lshlrev_b64 v[14:15], 2, v[0:1]
	v_add_u32_e32 v0, s4, v0
	v_add_co_u32_e32 v29, vcc, s10, v14
	v_addc_co_u32_e32 v30, vcc, v25, v15, vcc
	v_add_co_u32_e32 v14, vcc, s12, v14
	v_addc_co_u32_e32 v15, vcc, v24, v15, vcc
	global_load_dword v30, v[29:30], off
	s_waitcnt vmcnt(3)
	v_mul_f32_e32 v22, v16, v21
	v_div_scale_f32 v16, s[0:1], v22, v22, 1.0
	s_mul_i32 s0, s4, 0xffffffdd
	v_rcp_f32_e32 v17, v16
	v_fma_f32 v23, -v16, v17, 1.0
	v_fmac_f32_e32 v17, v23, v17
	v_div_scale_f32 v23, vcc, 1.0, v22, 1.0
	v_mul_f32_e32 v31, v23, v17
	v_fma_f32 v32, -v16, v31, v23
	v_fmac_f32_e32 v31, v32, v17
	v_fma_f32 v16, -v16, v31, v23
	v_div_fmas_f32 v23, v16, v17, v31
	v_lshlrev_b64 v[16:17], 2, v[0:1]
	v_add_u32_e32 v0, s4, v0
	v_add_co_u32_e32 v31, vcc, s10, v16
	v_addc_co_u32_e32 v32, vcc, v25, v17, vcc
	global_load_dword v29, v[31:32], off
	v_div_fixup_f32 v31, v34, v33, 1.0
	global_load_dword v32, v[4:5], off
	v_mul_f32_e32 v4, v19, v31
	v_min_f32_e32 v4, 0x7cf0bdc2, v4
	v_mul_f32_e32 v31, v20, v21
	v_div_fixup_f32 v5, v23, v22, 1.0
	s_waitcnt vmcnt(2)
	v_mul_f32_e32 v4, v30, v4
	global_store_dword v[14:15], v4, off
	v_mul_f32_e32 v4, v28, v18
	v_mul_f32_e32 v4, v4, v5
	v_min_f32_e32 v4, 0x7cf0bdc2, v4
	s_waitcnt vmcnt(2)
	v_mul_f32_e32 v14, v29, v4
	v_add_co_u32_e32 v4, vcc, s12, v16
	v_addc_co_u32_e32 v5, vcc, v24, v17, vcc
	global_store_dword v[4:5], v14, off
	v_lshlrev_b64 v[14:15], 2, v[0:1]
	v_add_u32_e32 v0, s4, v0
	v_lshlrev_b64 v[4:5], 2, v[0:1]
	v_add_u32_e32 v0, s0, v0
	v_lshlrev_b64 v[16:17], 2, v[0:1]
	v_div_scale_f32 v19, s[0:1], v31, v31, 1.0
	v_add_co_u32_e32 v16, vcc, s14, v16
	v_addc_co_u32_e32 v17, vcc, v27, v17, vcc
	v_add_co_u32_e32 v22, vcc, s10, v14
	v_addc_co_u32_e32 v23, vcc, v25, v15, vcc
	global_load_dword v33, v[22:23], off
	v_rcp_f32_e32 v22, v19
	global_load_dword v16, v[16:17], off
	v_div_scale_f32 v17, vcc, 1.0, v31, 1.0
	v_fma_f32 v23, -v19, v22, 1.0
	v_fmac_f32_e32 v22, v23, v22
	v_mul_f32_e32 v23, v17, v22
	v_fma_f32 v27, -v19, v23, v17
	v_fmac_f32_e32 v23, v27, v22
	v_fma_f32 v17, -v19, v23, v17
	v_div_fmas_f32 v17, v17, v22, v23
	global_load_dword v23, v[8:9], off
	s_waitcnt vmcnt(5)
	v_mul_f32_e32 v27, v32, v21
	global_load_dword v21, v[10:11], off
	v_add_co_u32_e32 v8, vcc, s10, v4
	v_addc_co_u32_e32 v9, vcc, v25, v5, vcc
	global_load_dword v22, v[8:9], off
	v_div_scale_f32 v8, s[0:1], v27, v27, 1.0
	v_add_co_u32_e32 v14, vcc, s12, v14
	v_addc_co_u32_e32 v15, vcc, v24, v15, vcc
	v_div_scale_f32 v9, vcc, 1.0, v27, 1.0
	v_rcp_f32_e32 v19, v8
	v_fma_f32 v10, -v8, v19, 1.0
	v_fmac_f32_e32 v19, v10, v19
	v_mul_f32_e32 v13, v9, v19
	v_fma_f32 v10, -v8, v13, v9
	v_fmac_f32_e32 v13, v10, v19
	v_mad_u64_u32 v[10:11], s[0:1], s4, 36, v[0:1]
	v_fma_f32 v8, -v8, v13, v9
	v_mov_b32_e32 v11, v1
	v_div_fmas_f32 v28, v8, v19, v13
	v_lshlrev_b64 v[8:9], 2, v[10:11]
	v_div_fixup_f32 v0, v17, v31, 1.0
	v_add_co_u32_e32 v29, vcc, s10, v8
	v_addc_co_u32_e32 v30, vcc, v25, v9, vcc
	global_load_dword v19, v[29:30], off
	v_mul_f32_e32 v11, v26, v18
	v_mul_f32_e32 v0, v11, v0
	v_min_f32_e32 v0, 0x7cf0bdc2, v0
	global_load_dword v13, v[6:7], off
	s_waitcnt vmcnt(6)
	v_mul_f32_e32 v29, v33, v0
	v_add_u32_e32 v0, s4, v10
	v_lshlrev_b64 v[6:7], 2, v[0:1]
	v_add_u32_e32 v0, s4, v0
	v_add_co_u32_e32 v10, vcc, s10, v6
	v_addc_co_u32_e32 v11, vcc, v25, v7, vcc
	global_load_dword v17, v[10:11], off
	global_load_dword v30, v[2:3], off
	v_lshlrev_b64 v[0:1], 2, v[0:1]
	s_waitcnt vmcnt(7)
	v_div_scale_f32 v10, s[0:1], v16, v16, 1.0
	v_add_co_u32_e32 v2, vcc, s10, v0
	v_addc_co_u32_e32 v3, vcc, v25, v1, vcc
	global_load_dword v11, v[2:3], off
	v_div_scale_f32 v2, vcc, 1.0, v16, 1.0
	global_store_dword v[14:15], v29, off
	v_div_fixup_f32 v14, v28, v27, 1.0
	v_rcp_f32_e32 v15, v10
	s_waitcnt vmcnt(8)
	v_mul_f32_e32 v3, v23, v18
	v_mul_f32_e32 v3, v3, v14
	v_min_f32_e32 v3, 0x7cf0bdc2, v3
	s_waitcnt vmcnt(6)
	v_mul_f32_e32 v14, v22, v3
	v_fma_f32 v3, -v10, v15, 1.0
	v_fmac_f32_e32 v15, v3, v15
	v_mul_f32_e32 v3, v2, v15
	v_fma_f32 v18, -v10, v3, v2
	v_fmac_f32_e32 v3, v18, v15
	v_mul_f32_e32 v18, v20, v16
	v_div_scale_f32 v22, s[0:1], v18, v18, 1.0
	v_fma_f32 v2, -v10, v3, v2
	v_div_fmas_f32 v10, v2, v15, v3
	v_add_co_u32_e32 v2, vcc, s12, v4
	v_div_scale_f32 v4, s[0:1], 1.0, v18, 1.0
	v_addc_co_u32_e32 v3, vcc, v24, v5, vcc
	v_mul_f32_e32 v5, v20, v21
	v_div_scale_f32 v15, s[2:3], v5, v5, 1.0
	global_store_dword v[2:3], v14, off
	v_div_scale_f32 v14, s[2:3], 1.0, v5, 1.0
	v_rcp_f32_e32 v3, v22
	v_mul_f32_e32 v2, v20, v12
	v_mul_f32_e32 v2, v26, v2
	v_div_fixup_f32 v10, v10, v16, 1.0
	v_mul_f32_e32 v2, v2, v10
	v_fma_f32 v10, -v22, v3, 1.0
	v_fmac_f32_e32 v3, v10, v3
	v_mul_f32_e32 v10, v4, v3
	v_fma_f32 v16, -v22, v10, v4
	v_fmac_f32_e32 v10, v16, v3
	v_min_f32_e32 v2, 0x7cf0bdc2, v2
	v_rcp_f32_e32 v16, v15
	v_fma_f32 v4, -v22, v10, v4
	s_mov_b64 vcc, s[0:1]
	v_div_fmas_f32 v4, v4, v3, v10
	s_waitcnt vmcnt(6)
	v_mul_f32_e32 v10, v19, v2
	v_fma_f32 v2, -v15, v16, 1.0
	v_fmac_f32_e32 v16, v2, v16
	v_mul_f32_e32 v2, v14, v16
	v_fma_f32 v3, -v15, v2, v14
	v_fmac_f32_e32 v2, v3, v16
	v_fma_f32 v3, -v15, v2, v14
	s_mov_b64 vcc, s[2:3]
	v_div_fmas_f32 v14, v3, v16, v2
	v_add_co_u32_e32 v2, vcc, s12, v8
	v_addc_co_u32_e32 v3, vcc, v24, v9, vcc
	global_store_dword v[2:3], v10, off
	s_waitcnt vmcnt(6)
	v_mul_f32_e32 v2, v13, v12
	v_div_fixup_f32 v3, v4, v18, 1.0
	v_mul_f32_e32 v2, v2, v3
	v_min_f32_e32 v2, 0x7cf0bdc2, v2
	s_waitcnt vmcnt(5)
	v_mul_f32_e32 v4, v17, v2
	v_add_co_u32_e32 v2, vcc, s12, v6
	v_addc_co_u32_e32 v3, vcc, v24, v7, vcc
	global_store_dword v[2:3], v4, off
	s_waitcnt vmcnt(5)
	v_mul_f32_e32 v2, v30, v12
	v_div_fixup_f32 v3, v14, v5, 1.0
	v_mul_f32_e32 v2, v2, v3
	v_min_f32_e32 v2, 0x7cf0bdc2, v2
	v_add_co_u32_e32 v0, vcc, s12, v0
	s_waitcnt vmcnt(4)
	v_mul_f32_e32 v2, v11, v2
	v_addc_co_u32_e32 v1, vcc, v24, v1, vcc
	global_store_dword v[0:1], v2, off
	s_endpgm
	.section	.rodata,"a",@progbits
	.p2align	6, 0x0
	.amdhsa_kernel _Z12ratt3_kernelIfEvPKT_S2_PS0_S2_S0_
		.amdhsa_group_segment_fixed_size 0
		.amdhsa_private_segment_fixed_size 0
		.amdhsa_kernarg_size 296
		.amdhsa_user_sgpr_count 6
		.amdhsa_user_sgpr_private_segment_buffer 1
		.amdhsa_user_sgpr_dispatch_ptr 0
		.amdhsa_user_sgpr_queue_ptr 0
		.amdhsa_user_sgpr_kernarg_segment_ptr 1
		.amdhsa_user_sgpr_dispatch_id 0
		.amdhsa_user_sgpr_flat_scratch_init 0
		.amdhsa_user_sgpr_private_segment_size 0
		.amdhsa_uses_dynamic_stack 0
		.amdhsa_system_sgpr_private_segment_wavefront_offset 0
		.amdhsa_system_sgpr_workgroup_id_x 1
		.amdhsa_system_sgpr_workgroup_id_y 0
		.amdhsa_system_sgpr_workgroup_id_z 0
		.amdhsa_system_sgpr_workgroup_info 0
		.amdhsa_system_vgpr_workitem_id 0
		.amdhsa_next_free_vgpr 48
		.amdhsa_next_free_sgpr 16
		.amdhsa_reserve_vcc 1
		.amdhsa_reserve_flat_scratch 0
		.amdhsa_float_round_mode_32 0
		.amdhsa_float_round_mode_16_64 0
		.amdhsa_float_denorm_mode_32 3
		.amdhsa_float_denorm_mode_16_64 3
		.amdhsa_dx10_clamp 1
		.amdhsa_ieee_mode 1
		.amdhsa_fp16_overflow 0
		.amdhsa_exception_fp_ieee_invalid_op 0
		.amdhsa_exception_fp_denorm_src 0
		.amdhsa_exception_fp_ieee_div_zero 0
		.amdhsa_exception_fp_ieee_overflow 0
		.amdhsa_exception_fp_ieee_underflow 0
		.amdhsa_exception_fp_ieee_inexact 0
		.amdhsa_exception_int_div_zero 0
	.end_amdhsa_kernel
	.section	.text._Z12ratt3_kernelIfEvPKT_S2_PS0_S2_S0_,"axG",@progbits,_Z12ratt3_kernelIfEvPKT_S2_PS0_S2_S0_,comdat
.Lfunc_end4:
	.size	_Z12ratt3_kernelIfEvPKT_S2_PS0_S2_S0_, .Lfunc_end4-_Z12ratt3_kernelIfEvPKT_S2_PS0_S2_S0_
                                        ; -- End function
	.set _Z12ratt3_kernelIfEvPKT_S2_PS0_S2_S0_.num_vgpr, 48
	.set _Z12ratt3_kernelIfEvPKT_S2_PS0_S2_S0_.num_agpr, 0
	.set _Z12ratt3_kernelIfEvPKT_S2_PS0_S2_S0_.numbered_sgpr, 16
	.set _Z12ratt3_kernelIfEvPKT_S2_PS0_S2_S0_.num_named_barrier, 0
	.set _Z12ratt3_kernelIfEvPKT_S2_PS0_S2_S0_.private_seg_size, 0
	.set _Z12ratt3_kernelIfEvPKT_S2_PS0_S2_S0_.uses_vcc, 1
	.set _Z12ratt3_kernelIfEvPKT_S2_PS0_S2_S0_.uses_flat_scratch, 0
	.set _Z12ratt3_kernelIfEvPKT_S2_PS0_S2_S0_.has_dyn_sized_stack, 0
	.set _Z12ratt3_kernelIfEvPKT_S2_PS0_S2_S0_.has_recursion, 0
	.set _Z12ratt3_kernelIfEvPKT_S2_PS0_S2_S0_.has_indirect_call, 0
	.section	.AMDGPU.csdata,"",@progbits
; Kernel info:
; codeLenInByte = 4448
; TotalNumSgprs: 20
; NumVgprs: 48
; ScratchSize: 0
; MemoryBound: 0
; FloatMode: 240
; IeeeMode: 1
; LDSByteSize: 0 bytes/workgroup (compile time only)
; SGPRBlocks: 2
; VGPRBlocks: 11
; NumSGPRsForWavesPerEU: 20
; NumVGPRsForWavesPerEU: 48
; Occupancy: 5
; WaveLimiterHint : 0
; COMPUTE_PGM_RSRC2:SCRATCH_EN: 0
; COMPUTE_PGM_RSRC2:USER_SGPR: 6
; COMPUTE_PGM_RSRC2:TRAP_HANDLER: 0
; COMPUTE_PGM_RSRC2:TGID_X_EN: 1
; COMPUTE_PGM_RSRC2:TGID_Y_EN: 0
; COMPUTE_PGM_RSRC2:TGID_Z_EN: 0
; COMPUTE_PGM_RSRC2:TIDIG_COMP_CNT: 0
	.section	.text._Z12ratt4_kernelIfEvPKT_S2_PS0_S2_S0_,"axG",@progbits,_Z12ratt4_kernelIfEvPKT_S2_PS0_S2_S0_,comdat
	.protected	_Z12ratt4_kernelIfEvPKT_S2_PS0_S2_S0_ ; -- Begin function _Z12ratt4_kernelIfEvPKT_S2_PS0_S2_S0_
	.globl	_Z12ratt4_kernelIfEvPKT_S2_PS0_S2_S0_
	.p2align	8
	.type	_Z12ratt4_kernelIfEvPKT_S2_PS0_S2_S0_,@function
_Z12ratt4_kernelIfEvPKT_S2_PS0_S2_S0_:  ; @_Z12ratt4_kernelIfEvPKT_S2_PS0_S2_S0_
; %bb.0:
	s_load_dword s0, s[4:5], 0x34
	s_load_dwordx8 s[8:15], s[4:5], 0x0
	s_load_dword s1, s[4:5], 0x28
	v_mov_b32_e32 v1, 0
	s_load_dword s2, s[4:5], 0x20
	s_waitcnt lgkmcnt(0)
	s_and_b32 s0, s0, 0xffff
	s_mul_i32 s6, s6, s0
	v_add_u32_e32 v0, s6, v0
	v_lshlrev_b64 v[14:15], 2, v[0:1]
	v_mov_b32_e32 v3, s9
	v_add_co_u32_e32 v2, vcc, s8, v14
	v_addc_co_u32_e32 v3, vcc, v3, v15, vcc
	global_load_dword v16, v[2:3], off
	s_mul_i32 s6, s1, s0
	s_mul_i32 s7, s6, 3
	v_add_u32_e32 v2, s7, v0
	v_mov_b32_e32 v3, v1
	v_mad_u64_u32 v[10:11], s[0:1], s6, 6, v[2:3]
	v_mov_b32_e32 v11, v1
	v_mov_b32_e32 v31, s15
	v_mad_u64_u32 v[4:5], s[0:1], s6, -5, v[10:11]
	v_mov_b32_e32 v5, v1
	v_add_u32_e32 v0, s6, v0
	v_lshlrev_b64 v[5:6], 2, v[4:5]
	v_lshlrev_b64 v[2:3], 2, v[2:3]
	v_mad_u64_u32 v[12:13], s[0:1], s6, 11, v[4:5]
	v_mov_b32_e32 v13, v1
	v_add_co_u32_e32 v4, vcc, s14, v5
	v_addc_co_u32_e32 v5, vcc, v31, v6, vcc
	v_lshlrev_b64 v[6:7], 2, v[12:13]
	global_load_dword v32, v[4:5], off
	v_add_co_u32_e32 v6, vcc, s14, v6
	v_addc_co_u32_e32 v7, vcc, v31, v7, vcc
	global_load_dword v33, v[6:7], off
	v_lshlrev_b64 v[8:9], 2, v[0:1]
	v_add_co_u32_e32 v2, vcc, s14, v2
	v_add_co_u32_e64 v8, s[0:1], s14, v8
	v_addc_co_u32_e32 v3, vcc, v31, v3, vcc
	v_addc_co_u32_e64 v9, vcc, v31, v9, s[0:1]
	v_lshlrev_b64 v[10:11], 2, v[10:11]
	v_mov_b32_e32 v29, s11
	v_mov_b32_e32 v28, s13
	s_waitcnt vmcnt(2)
	v_mul_f32_e32 v13, s2, v16
	v_mul_f32_e32 v13, 0x4c9e9632, v13
	v_div_scale_f32 v20, s[0:1], v13, v13, 1.0
	v_mad_u64_u32 v[18:19], s[0:1], s6, 35, v[12:13]
	v_div_scale_f32 v12, s[0:1], 1.0, v13, 1.0
	v_add_co_u32_e32 v16, vcc, s14, v10
	v_mov_b32_e32 v19, v1
	v_addc_co_u32_e32 v17, vcc, v31, v11, vcc
	v_lshlrev_b64 v[10:11], 2, v[18:19]
	v_add_co_u32_e32 v18, vcc, s10, v10
	v_add_co_u32_e64 v10, s[2:3], s12, v10
	v_rcp_f32_e32 v21, v20
	v_addc_co_u32_e32 v19, vcc, v29, v11, vcc
	v_addc_co_u32_e64 v11, vcc, v28, v11, s[2:3]
	v_fma_f32 v22, -v20, v21, 1.0
	v_fmac_f32_e32 v21, v22, v21
	v_mul_f32_e32 v22, v12, v21
	v_fma_f32 v23, -v20, v22, v12
	v_fmac_f32_e32 v22, v23, v21
	s_waitcnt vmcnt(0)
	v_mul_f32_e32 v23, v32, v33
	v_fma_f32 v12, -v20, v22, v12
	v_div_scale_f32 v20, s[2:3], v23, v23, 1.0
	s_mov_b64 vcc, s[0:1]
	v_div_fmas_f32 v12, v12, v21, v22
	s_mul_i32 s2, s6, 0xffffffd1
	s_mul_i32 s3, s6, 48
	v_rcp_f32_e32 v21, v20
	v_div_fixup_f32 v12, v12, v13, 1.0
	v_fma_f32 v22, -v20, v21, 1.0
	v_fmac_f32_e32 v21, v22, v21
	v_div_scale_f32 v22, vcc, 1.0, v23, 1.0
	v_mul_f32_e32 v30, 0x49776020, v12
	v_mul_f32_e32 v24, v22, v21
	v_fma_f32 v25, -v20, v24, v22
	v_fmac_f32_e32 v24, v25, v21
	v_fma_f32 v20, -v20, v24, v22
	v_div_fmas_f32 v20, v20, v21, v24
	global_load_dword v34, v[2:3], off
	global_load_dword v36, v[16:17], off
	global_load_dword v21, v[18:19], off
	v_div_fixup_f32 v18, v20, v23, 1.0
	s_waitcnt vmcnt(1)
	v_mul_f32_e32 v22, v34, v36
	v_mul_f32_e32 v18, v22, v18
	v_min_f32_e32 v18, 0x7cf0bdc2, v18
	s_waitcnt vmcnt(0)
	v_mul_f32_e32 v18, v21, v18
	v_mad_u64_u32 v[20:21], s[0:1], s6, 13, v[0:1]
	v_mov_b32_e32 v21, v1
	global_store_dword v[10:11], v18, off
	v_lshlrev_b64 v[10:11], 2, v[20:21]
	v_mul_f32_e32 v27, v36, v32
	v_add_co_u32_e32 v18, vcc, s14, v10
	v_addc_co_u32_e32 v19, vcc, v31, v11, vcc
	global_load_dword v35, v[8:9], off
	global_load_dword v23, v[18:19], off
	v_mad_u64_u32 v[10:11], s[0:1], s6, 37, v[20:21]
	s_mul_i32 s0, s6, 0xffffffdd
	v_mov_b32_e32 v11, v1
	v_add_u32_e32 v0, s0, v10
	v_lshlrev_b64 v[10:11], 2, v[10:11]
	v_add_co_u32_e32 v20, vcc, s10, v10
	v_addc_co_u32_e32 v21, vcc, v29, v11, vcc
	global_load_dword v20, v[20:21], off
	v_add_co_u32_e32 v10, vcc, s12, v10
	v_addc_co_u32_e32 v11, vcc, v28, v11, vcc
	s_waitcnt vmcnt(2)
	v_mul_f32_e32 v24, v35, v35
	s_waitcnt vmcnt(1)
	v_mul_f32_e32 v23, v24, v23
	v_mul_f32_e32 v12, v30, v23
	v_div_scale_f32 v13, s[0:1], v12, v12, 1.0
	v_mul_f32_e32 v33, v33, v35
	v_rcp_f32_e32 v23, v13
	v_fma_f32 v24, -v13, v23, 1.0
	v_fmac_f32_e32 v23, v24, v23
	v_div_scale_f32 v24, vcc, 1.0, v12, 1.0
	v_mul_f32_e32 v25, v24, v23
	v_fma_f32 v26, -v13, v25, v24
	v_fmac_f32_e32 v25, v26, v23
	v_fma_f32 v13, -v13, v25, v24
	v_div_fmas_f32 v13, v13, v23, v25
	v_div_fixup_f32 v12, v13, v12, 1.0
	v_mul_f32_e32 v12, v22, v12
	v_min_f32_e32 v12, 0x7cf0bdc2, v12
	s_waitcnt vmcnt(0)
	v_mul_f32_e32 v12, v20, v12
	global_store_dword v[10:11], v12, off
	v_lshlrev_b64 v[10:11], 2, v[0:1]
	v_add_co_u32_e32 v22, vcc, s14, v10
	v_addc_co_u32_e32 v23, vcc, v31, v11, vcc
	global_load_dword v26, v[22:23], off
	s_waitcnt vmcnt(0)
	v_mul_f32_e32 v13, v35, v26
	v_div_scale_f32 v10, s[0:1], v13, v13, 1.0
	v_mul_f32_e32 v26, v32, v26
	v_rcp_f32_e32 v11, v10
	v_fma_f32 v12, -v10, v11, 1.0
	v_fmac_f32_e32 v11, v12, v11
	v_div_scale_f32 v12, vcc, 1.0, v13, 1.0
	v_mul_f32_e32 v20, v12, v11
	v_fma_f32 v21, -v10, v20, v12
	v_fmac_f32_e32 v20, v21, v11
	v_fma_f32 v10, -v10, v20, v12
	v_div_fmas_f32 v24, v10, v11, v20
	v_mad_u64_u32 v[10:11], s[0:1], s6, 36, v[0:1]
	v_mov_b32_e32 v11, v1
	v_lshlrev_b64 v[11:12], 2, v[10:11]
	v_add_co_u32_e32 v20, vcc, s10, v11
	v_addc_co_u32_e32 v21, vcc, v29, v12, vcc
	global_load_dword v0, v[20:21], off
	v_add_co_u32_e32 v11, vcc, s12, v11
	v_addc_co_u32_e32 v12, vcc, v28, v12, vcc
	v_div_fixup_f32 v37, v24, v13, 1.0
	v_mul_f32_e32 v13, v27, v37
	v_min_f32_e32 v13, 0x7cf0bdc2, v13
	s_waitcnt vmcnt(0)
	v_mul_f32_e32 v0, v0, v13
	global_store_dword v[11:12], v0, off
	v_add_u32_e32 v0, s2, v10
	v_lshlrev_b64 v[10:11], 2, v[0:1]
	v_add_u32_e32 v0, s7, v0
	v_add_co_u32_e32 v10, vcc, s14, v10
	v_lshlrev_b64 v[12:13], 2, v[0:1]
	v_addc_co_u32_e32 v11, vcc, v31, v11, vcc
	v_add_co_u32_e32 v12, vcc, s14, v12
	v_addc_co_u32_e32 v13, vcc, v31, v13, vcc
	global_load_dword v40, v[12:13], off
	global_load_dword v38, v[10:11], off
	s_waitcnt vmcnt(0)
	v_mul_f32_e32 v39, v38, v40
	v_div_scale_f32 v12, s[0:1], v39, v39, 1.0
	v_rcp_f32_e32 v13, v12
	v_fma_f32 v20, -v12, v13, 1.0
	v_fmac_f32_e32 v13, v20, v13
	v_div_scale_f32 v20, vcc, 1.0, v39, 1.0
	v_mul_f32_e32 v21, v20, v13
	v_fma_f32 v24, -v12, v21, v20
	v_fmac_f32_e32 v21, v24, v13
	v_fma_f32 v12, -v12, v21, v20
	v_div_fmas_f32 v41, v12, v13, v21
	v_mad_u64_u32 v[12:13], s[0:1], s6, 45, v[0:1]
	v_mov_b32_e32 v13, v1
	v_lshlrev_b64 v[20:21], 2, v[12:13]
	v_add_co_u32_e32 v24, vcc, s10, v20
	v_addc_co_u32_e32 v25, vcc, v29, v21, vcc
	global_load_dword v0, v[24:25], off
	v_add_co_u32_e32 v20, vcc, s12, v20
	v_addc_co_u32_e32 v21, vcc, v28, v21, vcc
	v_div_fixup_f32 v13, v41, v39, 1.0
	v_mul_f32_e32 v13, v27, v13
	v_min_f32_e32 v13, 0x7cf0bdc2, v13
	s_waitcnt vmcnt(0)
	v_mul_f32_e32 v0, v0, v13
	global_store_dword v[20:21], v0, off
	v_add_u32_e32 v0, s2, v12
	v_div_scale_f32 v12, s[0:1], v26, v26, 1.0
	s_mul_i32 s0, s6, 0xffffffd7
	v_rcp_f32_e32 v13, v12
	v_fma_f32 v20, -v12, v13, 1.0
	v_fmac_f32_e32 v13, v20, v13
	v_div_scale_f32 v20, vcc, 1.0, v26, 1.0
	v_mul_f32_e32 v21, v20, v13
	v_fma_f32 v24, -v12, v21, v20
	v_fmac_f32_e32 v21, v24, v13
	v_fma_f32 v12, -v12, v21, v20
	v_div_fmas_f32 v27, v12, v13, v21
	v_lshlrev_b64 v[12:13], 2, v[0:1]
	v_add_u32_e32 v0, s3, v0
	v_add_co_u32_e32 v12, vcc, s14, v12
	v_lshlrev_b64 v[20:21], 2, v[0:1]
	v_addc_co_u32_e32 v13, vcc, v31, v13, vcc
	v_add_co_u32_e32 v24, vcc, s10, v20
	v_addc_co_u32_e32 v25, vcc, v29, v21, vcc
	global_load_dword v24, v[24:25], off
	s_nop 0
	global_load_dword v25, v[12:13], off
	v_add_co_u32_e32 v20, vcc, s12, v20
	v_addc_co_u32_e32 v21, vcc, v28, v21, vcc
	v_div_fixup_f32 v26, v27, v26, 1.0
	v_add_u32_e32 v0, s0, v0
	s_waitcnt vmcnt(0)
	v_mul_f32_e32 v25, v36, v25
	v_mul_f32_e32 v25, v26, v25
	v_min_f32_e32 v25, 0x7cf0bdc2, v25
	v_mul_f32_e32 v24, v24, v25
	global_store_dword v[20:21], v24, off
	v_mad_u64_u32 v[20:21], s[0:1], s6, 12, v[0:1]
	v_mov_b32_e32 v21, v1
	v_lshlrev_b64 v[24:25], 2, v[20:21]
	v_add_co_u32_e32 v24, vcc, s14, v24
	v_addc_co_u32_e32 v25, vcc, v31, v25, vcc
	global_load_dword v39, v[24:25], off
	s_waitcnt vmcnt(0)
	v_div_scale_f32 v21, s[0:1], v39, v39, 1.0
	v_rcp_f32_e32 v24, v21
	v_fma_f32 v25, -v21, v24, 1.0
	v_fmac_f32_e32 v24, v25, v24
	v_div_scale_f32 v25, vcc, 1.0, v39, 1.0
	v_mul_f32_e32 v26, v25, v24
	v_fma_f32 v27, -v21, v26, v25
	v_fmac_f32_e32 v26, v27, v24
	v_fma_f32 v21, -v21, v26, v25
	v_div_fmas_f32 v43, v21, v24, v26
	v_mad_u64_u32 v[20:21], s[0:1], s6, 30, v[20:21]
	v_lshlrev_b64 v[24:25], 2, v[0:1]
	v_mov_b32_e32 v21, v1
	v_add_co_u32_e32 v24, vcc, s14, v24
	v_lshlrev_b64 v[26:27], 2, v[20:21]
	v_addc_co_u32_e32 v25, vcc, v31, v25, vcc
	v_add_co_u32_e32 v41, vcc, s10, v26
	v_addc_co_u32_e32 v42, vcc, v29, v27, vcc
	v_add_co_u32_e32 v26, vcc, s12, v26
	v_div_fixup_f32 v0, v43, v39, 1.0
	global_load_dword v21, v[41:42], off
	global_load_dword v39, v[24:25], off
	v_addc_co_u32_e32 v27, vcc, v28, v27, vcc
	s_mul_i32 s0, s6, 0xffffffdb
	s_waitcnt vmcnt(0)
	v_mul_f32_e32 v41, v36, v39
	v_mul_f32_e32 v41, v30, v41
	;; [unrolled: 1-line block ×3, first 2 shown]
	v_min_f32_e32 v0, 0x7cf0bdc2, v0
	v_mul_f32_e32 v0, v21, v0
	global_store_dword v[26:27], v0, off
	v_add_u32_e32 v0, s0, v20
	v_lshlrev_b64 v[20:21], 2, v[0:1]
	v_mul_f32_e32 v38, v38, v39
	v_add_co_u32_e32 v20, vcc, s14, v20
	v_addc_co_u32_e32 v21, vcc, v31, v21, vcc
	global_load_dword v43, v[20:21], off
	s_waitcnt vmcnt(0)
	v_mul_f32_e32 v44, v35, v43
	v_div_scale_f32 v20, s[0:1], v44, v44, 1.0
	v_rcp_f32_e32 v21, v20
	v_fma_f32 v26, -v20, v21, 1.0
	v_fmac_f32_e32 v21, v26, v21
	v_div_scale_f32 v26, vcc, 1.0, v44, 1.0
	v_mul_f32_e32 v27, v26, v21
	v_fma_f32 v41, -v20, v27, v26
	v_fmac_f32_e32 v27, v41, v21
	v_fma_f32 v20, -v20, v27, v26
	v_div_fmas_f32 v45, v20, v21, v27
	v_mad_u64_u32 v[26:27], s[0:1], s6, 38, v[0:1]
	v_mov_b32_e32 v27, v1
	v_lshlrev_b64 v[20:21], 2, v[26:27]
	v_add_co_u32_e32 v41, vcc, s10, v20
	v_addc_co_u32_e32 v42, vcc, v29, v21, vcc
	global_load_dword v0, v[41:42], off
	v_mul_f32_e32 v41, v36, v40
	v_add_co_u32_e32 v20, vcc, s12, v20
	v_addc_co_u32_e32 v21, vcc, v28, v21, vcc
	v_div_fixup_f32 v27, v45, v44, 1.0
	v_mul_f32_e32 v27, v41, v27
	v_min_f32_e32 v27, 0x7cf0bdc2, v27
	s_waitcnt vmcnt(0)
	v_mul_f32_e32 v0, v0, v27
	global_store_dword v[20:21], v0, off
	v_add_co_u32_e32 v20, vcc, s14, v14
	v_addc_co_u32_e32 v21, vcc, v31, v15, vcc
	global_load_dword v41, v[20:21], off
	s_waitcnt vmcnt(0)
	v_mul_f32_e32 v42, v43, v41
	v_div_scale_f32 v0, s[0:1], v42, v42, 1.0
	v_mul_f32_e32 v40, v40, v41
	v_rcp_f32_e32 v14, v0
	v_fma_f32 v15, -v0, v14, 1.0
	v_fmac_f32_e32 v14, v15, v14
	v_div_scale_f32 v15, vcc, 1.0, v42, 1.0
	v_mul_f32_e32 v27, v15, v14
	v_fma_f32 v43, -v0, v27, v15
	v_fmac_f32_e32 v27, v43, v14
	v_fma_f32 v0, -v0, v27, v15
	v_div_fmas_f32 v43, v0, v14, v27
	v_add_u32_e32 v0, s6, v26
	v_lshlrev_b64 v[14:15], 2, v[0:1]
	v_add_u32_e32 v0, s2, v0
	v_add_co_u32_e32 v26, vcc, s10, v14
	v_addc_co_u32_e32 v27, vcc, v29, v15, vcc
	global_load_dword v26, v[26:27], off
	v_add_co_u32_e32 v14, vcc, s12, v14
	v_addc_co_u32_e32 v15, vcc, v28, v15, vcc
	v_div_fixup_f32 v27, v43, v42, 1.0
	v_mul_f32_e32 v42, v36, v36
	v_mul_f32_e32 v27, v42, v27
	v_min_f32_e32 v27, 0x7cf0bdc2, v27
	s_waitcnt vmcnt(0)
	v_mul_f32_e32 v26, v26, v27
	global_store_dword v[14:15], v26, off
	v_div_scale_f32 v14, s[0:1], v36, v36, 1.0
	v_rcp_f32_e32 v15, v14
	v_fma_f32 v26, -v14, v15, 1.0
	v_fmac_f32_e32 v15, v26, v15
	v_div_scale_f32 v26, vcc, 1.0, v36, 1.0
	v_mul_f32_e32 v27, v26, v15
	v_fma_f32 v42, -v14, v27, v26
	v_fmac_f32_e32 v27, v42, v15
	v_fma_f32 v14, -v14, v27, v26
	v_div_fmas_f32 v44, v14, v15, v27
	v_lshlrev_b64 v[14:15], 2, v[0:1]
	v_add_u32_e32 v0, s3, v0
	v_add_co_u32_e32 v26, vcc, s14, v14
	v_addc_co_u32_e32 v27, vcc, v31, v15, vcc
	v_lshlrev_b64 v[14:15], 2, v[0:1]
	v_add_u32_e32 v0, s6, v0
	v_add_co_u32_e32 v42, vcc, s10, v14
	v_addc_co_u32_e32 v43, vcc, v29, v15, vcc
	v_add_co_u32_e32 v14, vcc, s12, v14
	v_addc_co_u32_e32 v15, vcc, v28, v15, vcc
	v_div_fixup_f32 v44, v44, v36, 1.0
	global_load_dword v42, v[42:43], off
	s_nop 0
	global_load_dword v36, v[26:27], off
	s_waitcnt vmcnt(0)
	v_mul_f32_e32 v43, v44, v36
	v_min_f32_e32 v43, 0x7cf0bdc2, v43
	v_mul_f32_e32 v42, v42, v43
	global_store_dword v[14:15], v42, off
	v_div_scale_f32 v14, s[0:1], v40, v40, 1.0
	v_rcp_f32_e32 v15, v14
	v_fma_f32 v42, -v14, v15, 1.0
	v_fmac_f32_e32 v15, v42, v15
	v_div_scale_f32 v42, vcc, 1.0, v40, 1.0
	v_mul_f32_e32 v43, v42, v15
	v_fma_f32 v44, -v14, v43, v42
	v_fmac_f32_e32 v43, v44, v15
	v_fma_f32 v14, -v14, v43, v42
	v_div_fmas_f32 v44, v14, v15, v43
	v_lshlrev_b64 v[14:15], 2, v[0:1]
	v_add_co_u32_e32 v42, vcc, s10, v14
	v_addc_co_u32_e32 v43, vcc, v29, v15, vcc
	global_load_dword v42, v[42:43], off
	v_mul_f32_e32 v43, v35, v36
	v_add_co_u32_e32 v14, vcc, s12, v14
	v_addc_co_u32_e32 v15, vcc, v28, v15, vcc
	v_div_fixup_f32 v40, v44, v40, 1.0
	v_mul_f32_e32 v40, v40, v43
	v_min_f32_e32 v40, 0x7cf0bdc2, v40
	s_waitcnt vmcnt(0)
	v_mul_f32_e32 v40, v42, v40
	global_store_dword v[14:15], v40, off
	v_mul_f32_e32 v40, v39, v41
	v_div_scale_f32 v14, s[0:1], v40, v40, 1.0
	s_mul_i32 s0, s6, 0xffffffc7
	v_add_u32_e32 v0, s0, v0
	v_rcp_f32_e32 v15, v14
	v_fma_f32 v42, -v14, v15, 1.0
	v_fmac_f32_e32 v15, v42, v15
	v_div_scale_f32 v42, vcc, 1.0, v40, 1.0
	v_mul_f32_e32 v43, v42, v15
	v_fma_f32 v44, -v14, v43, v42
	v_fmac_f32_e32 v43, v44, v15
	v_fma_f32 v14, -v14, v43, v42
	v_div_fmas_f32 v47, v14, v15, v43
	v_mad_u64_u32 v[42:43], s[0:1], s6, 58, v[0:1]
	v_lshlrev_b64 v[14:15], 2, v[0:1]
	v_mov_b32_e32 v43, v1
	v_add_co_u32_e32 v14, vcc, s14, v14
	v_lshlrev_b64 v[43:44], 2, v[42:43]
	v_addc_co_u32_e32 v15, vcc, v31, v15, vcc
	v_add_co_u32_e32 v45, vcc, s10, v43
	v_addc_co_u32_e32 v46, vcc, v29, v44, vcc
	v_add_co_u32_e32 v43, vcc, s12, v43
	v_div_fixup_f32 v0, v47, v40, 1.0
	global_load_dword v40, v[45:46], off
	s_nop 0
	global_load_dword v45, v[14:15], off
	v_addc_co_u32_e32 v44, vcc, v28, v44, vcc
	s_waitcnt vmcnt(0)
	v_mul_f32_e32 v46, v36, v45
	v_mul_f32_e32 v0, v0, v46
	v_min_f32_e32 v0, 0x7cf0bdc2, v0
	v_mul_f32_e32 v0, v40, v0
	global_store_dword v[43:44], v0, off
	v_div_scale_f32 v0, s[0:1], v33, v33, 1.0
	s_mul_i32 s0, s6, 0xffffffcd
	v_rcp_f32_e32 v40, v0
	v_fma_f32 v43, -v0, v40, 1.0
	v_fmac_f32_e32 v40, v43, v40
	v_div_scale_f32 v43, vcc, 1.0, v33, 1.0
	v_mul_f32_e32 v44, v43, v40
	v_fma_f32 v45, -v0, v44, v43
	v_fmac_f32_e32 v44, v45, v40
	v_fma_f32 v0, -v0, v44, v43
	v_div_fmas_f32 v40, v0, v40, v44
	v_add_u32_e32 v0, s6, v42
	v_lshlrev_b64 v[42:43], 2, v[0:1]
	v_add_u32_e32 v0, s6, v0
	v_add_co_u32_e32 v44, vcc, s10, v42
	v_addc_co_u32_e32 v45, vcc, v29, v43, vcc
	global_load_dword v44, v[44:45], off
	v_add_co_u32_e32 v42, vcc, s12, v42
	v_addc_co_u32_e32 v43, vcc, v28, v43, vcc
	v_div_fixup_f32 v33, v40, v33, 1.0
	v_mul_f32_e32 v33, v33, v46
	v_min_f32_e32 v33, 0x7cf0bdc2, v33
	v_mul_f32_e32 v40, v32, v36
	v_mul_f32_e32 v37, v37, v40
	v_min_f32_e32 v37, 0x7cf0bdc2, v37
	s_waitcnt vmcnt(0)
	v_mul_f32_e32 v33, v44, v33
	global_store_dword v[42:43], v33, off
	v_lshlrev_b64 v[42:43], 2, v[0:1]
	v_add_u32_e32 v0, s0, v0
	v_add_co_u32_e32 v44, vcc, s10, v42
	v_addc_co_u32_e32 v45, vcc, v29, v43, vcc
	global_load_dword v33, v[44:45], off
	v_add_co_u32_e32 v42, vcc, s12, v42
	v_addc_co_u32_e32 v43, vcc, v28, v43, vcc
	s_waitcnt vmcnt(0)
	v_mul_f32_e32 v33, v37, v33
	global_store_dword v[42:43], v33, off
	v_lshlrev_b64 v[42:43], 2, v[0:1]
	v_add_co_u32_e32 v42, vcc, s14, v42
	v_addc_co_u32_e32 v43, vcc, v31, v43, vcc
	global_load_dword v33, v[42:43], off
	s_waitcnt vmcnt(0)
	v_mul_f32_e32 v33, v35, v33
	v_div_scale_f32 v37, s[0:1], v33, v33, 1.0
	v_rcp_f32_e32 v40, v37
	v_fma_f32 v42, -v37, v40, 1.0
	v_fmac_f32_e32 v40, v42, v40
	v_div_scale_f32 v42, vcc, 1.0, v33, 1.0
	v_mul_f32_e32 v43, v42, v40
	v_fma_f32 v44, -v37, v43, v42
	v_fmac_f32_e32 v43, v44, v40
	v_fma_f32 v37, -v37, v43, v42
	v_div_fmas_f32 v37, v37, v40, v43
	v_mad_u64_u32 v[42:43], s[0:1], s6, 52, v[0:1]
	v_mov_b32_e32 v43, v1
	v_lshlrev_b64 v[43:44], 2, v[42:43]
	v_add_co_u32_e32 v45, vcc, s10, v43
	v_addc_co_u32_e32 v46, vcc, v29, v44, vcc
	global_load_dword v0, v[45:46], off
	v_add_co_u32_e32 v43, vcc, s12, v43
	v_addc_co_u32_e32 v44, vcc, v28, v44, vcc
	v_div_fixup_f32 v33, v37, v33, 1.0
	v_mul_f32_e32 v37, v41, v36
	v_mul_f32_e32 v33, v37, v33
	v_min_f32_e32 v33, 0x7cf0bdc2, v33
	s_waitcnt vmcnt(0)
	v_mul_f32_e32 v0, v0, v33
	global_store_dword v[43:44], v0, off
	v_mul_f32_e32 v0, v32, v35
	v_mul_f32_e32 v0, v0, v39
	;; [unrolled: 1-line block ×3, first 2 shown]
	v_div_scale_f32 v0, s[0:1], v35, v35, 1.0
	v_rcp_f32_e32 v32, v0
	v_fma_f32 v33, -v0, v32, 1.0
	v_fmac_f32_e32 v32, v33, v32
	v_div_scale_f32 v33, vcc, 1.0, v35, 1.0
	v_mul_f32_e32 v37, v33, v32
	v_fma_f32 v40, -v0, v37, v33
	v_fmac_f32_e32 v37, v40, v32
	v_fma_f32 v0, -v0, v37, v33
	v_div_fmas_f32 v37, v0, v32, v37
	v_add_u32_e32 v0, s6, v42
	v_lshlrev_b64 v[32:33], 2, v[0:1]
	v_add_u32_e32 v0, s6, v0
	v_add_co_u32_e32 v40, vcc, s10, v32
	v_addc_co_u32_e32 v41, vcc, v29, v33, vcc
	global_load_dword v40, v[40:41], off
	v_add_co_u32_e32 v32, vcc, s12, v32
	v_addc_co_u32_e32 v33, vcc, v28, v33, vcc
	v_div_fixup_f32 v35, v37, v35, 1.0
	v_mul_f32_e32 v37, v34, v36
	v_mul_f32_e32 v34, v35, v37
	v_min_f32_e32 v34, 0x7cf0bdc2, v34
	s_waitcnt vmcnt(0)
	v_mul_f32_e32 v34, v34, v40
	global_store_dword v[32:33], v34, off
	v_div_scale_f32 v32, s[0:1], v38, v38, 1.0
	v_rcp_f32_e32 v33, v32
	v_fma_f32 v34, -v32, v33, 1.0
	v_fmac_f32_e32 v33, v34, v33
	v_div_scale_f32 v34, vcc, 1.0, v38, 1.0
	v_mul_f32_e32 v35, v34, v33
	v_fma_f32 v39, -v32, v35, v34
	v_fmac_f32_e32 v35, v39, v33
	v_fma_f32 v32, -v32, v35, v34
	v_div_fmas_f32 v39, v32, v33, v35
	v_lshlrev_b64 v[32:33], 2, v[0:1]
	v_add_u32_e32 v0, s6, v0
	v_add_co_u32_e32 v34, vcc, s10, v32
	v_addc_co_u32_e32 v35, vcc, v29, v33, vcc
	global_load_dword v34, v[34:35], off
	v_add_co_u32_e32 v32, vcc, s12, v32
	v_addc_co_u32_e32 v33, vcc, v28, v33, vcc
	v_div_fixup_f32 v35, v39, v38, 1.0
	v_mul_f32_e32 v35, v35, v37
	v_min_f32_e32 v35, 0x7cf0bdc2, v35
	s_waitcnt vmcnt(0)
	v_mul_f32_e32 v34, v35, v34
	global_store_dword v[32:33], v34, off
	global_load_dword v34, v[16:17], off
	s_waitcnt vmcnt(0)
	v_div_scale_f32 v16, s[0:1], v34, v34, 1.0
	s_mul_i32 s0, s6, 0xffffffcc
	v_rcp_f32_e32 v17, v16
	v_fma_f32 v32, -v16, v17, 1.0
	v_fmac_f32_e32 v17, v32, v17
	v_div_scale_f32 v32, vcc, 1.0, v34, 1.0
	v_mul_f32_e32 v33, v32, v17
	v_fma_f32 v35, -v16, v33, v32
	v_fmac_f32_e32 v33, v35, v17
	v_fma_f32 v16, -v16, v33, v32
	v_div_fmas_f32 v35, v16, v17, v33
	v_lshlrev_b64 v[16:17], 2, v[0:1]
	v_add_u32_e32 v0, s6, v0
	v_add_co_u32_e32 v32, vcc, s10, v16
	v_addc_co_u32_e32 v33, vcc, v29, v17, vcc
	global_load_dword v32, v[32:33], off
	v_add_co_u32_e32 v16, vcc, s12, v16
	v_addc_co_u32_e32 v17, vcc, v28, v17, vcc
	v_div_fixup_f32 v34, v35, v34, 1.0
	v_mul_f32_e32 v33, v36, v34
	v_min_f32_e32 v33, 0x7cf0bdc2, v33
	s_waitcnt vmcnt(0)
	v_mul_f32_e32 v32, v32, v33
	global_store_dword v[16:17], v32, off
	v_lshlrev_b64 v[16:17], 2, v[0:1]
	v_add_u32_e32 v0, s6, v0
	v_add_co_u32_e32 v32, vcc, s10, v16
	v_addc_co_u32_e32 v33, vcc, v29, v17, vcc
	global_load_dword v26, v[26:27], off
	s_nop 0
	global_load_dword v27, v[32:33], off
	v_add_co_u32_e32 v16, vcc, s12, v16
	v_addc_co_u32_e32 v17, vcc, v28, v17, vcc
	s_waitcnt vmcnt(1)
	v_mul_f32_e32 v32, v26, v34
	v_min_f32_e32 v34, 0x7cf0bdc2, v32
	s_waitcnt vmcnt(0)
	v_mul_f32_e32 v27, v27, v34
	global_store_dword v[16:17], v27, off
	v_lshlrev_b64 v[16:17], 2, v[0:1]
	v_add_u32_e32 v0, s6, v0
	v_add_co_u32_e32 v32, vcc, s10, v16
	v_addc_co_u32_e32 v33, vcc, v29, v17, vcc
	global_load_dword v27, v[32:33], off
	v_add_co_u32_e32 v16, vcc, s12, v16
	v_addc_co_u32_e32 v17, vcc, v28, v17, vcc
	s_waitcnt vmcnt(0)
	v_mul_f32_e32 v27, v27, v34
	global_store_dword v[16:17], v27, off
	global_load_dword v25, v[24:25], off
	s_nop 0
	global_load_dword v24, v[22:23], off
	v_lshlrev_b64 v[16:17], 2, v[0:1]
	v_add_u32_e32 v0, s0, v0
	v_lshlrev_b64 v[32:33], 2, v[0:1]
	v_add_co_u32_e32 v34, vcc, s14, v32
	v_addc_co_u32_e32 v35, vcc, v31, v33, vcc
	s_waitcnt vmcnt(0)
	v_mul_f32_e32 v27, v25, v24
	v_div_scale_f32 v22, s[0:1], v27, v27, 1.0
	v_rcp_f32_e32 v23, v22
	v_fma_f32 v25, -v22, v23, 1.0
	v_fmac_f32_e32 v23, v25, v23
	v_div_scale_f32 v25, vcc, 1.0, v27, 1.0
	v_mul_f32_e32 v31, v25, v23
	v_fma_f32 v32, -v22, v31, v25
	v_fmac_f32_e32 v31, v32, v23
	v_fma_f32 v22, -v22, v31, v25
	global_load_dword v25, v[34:35], off
	v_div_fmas_f32 v32, v22, v23, v31
	v_add_co_u32_e32 v22, vcc, s10, v16
	v_addc_co_u32_e32 v23, vcc, v29, v17, vcc
	v_add_co_u32_e32 v16, vcc, s12, v16
	v_addc_co_u32_e32 v17, vcc, v28, v17, vcc
	s_waitcnt vmcnt(0)
	v_div_scale_f32 v31, s[0:1], v25, v25, 1.0
	v_rcp_f32_e32 v33, v31
	v_fma_f32 v34, -v31, v33, 1.0
	v_fmac_f32_e32 v33, v34, v33
	v_div_scale_f32 v34, vcc, 1.0, v25, 1.0
	v_mul_f32_e32 v35, v34, v33
	v_fma_f32 v36, -v31, v35, v34
	v_fmac_f32_e32 v35, v36, v33
	v_fma_f32 v31, -v31, v35, v34
	v_div_fmas_f32 v31, v31, v33, v35
	global_load_dword v33, v[18:19], off
	s_nop 0
	global_load_dword v22, v[22:23], off
	s_nop 0
	;; [unrolled: 2-line block ×3, first 2 shown]
	global_load_dword v18, v[6:7], off
	global_load_dword v23, v[8:9], off
	v_mad_u64_u32 v[8:9], s[0:1], s6, 53, v[0:1]
	v_mov_b32_e32 v9, v1
	v_lshlrev_b64 v[6:7], 2, v[8:9]
	v_add_co_u32_e32 v34, vcc, s10, v6
	v_addc_co_u32_e32 v35, vcc, v29, v7, vcc
	global_load_dword v34, v[34:35], off
	s_nop 0
	global_load_dword v19, v[4:5], off
	v_div_fixup_f32 v4, v32, v27, 1.0
	global_load_dword v21, v[10:11], off
	s_waitcnt vmcnt(7)
	v_mul_f32_e32 v0, v26, v33
	v_mul_f32_e32 v0, v0, v4
	v_min_f32_e32 v0, 0x7cf0bdc2, v0
	s_waitcnt vmcnt(6)
	v_mul_f32_e32 v26, v22, v0
	v_add_u32_e32 v0, s6, v8
	s_waitcnt vmcnt(4)
	v_mul_f32_e32 v22, v20, v18
	v_lshlrev_b64 v[8:9], 2, v[0:1]
	v_div_scale_f32 v27, s[0:1], v22, v22, 1.0
	v_add_co_u32_e32 v4, vcc, s10, v8
	v_addc_co_u32_e32 v5, vcc, v29, v9, vcc
	global_load_dword v20, v[4:5], off
	v_div_fixup_f32 v5, v31, v25, 1.0
	global_store_dword v[16:17], v26, off
	global_load_dword v16, v[12:13], off
	s_waitcnt vmcnt(6)
	v_mul_f32_e32 v26, v23, v24
	global_load_dword v17, v[14:15], off
	v_mul_f32_e32 v4, v30, v26
	v_mul_f32_e32 v4, v4, v5
	v_min_f32_e32 v4, 0x7cf0bdc2, v4
	s_waitcnt vmcnt(6)
	v_mul_f32_e32 v25, v34, v4
	v_rcp_f32_e32 v12, v27
	v_add_u32_e32 v0, s6, v0
	v_add_co_u32_e64 v10, s[0:1], s12, v6
	v_fma_f32 v4, -v27, v12, 1.0
	v_fmac_f32_e32 v12, v4, v12
	v_lshlrev_b64 v[4:5], 2, v[0:1]
	v_div_scale_f32 v32, vcc, 1.0, v22, 1.0
	v_addc_co_u32_e64 v11, s[0:1], v28, v7, s[0:1]
	v_add_co_u32_e64 v6, s[0:1], s10, v4
	v_addc_co_u32_e64 v7, s[0:1], v29, v5, s[0:1]
	global_load_dword v15, v[6:7], off
	v_add_u32_e32 v0, s6, v0
	s_waitcnt vmcnt(6)
	v_mul_f32_e32 v23, v19, v18
	s_waitcnt vmcnt(5)
	v_mul_f32_e32 v21, v21, v18
	v_mul_f32_e32 v13, v32, v12
	v_fma_f32 v6, -v27, v13, v32
	v_fmac_f32_e32 v13, v6, v12
	v_fma_f32 v6, -v27, v13, v32
	v_div_fmas_f32 v27, v6, v12, v13
	v_lshlrev_b64 v[6:7], 2, v[0:1]
	v_add_u32_e32 v0, s6, v0
	v_add_co_u32_e32 v12, vcc, s10, v6
	v_addc_co_u32_e32 v13, vcc, v29, v7, vcc
	global_load_dword v14, v[12:13], off
	global_load_dword v30, v[2:3], off
	v_lshlrev_b64 v[0:1], 2, v[0:1]
	v_div_scale_f32 v12, s[0:1], v23, v23, 1.0
	v_add_co_u32_e32 v2, vcc, s10, v0
	v_addc_co_u32_e32 v3, vcc, v29, v1, vcc
	global_load_dword v2, v[2:3], off
	v_div_scale_f32 v3, vcc, 1.0, v23, 1.0
	global_store_dword v[10:11], v25, off
	v_div_fixup_f32 v11, v27, v22, 1.0
	v_mul_f32_e32 v11, v26, v11
	v_min_f32_e32 v11, 0x7cf0bdc2, v11
	v_rcp_f32_e32 v10, v12
	v_fma_f32 v13, -v12, v10, 1.0
	v_fmac_f32_e32 v10, v13, v10
	v_mul_f32_e32 v13, v3, v10
	v_fma_f32 v22, -v12, v13, v3
	v_fmac_f32_e32 v13, v22, v10
	v_div_scale_f32 v22, s[0:1], v21, v21, 1.0
	v_fma_f32 v3, -v12, v13, v3
	v_div_fmas_f32 v3, v3, v10, v13
	v_add_co_u32_e32 v8, vcc, s12, v8
	v_addc_co_u32_e32 v9, vcc, v28, v9, vcc
	s_waitcnt vmcnt(8)
	v_mul_f32_e32 v10, v20, v11
	v_div_scale_f32 v11, s[0:1], 1.0, v21, 1.0
	s_waitcnt vmcnt(6)
	v_mul_f32_e32 v12, v16, v18
	v_div_scale_f32 v13, s[2:3], v12, v12, 1.0
	global_store_dword v[8:9], v10, off
	v_div_scale_f32 v10, s[2:3], 1.0, v12, 1.0
	v_rcp_f32_e32 v9, v22
	s_waitcnt vmcnt(6)
	v_mul_f32_e32 v8, v17, v24
	v_div_fixup_f32 v3, v3, v23, 1.0
	v_mul_f32_e32 v3, v8, v3
	v_fma_f32 v8, -v22, v9, 1.0
	v_fmac_f32_e32 v9, v8, v9
	v_min_f32_e32 v3, 0x7cf0bdc2, v3
	s_mov_b64 vcc, s[0:1]
	v_mul_f32_e32 v8, v11, v9
	v_fma_f32 v16, -v22, v8, v11
	v_fmac_f32_e32 v8, v16, v9
	v_rcp_f32_e32 v16, v13
	v_fma_f32 v11, -v22, v8, v11
	v_div_fmas_f32 v8, v11, v9, v8
	s_mov_b64 vcc, s[2:3]
	s_waitcnt vmcnt(5)
	v_mul_f32_e32 v9, v15, v3
	v_fma_f32 v3, -v13, v16, 1.0
	v_fmac_f32_e32 v16, v3, v16
	v_mul_f32_e32 v3, v10, v16
	v_fma_f32 v11, -v13, v3, v10
	v_fmac_f32_e32 v3, v11, v16
	v_fma_f32 v10, -v13, v3, v10
	v_div_fmas_f32 v10, v10, v16, v3
	v_add_co_u32_e32 v3, vcc, s12, v4
	v_addc_co_u32_e32 v4, vcc, v28, v5, vcc
	global_store_dword v[3:4], v9, off
	v_mul_f32_e32 v3, v19, v24
	v_div_fixup_f32 v4, v8, v21, 1.0
	v_mul_f32_e32 v3, v3, v4
	v_min_f32_e32 v3, 0x7cf0bdc2, v3
	s_waitcnt vmcnt(5)
	v_mul_f32_e32 v5, v14, v3
	v_add_co_u32_e32 v3, vcc, s12, v6
	v_addc_co_u32_e32 v4, vcc, v28, v7, vcc
	global_store_dword v[3:4], v5, off
	s_waitcnt vmcnt(5)
	v_mul_f32_e32 v3, v30, v24
	v_div_fixup_f32 v4, v10, v12, 1.0
	v_mul_f32_e32 v3, v3, v4
	v_min_f32_e32 v3, 0x7cf0bdc2, v3
	v_add_co_u32_e32 v0, vcc, s12, v0
	s_waitcnt vmcnt(4)
	v_mul_f32_e32 v2, v2, v3
	v_addc_co_u32_e32 v1, vcc, v28, v1, vcc
	global_store_dword v[0:1], v2, off
	s_endpgm
	.section	.rodata,"a",@progbits
	.p2align	6, 0x0
	.amdhsa_kernel _Z12ratt4_kernelIfEvPKT_S2_PS0_S2_S0_
		.amdhsa_group_segment_fixed_size 0
		.amdhsa_private_segment_fixed_size 0
		.amdhsa_kernarg_size 296
		.amdhsa_user_sgpr_count 6
		.amdhsa_user_sgpr_private_segment_buffer 1
		.amdhsa_user_sgpr_dispatch_ptr 0
		.amdhsa_user_sgpr_queue_ptr 0
		.amdhsa_user_sgpr_kernarg_segment_ptr 1
		.amdhsa_user_sgpr_dispatch_id 0
		.amdhsa_user_sgpr_flat_scratch_init 0
		.amdhsa_user_sgpr_private_segment_size 0
		.amdhsa_uses_dynamic_stack 0
		.amdhsa_system_sgpr_private_segment_wavefront_offset 0
		.amdhsa_system_sgpr_workgroup_id_x 1
		.amdhsa_system_sgpr_workgroup_id_y 0
		.amdhsa_system_sgpr_workgroup_id_z 0
		.amdhsa_system_sgpr_workgroup_info 0
		.amdhsa_system_vgpr_workitem_id 0
		.amdhsa_next_free_vgpr 48
		.amdhsa_next_free_sgpr 16
		.amdhsa_reserve_vcc 1
		.amdhsa_reserve_flat_scratch 0
		.amdhsa_float_round_mode_32 0
		.amdhsa_float_round_mode_16_64 0
		.amdhsa_float_denorm_mode_32 3
		.amdhsa_float_denorm_mode_16_64 3
		.amdhsa_dx10_clamp 1
		.amdhsa_ieee_mode 1
		.amdhsa_fp16_overflow 0
		.amdhsa_exception_fp_ieee_invalid_op 0
		.amdhsa_exception_fp_denorm_src 0
		.amdhsa_exception_fp_ieee_div_zero 0
		.amdhsa_exception_fp_ieee_overflow 0
		.amdhsa_exception_fp_ieee_underflow 0
		.amdhsa_exception_fp_ieee_inexact 0
		.amdhsa_exception_int_div_zero 0
	.end_amdhsa_kernel
	.section	.text._Z12ratt4_kernelIfEvPKT_S2_PS0_S2_S0_,"axG",@progbits,_Z12ratt4_kernelIfEvPKT_S2_PS0_S2_S0_,comdat
.Lfunc_end5:
	.size	_Z12ratt4_kernelIfEvPKT_S2_PS0_S2_S0_, .Lfunc_end5-_Z12ratt4_kernelIfEvPKT_S2_PS0_S2_S0_
                                        ; -- End function
	.set _Z12ratt4_kernelIfEvPKT_S2_PS0_S2_S0_.num_vgpr, 48
	.set _Z12ratt4_kernelIfEvPKT_S2_PS0_S2_S0_.num_agpr, 0
	.set _Z12ratt4_kernelIfEvPKT_S2_PS0_S2_S0_.numbered_sgpr, 16
	.set _Z12ratt4_kernelIfEvPKT_S2_PS0_S2_S0_.num_named_barrier, 0
	.set _Z12ratt4_kernelIfEvPKT_S2_PS0_S2_S0_.private_seg_size, 0
	.set _Z12ratt4_kernelIfEvPKT_S2_PS0_S2_S0_.uses_vcc, 1
	.set _Z12ratt4_kernelIfEvPKT_S2_PS0_S2_S0_.uses_flat_scratch, 0
	.set _Z12ratt4_kernelIfEvPKT_S2_PS0_S2_S0_.has_dyn_sized_stack, 0
	.set _Z12ratt4_kernelIfEvPKT_S2_PS0_S2_S0_.has_recursion, 0
	.set _Z12ratt4_kernelIfEvPKT_S2_PS0_S2_S0_.has_indirect_call, 0
	.section	.AMDGPU.csdata,"",@progbits
; Kernel info:
; codeLenInByte = 4476
; TotalNumSgprs: 20
; NumVgprs: 48
; ScratchSize: 0
; MemoryBound: 0
; FloatMode: 240
; IeeeMode: 1
; LDSByteSize: 0 bytes/workgroup (compile time only)
; SGPRBlocks: 2
; VGPRBlocks: 11
; NumSGPRsForWavesPerEU: 20
; NumVGPRsForWavesPerEU: 48
; Occupancy: 5
; WaveLimiterHint : 0
; COMPUTE_PGM_RSRC2:SCRATCH_EN: 0
; COMPUTE_PGM_RSRC2:USER_SGPR: 6
; COMPUTE_PGM_RSRC2:TRAP_HANDLER: 0
; COMPUTE_PGM_RSRC2:TGID_X_EN: 1
; COMPUTE_PGM_RSRC2:TGID_Y_EN: 0
; COMPUTE_PGM_RSRC2:TGID_Z_EN: 0
; COMPUTE_PGM_RSRC2:TIDIG_COMP_CNT: 0
	.section	.text._Z12ratt5_kernelIfEvPKT_S2_PS0_S2_S0_,"axG",@progbits,_Z12ratt5_kernelIfEvPKT_S2_PS0_S2_S0_,comdat
	.protected	_Z12ratt5_kernelIfEvPKT_S2_PS0_S2_S0_ ; -- Begin function _Z12ratt5_kernelIfEvPKT_S2_PS0_S2_S0_
	.globl	_Z12ratt5_kernelIfEvPKT_S2_PS0_S2_S0_
	.p2align	8
	.type	_Z12ratt5_kernelIfEvPKT_S2_PS0_S2_S0_,@function
_Z12ratt5_kernelIfEvPKT_S2_PS0_S2_S0_:  ; @_Z12ratt5_kernelIfEvPKT_S2_PS0_S2_S0_
; %bb.0:
	s_load_dword s0, s[4:5], 0x34
	s_load_dword s1, s[4:5], 0x28
	s_load_dwordx8 s[8:15], s[4:5], 0x0
	v_mov_b32_e32 v1, 0
	s_waitcnt lgkmcnt(0)
	s_and_b32 s0, s0, 0xffff
	s_mul_i32 s6, s6, s0
	v_add_u32_e32 v0, s6, v0
	s_mul_i32 s6, s1, s0
	v_mad_u64_u32 v[2:3], s[0:1], s6, 6, v[0:1]
	v_mov_b32_e32 v3, v1
	v_mov_b32_e32 v31, s15
	v_lshlrev_b64 v[4:5], 2, v[2:3]
	v_mad_u64_u32 v[2:3], s[0:1], s6, 10, v[2:3]
	v_mov_b32_e32 v3, v1
	v_add_co_u32_e32 v14, vcc, s14, v4
	v_mad_u64_u32 v[6:7], s[0:1], s6, -9, v[2:3]
	v_addc_co_u32_e32 v15, vcc, v31, v5, vcc
	v_lshlrev_b64 v[4:5], 2, v[2:3]
	v_mov_b32_e32 v7, v1
	v_add_co_u32_e32 v2, vcc, s14, v4
	v_addc_co_u32_e32 v3, vcc, v31, v5, vcc
	v_lshlrev_b64 v[4:5], 2, v[6:7]
	v_mov_b32_e32 v29, s11
	v_add_co_u32_e32 v24, vcc, s14, v4
	v_addc_co_u32_e32 v25, vcc, v31, v5, vcc
	v_lshl_add_u32 v4, s6, 3, v6
	v_mov_b32_e32 v5, v1
	v_lshlrev_b64 v[5:6], 2, v[4:5]
	v_mov_b32_e32 v28, s13
	v_mad_u64_u32 v[22:23], s[0:1], s6, 60, v[4:5]
	v_add_co_u32_e32 v26, vcc, s14, v5
	v_addc_co_u32_e32 v27, vcc, v31, v6, vcc
	v_lshlrev_b64 v[6:7], 2, v[0:1]
	v_add_u32_e32 v0, s6, v0
	v_mov_b32_e32 v23, v1
	v_mad_u64_u32 v[8:9], s[0:1], s6, 24, v[0:1]
	v_lshlrev_b64 v[4:5], 2, v[22:23]
	v_mov_b32_e32 v9, v1
	v_add_co_u32_e32 v12, vcc, s10, v4
	v_addc_co_u32_e32 v13, vcc, v29, v5, vcc
	v_mad_u64_u32 v[16:17], s[0:1], s6, 51, v[8:9]
	v_add_co_u32_e32 v10, vcc, s12, v4
	v_addc_co_u32_e32 v11, vcc, v28, v5, vcc
	v_lshlrev_b64 v[4:5], 2, v[0:1]
	s_mul_i32 s2, s6, 0xffffffbf
	v_add_co_u32_e32 v4, vcc, s14, v4
	v_lshlrev_b64 v[18:19], 2, v[8:9]
	v_add_u32_e32 v0, s2, v16
	v_addc_co_u32_e32 v5, vcc, v31, v5, vcc
	v_lshlrev_b64 v[8:9], 2, v[0:1]
	v_add_u32_e32 v0, s6, v0
	v_add_co_u32_e32 v18, vcc, s14, v18
	v_lshlrev_b64 v[20:21], 2, v[0:1]
	v_addc_co_u32_e32 v19, vcc, v31, v19, vcc
	v_add_co_u32_e32 v20, vcc, s14, v20
	v_addc_co_u32_e32 v21, vcc, v31, v21, vcc
	v_mov_b32_e32 v17, s9
	v_add_co_u32_e32 v32, vcc, s8, v6
	v_addc_co_u32_e32 v33, vcc, v17, v7, vcc
	global_load_dword v17, v[32:33], off
	s_load_dword s0, s[4:5], 0x20
	s_mul_i32 s3, s6, 0xffffffb3
	s_waitcnt vmcnt(0) lgkmcnt(0)
	v_mul_f32_e32 v17, s0, v17
	v_mul_f32_e32 v30, 0x4c9e9632, v17
	v_div_scale_f32 v17, s[0:1], v30, v30, 1.0
	v_rcp_f32_e32 v23, v17
	v_fma_f32 v32, -v17, v23, 1.0
	v_fmac_f32_e32 v23, v32, v23
	v_div_scale_f32 v32, vcc, 1.0, v30, 1.0
	v_mul_f32_e32 v33, v32, v23
	v_fma_f32 v34, -v17, v33, v32
	v_fmac_f32_e32 v33, v34, v23
	v_fma_f32 v17, -v17, v33, v32
	v_div_fmas_f32 v33, v17, v23, v33
	global_load_dword v32, v[24:25], off
	global_load_dword v23, v[26:27], off
	s_waitcnt vmcnt(0)
	v_mul_f32_e32 v34, v32, v23
	v_div_scale_f32 v17, s[0:1], v34, v34, 1.0
	s_mul_i32 s0, s6, 0xffffffbd
	v_rcp_f32_e32 v24, v17
	v_fma_f32 v25, -v17, v24, 1.0
	v_fmac_f32_e32 v24, v25, v24
	v_div_scale_f32 v25, vcc, 1.0, v34, 1.0
	v_mul_f32_e32 v26, v25, v24
	v_fma_f32 v27, -v17, v26, v25
	v_fmac_f32_e32 v26, v27, v24
	v_fma_f32 v17, -v17, v26, v25
	v_div_fmas_f32 v35, v17, v24, v26
	v_add_u32_e32 v24, s0, v22
	v_mov_b32_e32 v25, v1
	v_lshlrev_b64 v[24:25], 2, v[24:25]
	v_mov_b32_e32 v17, v1
	v_add_co_u32_e32 v24, vcc, s14, v24
	global_load_dword v27, v[14:15], off
	s_nop 0
	global_load_dword v18, v[18:19], off
	v_lshlrev_b64 v[14:15], 2, v[16:17]
	v_addc_co_u32_e32 v25, vcc, v31, v25, vcc
	v_add_co_u32_e32 v16, vcc, s10, v14
	v_addc_co_u32_e32 v17, vcc, v29, v15, vcc
	global_load_dword v16, v[16:17], off
	s_nop 0
	global_load_dword v22, v[20:21], off
	s_nop 0
	;; [unrolled: 2-line block ×3, first 2 shown]
	global_load_dword v26, v[24:25], off
	global_load_dword v20, v[2:3], off
	;; [unrolled: 1-line block ×3, first 2 shown]
	v_div_fixup_f32 v13, v35, v34, 1.0
	s_waitcnt vmcnt(1)
	v_mul_f32_e32 v17, v27, v20
	v_mul_f32_e32 v13, v17, v13
	v_min_f32_e32 v13, 0x7cf0bdc2, v13
	v_mul_f32_e32 v12, v12, v13
	s_waitcnt vmcnt(0)
	v_mul_f32_e32 v13, v21, v18
	global_store_dword v[10:11], v12, off
	v_div_scale_f32 v10, s[0:1], v13, v13, 1.0
	v_rcp_f32_e32 v11, v10
	v_fma_f32 v12, -v10, v11, 1.0
	v_fmac_f32_e32 v11, v12, v11
	v_div_scale_f32 v12, vcc, 1.0, v13, 1.0
	v_mul_f32_e32 v17, v12, v11
	v_fma_f32 v18, -v10, v17, v12
	v_fmac_f32_e32 v17, v18, v11
	v_fma_f32 v10, -v10, v17, v12
	v_div_fmas_f32 v12, v10, v11, v17
	v_add_co_u32_e32 v10, vcc, s12, v14
	v_div_scale_f32 v14, s[0:1], v22, v22, 1.0
	v_addc_co_u32_e32 v11, vcc, v28, v15, vcc
	v_div_scale_f32 v15, vcc, 1.0, v22, 1.0
	v_add_co_u32_e64 v24, s[0:1], s14, v8
	v_addc_co_u32_e64 v25, s[0:1], v31, v9, s[0:1]
	s_mul_i32 s0, s6, 0x41
	v_add_u32_e32 v0, s0, v0
	v_div_fixup_f32 v12, v12, v13, 1.0
	v_mul_f32_e32 v13, v20, v26
	v_mul_f32_e32 v12, v13, v12
	v_rcp_f32_e32 v13, v14
	v_min_f32_e32 v12, 0x7cf0bdc2, v12
	v_mul_f32_e32 v12, v16, v12
	global_store_dword v[10:11], v12, off
	v_fma_f32 v8, -v14, v13, 1.0
	v_fmac_f32_e32 v13, v8, v13
	v_lshlrev_b64 v[9:10], 2, v[0:1]
	v_mul_f32_e32 v16, v15, v13
	v_fma_f32 v8, -v14, v16, v15
	v_add_co_u32_e64 v11, s[0:1], s10, v9
	v_fmac_f32_e32 v16, v8, v13
	v_addc_co_u32_e64 v12, s[0:1], v29, v10, s[0:1]
	v_fma_f32 v14, -v14, v16, v15
	global_load_dword v15, v[11:12], off
	global_load_dword v8, v[24:25], off
	v_div_fmas_f32 v11, v14, v13, v16
	v_div_fixup_f32 v12, v33, v30, 1.0
	v_mul_f32_e32 v13, v20, v21
	v_mul_f32_e32 v30, 0x49776020, v12
	v_div_scale_f32 v12, s[0:1], v13, v13, 1.0
	v_add_co_u32_e32 v9, vcc, s12, v9
	v_addc_co_u32_e32 v10, vcc, v28, v10, vcc
	s_mul_i32 s0, s6, 0xffffffb5
	v_add_u32_e32 v0, s0, v0
	s_mul_i32 s0, s6, 0x4c
	v_div_fixup_f32 v11, v11, v22, 1.0
	s_waitcnt vmcnt(0)
	v_mul_f32_e32 v14, v21, v8
	v_mul_f32_e32 v14, v30, v14
	;; [unrolled: 1-line block ×3, first 2 shown]
	v_div_scale_f32 v14, vcc, 1.0, v13, 1.0
	v_min_f32_e32 v11, 0x7cf0bdc2, v11
	v_mul_f32_e32 v11, v15, v11
	v_rcp_f32_e32 v15, v12
	global_store_dword v[9:10], v11, off
	v_mul_f32_e32 v32, v32, v8
	v_mul_f32_e32 v26, v26, v8
	v_fma_f32 v9, -v12, v15, 1.0
	v_fmac_f32_e32 v15, v9, v15
	v_mul_f32_e32 v9, v14, v15
	v_fma_f32 v10, -v12, v9, v14
	v_fmac_f32_e32 v9, v10, v15
	v_fma_f32 v10, -v12, v9, v14
	v_div_fmas_f32 v14, v10, v15, v9
	v_lshlrev_b64 v[9:10], 2, v[0:1]
	v_add_u32_e32 v0, s0, v0
	v_add_co_u32_e32 v18, vcc, s14, v9
	v_addc_co_u32_e32 v19, vcc, v31, v10, vcc
	v_lshlrev_b64 v[9:10], 2, v[0:1]
	s_mul_i32 s0, s6, 0xffffffb6
	v_add_co_u32_e32 v11, vcc, s10, v9
	v_addc_co_u32_e32 v12, vcc, v29, v10, vcc
	v_add_co_u32_e32 v9, vcc, s12, v9
	v_add_u32_e32 v0, s0, v0
	v_div_fixup_f32 v13, v14, v13, 1.0
	global_load_dword v14, v[11:12], off
	global_load_dword v38, v[18:19], off
	v_addc_co_u32_e32 v10, vcc, v28, v10, vcc
	s_waitcnt vmcnt(0)
	v_mul_f32_e32 v11, v8, v38
	v_mul_f32_e32 v11, v13, v11
	v_min_f32_e32 v11, 0x7cf0bdc2, v11
	v_mul_f32_e32 v11, v14, v11
	v_lshlrev_b64 v[12:13], 2, v[0:1]
	v_add_u32_e32 v0, s6, v0
	global_store_dword v[9:10], v11, off
	v_lshlrev_b64 v[10:11], 2, v[0:1]
	v_lshl_add_u32 v0, s6, 2, v0
	v_add_co_u32_e32 v10, vcc, s14, v10
	v_lshlrev_b64 v[14:15], 2, v[0:1]
	v_addc_co_u32_e32 v11, vcc, v31, v11, vcc
	v_add_co_u32_e32 v14, vcc, s14, v14
	v_addc_co_u32_e32 v15, vcc, v31, v15, vcc
	global_load_dword v9, v[14:15], off
	global_load_dword v34, v[10:11], off
	s_waitcnt vmcnt(0)
	v_mul_f32_e32 v33, v34, v9
	v_div_scale_f32 v14, s[0:1], v33, v33, 1.0
	s_mul_i32 s0, s6, 0x46
	v_add_u32_e32 v0, s0, v0
	s_mul_i32 s1, s6, 0xffffffbb
	v_mul_f32_e32 v9, v8, v9
	v_rcp_f32_e32 v15, v14
	v_fma_f32 v16, -v14, v15, 1.0
	v_fmac_f32_e32 v15, v16, v15
	v_div_scale_f32 v16, vcc, 1.0, v33, 1.0
	v_mul_f32_e32 v17, v16, v15
	v_fma_f32 v35, -v14, v17, v16
	v_fmac_f32_e32 v17, v35, v15
	v_fma_f32 v14, -v14, v17, v16
	v_div_fmas_f32 v35, v14, v15, v17
	v_add_co_u32_e32 v12, vcc, s14, v12
	v_addc_co_u32_e32 v13, vcc, v31, v13, vcc
	v_lshlrev_b64 v[14:15], 2, v[0:1]
	global_load_dword v40, v[12:13], off
	v_add_co_u32_e32 v16, vcc, s10, v14
	v_addc_co_u32_e32 v17, vcc, v29, v15, vcc
	global_load_dword v16, v[16:17], off
	v_add_co_u32_e32 v14, vcc, s12, v14
	v_addc_co_u32_e32 v15, vcc, v28, v15, vcc
	v_div_fixup_f32 v17, v35, v33, 1.0
	v_add_u32_e32 v0, s1, v0
	s_waitcnt vmcnt(1)
	v_mul_f32_e32 v36, v8, v40
	v_mul_f32_e32 v17, v36, v17
	v_min_f32_e32 v17, 0x7cf0bdc2, v17
	s_waitcnt vmcnt(0)
	v_mul_f32_e32 v16, v16, v17
	global_store_dword v[14:15], v16, off
	v_lshlrev_b64 v[14:15], 2, v[0:1]
	v_add_u32_e32 v0, s0, v0
	v_add_co_u32_e32 v16, vcc, s14, v14
	v_addc_co_u32_e32 v17, vcc, v31, v15, vcc
	global_load_dword v33, v[16:17], off
	s_waitcnt vmcnt(0)
	v_mul_f32_e32 v37, v34, v33
	v_div_scale_f32 v14, s[4:5], v37, v37, 1.0
	v_rcp_f32_e32 v15, v14
	v_fma_f32 v34, -v14, v15, 1.0
	v_fmac_f32_e32 v15, v34, v15
	v_div_scale_f32 v34, vcc, 1.0, v37, 1.0
	v_mul_f32_e32 v35, v34, v15
	v_fma_f32 v39, -v14, v35, v34
	v_fmac_f32_e32 v35, v39, v15
	v_fma_f32 v14, -v14, v35, v34
	v_div_fmas_f32 v39, v14, v15, v35
	v_lshlrev_b64 v[14:15], 2, v[0:1]
	v_add_u32_e32 v0, s3, v0
	v_add_co_u32_e32 v34, vcc, s10, v14
	v_addc_co_u32_e32 v35, vcc, v29, v15, vcc
	global_load_dword v34, v[34:35], off
	v_add_co_u32_e32 v14, vcc, s12, v14
	v_addc_co_u32_e32 v15, vcc, v28, v15, vcc
	v_div_fixup_f32 v35, v39, v37, 1.0
	v_mul_f32_e32 v35, v36, v35
	v_min_f32_e32 v35, 0x7cf0bdc2, v35
	v_mad_u64_u32 v[36:37], s[4:5], s6, 14, v[0:1]
	v_mov_b32_e32 v37, v1
	s_waitcnt vmcnt(0)
	v_mul_f32_e32 v34, v34, v35
	global_store_dword v[14:15], v34, off
	v_lshlrev_b64 v[14:15], 2, v[0:1]
	v_add_co_u32_e32 v34, vcc, s14, v14
	v_addc_co_u32_e32 v35, vcc, v31, v15, vcc
	v_lshlrev_b64 v[14:15], 2, v[36:37]
	v_add_co_u32_e32 v14, vcc, s14, v14
	v_addc_co_u32_e32 v15, vcc, v31, v15, vcc
	global_load_dword v41, v[14:15], off
	s_waitcnt vmcnt(0)
	v_mul_f32_e32 v42, v38, v41
	v_div_scale_f32 v0, s[4:5], v42, v42, 1.0
	v_rcp_f32_e32 v37, v0
	v_fma_f32 v38, -v0, v37, 1.0
	v_fmac_f32_e32 v37, v38, v37
	v_div_scale_f32 v38, vcc, 1.0, v42, 1.0
	v_mul_f32_e32 v39, v38, v37
	v_fma_f32 v43, -v0, v39, v38
	v_fmac_f32_e32 v39, v43, v37
	v_fma_f32 v0, -v0, v39, v38
	v_div_fmas_f32 v43, v0, v37, v39
	v_lshl_add_u32 v0, s6, 6, v36
	v_lshlrev_b64 v[36:37], 2, v[0:1]
	v_add_u32_e32 v0, s6, v0
	v_add_co_u32_e32 v38, vcc, s10, v36
	v_addc_co_u32_e32 v39, vcc, v29, v37, vcc
	global_load_dword v44, v[34:35], off
	s_nop 0
	global_load_dword v34, v[38:39], off
	v_add_co_u32_e32 v36, vcc, s12, v36
	v_addc_co_u32_e32 v37, vcc, v28, v37, vcc
	v_mul_f32_e32 v39, v20, v40
	v_mul_f32_e32 v20, v20, v8
	v_div_fixup_f32 v35, v43, v42, 1.0
	s_waitcnt vmcnt(1)
	v_mul_f32_e32 v38, v8, v44
	v_mul_f32_e32 v35, v38, v35
	v_min_f32_e32 v35, 0x7cf0bdc2, v35
	s_waitcnt vmcnt(0)
	v_mul_f32_e32 v34, v34, v35
	global_store_dword v[36:37], v34, off
	v_div_scale_f32 v34, s[4:5], v39, v39, 1.0
	v_rcp_f32_e32 v35, v34
	v_fma_f32 v36, -v34, v35, 1.0
	v_fmac_f32_e32 v35, v36, v35
	v_div_scale_f32 v36, vcc, 1.0, v39, 1.0
	v_mul_f32_e32 v37, v36, v35
	v_fma_f32 v42, -v34, v37, v36
	v_fmac_f32_e32 v37, v42, v35
	v_fma_f32 v34, -v34, v37, v36
	v_div_fmas_f32 v42, v34, v35, v37
	v_lshlrev_b64 v[34:35], 2, v[0:1]
	v_add_u32_e32 v0, s6, v0
	v_add_co_u32_e32 v36, vcc, s10, v34
	v_addc_co_u32_e32 v37, vcc, v29, v35, vcc
	global_load_dword v36, v[36:37], off
	v_add_co_u32_e32 v34, vcc, s12, v34
	v_addc_co_u32_e32 v35, vcc, v28, v35, vcc
	v_div_fixup_f32 v37, v42, v39, 1.0
	v_mul_f32_e32 v37, v37, v38
	v_min_f32_e32 v37, 0x7cf0bdc2, v37
	v_mul_f32_e32 v38, v22, v44
	s_waitcnt vmcnt(0)
	v_mul_f32_e32 v36, v37, v36
	global_store_dword v[34:35], v36, off
	v_div_scale_f32 v34, s[4:5], v38, v38, 1.0
	v_rcp_f32_e32 v35, v34
	v_fma_f32 v36, -v34, v35, 1.0
	v_fmac_f32_e32 v35, v36, v35
	v_div_scale_f32 v36, vcc, 1.0, v38, 1.0
	v_mul_f32_e32 v37, v36, v35
	v_fma_f32 v39, -v34, v37, v36
	v_fmac_f32_e32 v37, v39, v35
	v_fma_f32 v34, -v34, v37, v36
	v_div_fmas_f32 v39, v34, v35, v37
	v_lshlrev_b64 v[34:35], 2, v[0:1]
	v_add_u32_e32 v0, s6, v0
	v_add_co_u32_e32 v36, vcc, s10, v34
	v_addc_co_u32_e32 v37, vcc, v29, v35, vcc
	global_load_dword v36, v[36:37], off
	v_add_co_u32_e32 v34, vcc, s12, v34
	v_addc_co_u32_e32 v35, vcc, v28, v35, vcc
	v_div_fixup_f32 v37, v39, v38, 1.0
	v_mul_f32_e32 v38, v27, v8
	v_mul_f32_e32 v37, v38, v37
	v_min_f32_e32 v37, 0x7cf0bdc2, v37
	v_mul_f32_e32 v39, v40, v41
	v_mul_f32_e32 v27, v27, v22
	s_waitcnt vmcnt(0)
	v_mul_f32_e32 v36, v37, v36
	global_store_dword v[34:35], v36, off
	v_div_scale_f32 v34, s[4:5], v39, v39, 1.0
	v_rcp_f32_e32 v35, v34
	v_fma_f32 v36, -v34, v35, 1.0
	v_fmac_f32_e32 v35, v36, v35
	v_div_scale_f32 v36, vcc, 1.0, v39, 1.0
	v_mul_f32_e32 v37, v36, v35
	v_fma_f32 v40, -v34, v37, v36
	v_fmac_f32_e32 v37, v40, v35
	v_fma_f32 v34, -v34, v37, v36
	v_div_fmas_f32 v40, v34, v35, v37
	v_lshlrev_b64 v[34:35], 2, v[0:1]
	v_add_u32_e32 v0, s6, v0
	v_add_co_u32_e32 v36, vcc, s10, v34
	v_addc_co_u32_e32 v37, vcc, v29, v35, vcc
	global_load_dword v36, v[36:37], off
	v_add_co_u32_e32 v34, vcc, s12, v34
	v_addc_co_u32_e32 v35, vcc, v28, v35, vcc
	v_div_fixup_f32 v37, v40, v39, 1.0
	v_mul_f32_e32 v37, v38, v37
	v_min_f32_e32 v37, 0x7cf0bdc2, v37
	v_mul_f32_e32 v39, v23, v8
	v_mul_f32_e32 v8, v8, v33
	s_waitcnt vmcnt(0)
	v_mul_f32_e32 v36, v37, v36
	global_store_dword v[34:35], v36, off
	v_div_scale_f32 v34, s[4:5], v27, v27, 1.0
	s_mul_i32 s4, s6, 0xffffffbc
	v_rcp_f32_e32 v35, v34
	v_fma_f32 v36, -v34, v35, 1.0
	v_fmac_f32_e32 v35, v36, v35
	v_div_scale_f32 v36, vcc, 1.0, v27, 1.0
	v_mul_f32_e32 v37, v36, v35
	v_fma_f32 v38, -v34, v37, v36
	v_fmac_f32_e32 v37, v38, v35
	v_fma_f32 v34, -v34, v37, v36
	v_div_fmas_f32 v38, v34, v35, v37
	v_lshlrev_b64 v[34:35], 2, v[0:1]
	v_add_u32_e32 v0, s2, v0
	v_add_co_u32_e32 v36, vcc, s10, v34
	v_addc_co_u32_e32 v37, vcc, v29, v35, vcc
	global_load_dword v36, v[36:37], off
	v_add_co_u32_e32 v34, vcc, s12, v34
	v_addc_co_u32_e32 v35, vcc, v28, v35, vcc
	v_div_fixup_f32 v27, v38, v27, 1.0
	v_mul_f32_e32 v27, v32, v27
	v_min_f32_e32 v27, 0x7cf0bdc2, v27
	s_waitcnt vmcnt(0)
	v_mul_f32_e32 v27, v27, v36
	global_store_dword v[34:35], v27, off
	v_lshlrev_b64 v[34:35], 2, v[0:1]
	v_add_co_u32_e32 v34, vcc, s14, v34
	v_addc_co_u32_e32 v35, vcc, v31, v35, vcc
	global_load_dword v27, v[34:35], off
	s_waitcnt vmcnt(0)
	v_mul_f32_e32 v27, v21, v27
	v_div_scale_f32 v32, s[2:3], v27, v27, 1.0
	s_mul_i32 s2, s6, 0x42
	v_add_u32_e32 v0, s2, v0
	s_mul_i32 s2, s6, 0xffffffb7
	v_rcp_f32_e32 v34, v32
	v_fma_f32 v35, -v32, v34, 1.0
	v_fmac_f32_e32 v34, v35, v34
	v_div_scale_f32 v35, vcc, 1.0, v27, 1.0
	v_mul_f32_e32 v36, v35, v34
	v_fma_f32 v37, -v32, v36, v35
	v_fmac_f32_e32 v36, v37, v34
	v_fma_f32 v32, -v32, v36, v35
	v_div_fmas_f32 v32, v32, v34, v36
	v_lshlrev_b64 v[34:35], 2, v[0:1]
	v_add_u32_e32 v0, s2, v0
	v_add_co_u32_e32 v36, vcc, s10, v34
	v_addc_co_u32_e32 v37, vcc, v29, v35, vcc
	global_load_dword v36, v[36:37], off
	v_add_co_u32_e32 v34, vcc, s12, v34
	v_addc_co_u32_e32 v35, vcc, v28, v35, vcc
	v_div_fixup_f32 v27, v32, v27, 1.0
	v_mul_f32_e32 v26, v26, v27
	v_min_f32_e32 v26, 0x7cf0bdc2, v26
	s_waitcnt vmcnt(0)
	v_mul_f32_e32 v26, v36, v26
	global_store_dword v[34:35], v26, off
	v_lshlrev_b64 v[26:27], 2, v[0:1]
	v_add_co_u32_e32 v26, vcc, s14, v26
	v_addc_co_u32_e32 v27, vcc, v31, v27, vcc
	global_load_dword v32, v[26:27], off
	s_waitcnt vmcnt(0)
	v_mul_f32_e32 v32, v22, v32
	v_div_scale_f32 v34, s[2:3], v32, v32, 1.0
	s_mul_i32 s2, s6, 0x4a
	v_add_u32_e32 v0, s2, v0
	s_mul_i32 s2, s6, 0xffffffc4
	v_rcp_f32_e32 v35, v34
	v_fma_f32 v36, -v34, v35, 1.0
	v_fmac_f32_e32 v35, v36, v35
	v_div_scale_f32 v36, vcc, 1.0, v32, 1.0
	v_mul_f32_e32 v37, v36, v35
	v_fma_f32 v38, -v34, v37, v36
	v_fmac_f32_e32 v37, v38, v35
	v_fma_f32 v34, -v34, v37, v36
	v_div_fmas_f32 v38, v34, v35, v37
	v_lshlrev_b64 v[34:35], 2, v[0:1]
	v_add_u32_e32 v0, s2, v0
	v_add_co_u32_e32 v36, vcc, s10, v34
	v_addc_co_u32_e32 v37, vcc, v29, v35, vcc
	global_load_dword v36, v[36:37], off
	v_add_co_u32_e32 v34, vcc, s12, v34
	v_addc_co_u32_e32 v35, vcc, v28, v35, vcc
	v_div_fixup_f32 v32, v38, v32, 1.0
	v_mul_f32_e32 v32, v39, v32
	v_min_f32_e32 v32, 0x7cf0bdc2, v32
	s_waitcnt vmcnt(0)
	v_mul_f32_e32 v32, v36, v32
	global_store_dword v[34:35], v32, off
	v_lshlrev_b64 v[34:35], 2, v[0:1]
	v_add_co_u32_e32 v34, vcc, s14, v34
	v_addc_co_u32_e32 v35, vcc, v31, v35, vcc
	global_load_dword v32, v[34:35], off
	s_waitcnt vmcnt(0)
	v_div_scale_f32 v34, s[2:3], v32, v32, 1.0
	v_rcp_f32_e32 v35, v34
	v_fma_f32 v36, -v34, v35, 1.0
	v_fmac_f32_e32 v35, v36, v35
	v_div_scale_f32 v36, vcc, 1.0, v32, 1.0
	v_mul_f32_e32 v37, v36, v35
	v_fma_f32 v38, -v34, v37, v36
	v_fmac_f32_e32 v37, v38, v35
	v_fma_f32 v34, -v34, v37, v36
	v_div_fmas_f32 v40, v34, v35, v37
	v_mad_u64_u32 v[34:35], s[2:3], s6, 61, v[0:1]
	v_mov_b32_e32 v35, v1
	v_lshlrev_b64 v[35:36], 2, v[34:35]
	v_add_co_u32_e32 v37, vcc, s10, v35
	v_addc_co_u32_e32 v38, vcc, v29, v36, vcc
	global_load_dword v0, v[37:38], off
	v_mul_f32_e32 v37, v30, v39
	v_add_co_u32_e32 v35, vcc, s12, v35
	v_addc_co_u32_e32 v36, vcc, v28, v36, vcc
	v_div_fixup_f32 v32, v40, v32, 1.0
	v_mul_f32_e32 v32, v37, v32
	v_min_f32_e32 v32, 0x7cf0bdc2, v32
	s_waitcnt vmcnt(0)
	v_mul_f32_e32 v0, v0, v32
	v_mul_f32_e32 v32, v23, v22
	v_div_scale_f32 v22, s[2:3], v32, v32, 1.0
	global_store_dword v[35:36], v0, off
	v_add_u32_e32 v0, s6, v34
	v_rcp_f32_e32 v23, v22
	v_fma_f32 v34, -v22, v23, 1.0
	v_fmac_f32_e32 v23, v34, v23
	v_div_scale_f32 v34, vcc, 1.0, v32, 1.0
	v_mul_f32_e32 v35, v34, v23
	v_fma_f32 v36, -v22, v35, v34
	v_fmac_f32_e32 v35, v36, v23
	v_fma_f32 v22, -v22, v35, v34
	v_div_fmas_f32 v36, v22, v23, v35
	v_lshlrev_b64 v[22:23], 2, v[0:1]
	v_add_u32_e32 v0, s4, v0
	v_add_co_u32_e32 v34, vcc, s10, v22
	v_addc_co_u32_e32 v35, vcc, v29, v23, vcc
	global_load_dword v34, v[34:35], off
	v_add_co_u32_e32 v22, vcc, s12, v22
	v_addc_co_u32_e32 v23, vcc, v28, v23, vcc
	v_div_fixup_f32 v32, v36, v32, 1.0
	v_mul_f32_e32 v20, v20, v32
	v_min_f32_e32 v20, 0x7cf0bdc2, v20
	s_waitcnt vmcnt(0)
	v_mul_f32_e32 v20, v20, v34
	global_store_dword v[22:23], v20, off
	v_lshlrev_b64 v[22:23], 2, v[0:1]
	v_add_co_u32_e32 v22, vcc, s14, v22
	v_addc_co_u32_e32 v23, vcc, v31, v23, vcc
	global_load_dword v32, v[22:23], off
	s_waitcnt vmcnt(0)
	v_mul_f32_e32 v34, v21, v32
	v_div_scale_f32 v20, s[2:3], v34, v34, 1.0
	s_mul_i32 s2, s6, 0x45
	v_add_u32_e32 v0, s2, v0
	v_rcp_f32_e32 v21, v20
	v_fma_f32 v22, -v20, v21, 1.0
	v_fmac_f32_e32 v21, v22, v21
	v_div_scale_f32 v22, vcc, 1.0, v34, 1.0
	v_mul_f32_e32 v23, v22, v21
	v_fma_f32 v35, -v20, v23, v22
	v_fmac_f32_e32 v23, v35, v21
	v_fma_f32 v20, -v20, v23, v22
	v_div_fmas_f32 v35, v20, v21, v23
	v_lshlrev_b64 v[20:21], 2, v[0:1]
	v_add_u32_e32 v0, s6, v0
	v_add_co_u32_e32 v22, vcc, s10, v20
	v_addc_co_u32_e32 v23, vcc, v29, v21, vcc
	global_load_dword v22, v[22:23], off
	v_add_co_u32_e32 v20, vcc, s12, v20
	v_addc_co_u32_e32 v21, vcc, v28, v21, vcc
	v_div_fixup_f32 v34, v35, v34, 1.0
	v_mul_f32_e32 v9, v9, v34
	v_min_f32_e32 v9, 0x7cf0bdc2, v9
	v_mul_f32_e32 v8, v8, v34
	v_min_f32_e32 v8, 0x7cf0bdc2, v8
	s_waitcnt vmcnt(0)
	v_mul_f32_e32 v9, v22, v9
	global_store_dword v[20:21], v9, off
	v_lshlrev_b64 v[20:21], 2, v[0:1]
	v_add_u32_e32 v0, s4, v0
	v_add_co_u32_e32 v22, vcc, s10, v20
	v_addc_co_u32_e32 v23, vcc, v29, v21, vcc
	global_load_dword v9, v[22:23], off
	v_add_co_u32_e32 v20, vcc, s12, v20
	v_addc_co_u32_e32 v21, vcc, v28, v21, vcc
	s_waitcnt vmcnt(0)
	v_mul_f32_e32 v8, v9, v8
	global_store_dword v[20:21], v8, off
	v_lshlrev_b64 v[8:9], 2, v[0:1]
	v_add_u32_e32 v0, s2, v0
	v_add_co_u32_e32 v33, vcc, s14, v8
	v_addc_co_u32_e32 v34, vcc, v31, v9, vcc
	global_load_dword v33, v[33:34], off
	s_mul_i32 s2, s6, 0xffffffba
	v_lshlrev_b64 v[35:36], 2, v[0:1]
	v_add_u32_e32 v0, s2, v0
	v_lshlrev_b64 v[8:9], 2, v[0:1]
	s_mul_i32 s2, s6, 0x47
	v_add_co_u32_e32 v37, vcc, s14, v8
	v_add_u32_e32 v0, s2, v0
	v_addc_co_u32_e32 v38, vcc, v31, v9, vcc
	v_lshlrev_b64 v[8:9], 2, v[0:1]
	v_add_u32_e32 v0, s1, v0
	v_lshlrev_b64 v[20:21], 2, v[0:1]
	v_add_u32_e32 v0, s0, v0
	v_add_co_u32_e32 v20, vcc, s14, v20
	v_addc_co_u32_e32 v21, vcc, v31, v21, vcc
	v_add_co_u32_e32 v22, vcc, s14, v6
	v_addc_co_u32_e32 v23, vcc, v31, v7, vcc
	s_waitcnt vmcnt(0)
	v_div_scale_f32 v6, s[2:3], v33, v33, 1.0
	v_rcp_f32_e32 v7, v6
	v_fma_f32 v31, -v6, v7, 1.0
	v_fmac_f32_e32 v7, v31, v7
	v_div_scale_f32 v31, vcc, 1.0, v33, 1.0
	v_mul_f32_e32 v34, v31, v7
	v_fma_f32 v39, -v6, v34, v31
	v_fmac_f32_e32 v34, v39, v7
	v_fma_f32 v6, -v6, v34, v31
	global_load_dword v31, v[4:5], off
	s_nop 0
	global_load_dword v4, v[37:38], off
	v_div_fmas_f32 v34, v6, v7, v34
	v_add_co_u32_e32 v39, vcc, s10, v35
	v_addc_co_u32_e32 v40, vcc, v29, v36, vcc
	v_add_co_u32_e32 v6, vcc, s12, v35
	v_addc_co_u32_e32 v7, vcc, v28, v36, vcc
	global_load_dword v24, v[24:25], off
	s_nop 0
	global_load_dword v26, v[26:27], off
	s_nop 0
	global_load_dword v25, v[39:40], off
	global_load_dword v27, v[2:3], off
	s_nop 0
	global_load_dword v23, v[22:23], off
	s_waitcnt vmcnt(5)
	v_mul_f32_e32 v4, v31, v4
	v_div_scale_f32 v5, s[2:3], v4, v4, 1.0
	v_rcp_f32_e32 v35, v5
	v_fma_f32 v36, -v5, v35, 1.0
	v_fmac_f32_e32 v35, v36, v35
	v_div_scale_f32 v36, vcc, 1.0, v4, 1.0
	v_mul_f32_e32 v37, v36, v35
	v_fma_f32 v38, -v5, v37, v36
	v_fmac_f32_e32 v37, v38, v35
	v_fma_f32 v5, -v5, v37, v36
	v_div_fmas_f32 v5, v5, v35, v37
	v_add_co_u32_e32 v2, vcc, s10, v8
	v_addc_co_u32_e32 v3, vcc, v29, v9, vcc
	global_load_dword v22, v[2:3], off
	s_nop 0
	global_load_dword v20, v[20:21], off
	v_lshlrev_b64 v[2:3], 2, v[0:1]
	v_add_u32_e32 v0, s6, v0
	v_add_co_u32_e32 v35, vcc, s10, v2
	v_addc_co_u32_e32 v36, vcc, v29, v3, vcc
	global_load_dword v21, v[35:36], off
	s_nop 0
	global_load_dword v18, v[18:19], off
	s_nop 0
	;; [unrolled: 2-line block ×4, first 2 shown]
	global_load_dword v13, v[16:17], off
	global_load_dword v12, v[14:15], off
	s_waitcnt vmcnt(12)
	v_mul_f32_e32 v15, v24, v24
	v_div_fixup_f32 v14, v34, v33, 1.0
	v_mul_f32_e32 v16, v30, v15
	v_mul_f32_e32 v14, v16, v14
	s_waitcnt vmcnt(11)
	v_mul_f32_e32 v16, v26, v32
	v_div_scale_f32 v17, s[0:1], v16, v16, 1.0
	v_min_f32_e32 v14, 0x7cf0bdc2, v14
	s_waitcnt vmcnt(10)
	v_mul_f32_e32 v14, v25, v14
	s_waitcnt vmcnt(8)
	v_mul_f32_e32 v19, v23, v27
	global_store_dword v[6:7], v14, off
	v_add_co_u32_e32 v6, vcc, s12, v8
	v_div_scale_f32 v8, s[0:1], 1.0, v16, 1.0
	v_div_scale_f32 v14, s[2:3], v19, v19, 1.0
	v_addc_co_u32_e32 v7, vcc, v28, v9, vcc
	v_div_scale_f32 v9, s[2:3], 1.0, v19, 1.0
	v_div_fixup_f32 v4, v5, v4, 1.0
	v_rcp_f32_e32 v5, v17
	v_mul_f32_e32 v4, v15, v4
	v_min_f32_e32 v4, 0x7cf0bdc2, v4
	s_mov_b64 vcc, s[0:1]
	v_add_co_u32_e64 v2, s[0:1], s12, v2
	s_waitcnt vmcnt(8)
	v_mul_f32_e32 v4, v22, v4
	global_store_dword v[6:7], v4, off
	v_fma_f32 v4, -v17, v5, 1.0
	v_fmac_f32_e32 v5, v4, v5
	v_mul_f32_e32 v4, v8, v5
	v_rcp_f32_e32 v7, v14
	v_fma_f32 v6, -v17, v4, v8
	v_fmac_f32_e32 v4, v6, v5
	v_fma_f32 v6, -v17, v4, v8
	v_div_fmas_f32 v8, v6, v5, v4
	v_fma_f32 v4, -v14, v7, 1.0
	v_fmac_f32_e32 v7, v4, v7
	v_mul_f32_e32 v4, v9, v7
	v_fma_f32 v5, -v14, v4, v9
	v_fmac_f32_e32 v4, v5, v7
	v_fma_f32 v5, -v14, v4, v9
	s_mov_b64 vcc, s[2:3]
	v_div_fmas_f32 v9, v5, v7, v4
	v_lshlrev_b64 v[6:7], 2, v[0:1]
	v_addc_co_u32_e64 v3, vcc, v28, v3, s[0:1]
	v_add_co_u32_e32 v4, vcc, s10, v6
	v_addc_co_u32_e32 v5, vcc, v29, v7, vcc
	global_load_dword v14, v[4:5], off
	v_div_fixup_f32 v4, v8, v16, 1.0
	s_waitcnt vmcnt(9)
	v_mul_f32_e32 v5, v24, v20
	v_mul_f32_e32 v4, v5, v4
	v_add_u32_e32 v0, s6, v0
	v_min_f32_e32 v4, 0x7cf0bdc2, v4
	s_waitcnt vmcnt(8)
	v_mul_f32_e32 v4, v21, v4
	global_store_dword v[2:3], v4, off
	v_div_fixup_f32 v16, v9, v19, 1.0
	v_lshlrev_b64 v[8:9], 2, v[0:1]
	s_waitcnt vmcnt(6)
	v_mul_f32_e32 v17, v10, v24
	v_add_co_u32_e32 v2, vcc, s10, v8
	v_addc_co_u32_e32 v3, vcc, v29, v9, vcc
	v_div_scale_f32 v23, s[0:1], v17, v17, 1.0
	global_load_dword v15, v[2:3], off
	v_add_u32_e32 v0, s6, v0
	v_lshlrev_b64 v[4:5], 2, v[0:1]
	v_add_u32_e32 v0, s6, v0
	v_add_co_u32_e32 v19, vcc, s10, v4
	v_addc_co_u32_e32 v20, vcc, v29, v5, vcc
	global_load_dword v19, v[19:20], off
	v_lshlrev_b64 v[2:3], 2, v[0:1]
	v_add_u32_e32 v0, s6, v0
	v_add_co_u32_e32 v21, vcc, s10, v2
	v_lshlrev_b64 v[0:1], 2, v[0:1]
	v_rcp_f32_e32 v20, v23
	v_addc_co_u32_e32 v22, vcc, v29, v3, vcc
	v_add_co_u32_e32 v25, vcc, s10, v0
	v_addc_co_u32_e32 v26, vcc, v29, v1, vcc
	global_load_dword v21, v[21:22], off
	v_fma_f32 v22, -v23, v20, 1.0
	v_fmac_f32_e32 v20, v22, v20
	v_div_scale_f32 v22, vcc, 1.0, v17, 1.0
	s_waitcnt vmcnt(8)
	v_mul_f32_e32 v13, v11, v13
	v_mul_f32_e32 v11, v11, v27
	;; [unrolled: 1-line block ×3, first 2 shown]
	v_fma_f32 v29, -v23, v24, v22
	v_fmac_f32_e32 v24, v29, v20
	v_fma_f32 v22, -v23, v24, v22
	v_div_fmas_f32 v20, v22, v20, v24
	global_load_dword v22, v[25:26], off
	v_div_scale_f32 v23, s[0:1], v13, v13, 1.0
	v_add_co_u32_e32 v6, vcc, s12, v6
	v_addc_co_u32_e32 v7, vcc, v28, v7, vcc
	v_div_scale_f32 v25, vcc, 1.0, v13, 1.0
	s_waitcnt vmcnt(8)
	v_mul_f32_e32 v24, v31, v12
	v_mul_f32_e32 v16, v24, v16
	v_min_f32_e32 v16, 0x7cf0bdc2, v16
	s_waitcnt vmcnt(5)
	v_mul_f32_e32 v14, v14, v16
	global_store_dword v[6:7], v14, off
	v_add_co_u32_e64 v6, s[0:1], s12, v8
	v_mul_f32_e32 v14, v10, v27
	v_addc_co_u32_e64 v7, s[0:1], v28, v9, s[0:1]
	v_rcp_f32_e32 v9, v23
	v_div_scale_f32 v16, s[0:1], v14, v14, 1.0
	v_div_fixup_f32 v8, v20, v17, 1.0
	v_fma_f32 v17, -v23, v9, 1.0
	v_fmac_f32_e32 v9, v17, v9
	v_mul_f32_e32 v17, v25, v9
	v_div_scale_f32 v26, s[0:1], 1.0, v14, 1.0
	v_fma_f32 v20, -v23, v17, v25
	v_fmac_f32_e32 v17, v20, v9
	v_fma_f32 v20, -v23, v17, v25
	v_div_fmas_f32 v9, v20, v9, v17
	v_div_scale_f32 v17, s[2:3], v11, v11, 1.0
	v_mul_f32_e32 v8, v24, v8
	v_min_f32_e32 v8, 0x7cf0bdc2, v8
	s_waitcnt vmcnt(4)
	v_mul_f32_e32 v8, v15, v8
	v_rcp_f32_e32 v15, v16
	global_store_dword v[6:7], v8, off
	v_div_scale_f32 v6, s[2:3], 1.0, v11, 1.0
	v_fma_f32 v7, -v16, v15, 1.0
	v_fmac_f32_e32 v15, v7, v15
	v_mul_f32_e32 v7, v26, v15
	v_fma_f32 v8, -v16, v7, v26
	v_fmac_f32_e32 v7, v8, v15
	v_fma_f32 v8, -v16, v7, v26
	s_mov_b64 vcc, s[0:1]
	v_div_fmas_f32 v7, v8, v15, v7
	v_div_fixup_f32 v8, v9, v13, 1.0
	v_rcp_f32_e32 v9, v17
	s_mov_b64 vcc, s[2:3]
	v_mul_f32_e32 v8, v24, v8
	v_min_f32_e32 v8, 0x7cf0bdc2, v8
	v_fma_f32 v13, -v17, v9, 1.0
	v_fmac_f32_e32 v9, v13, v9
	v_mul_f32_e32 v13, v6, v9
	v_fma_f32 v15, -v17, v13, v6
	v_fmac_f32_e32 v13, v15, v9
	v_fma_f32 v6, -v17, v13, v6
	v_div_fmas_f32 v6, v6, v9, v13
	v_add_co_u32_e32 v4, vcc, s12, v4
	s_waitcnt vmcnt(4)
	v_mul_f32_e32 v8, v19, v8
	v_addc_co_u32_e32 v5, vcc, v28, v5, vcc
	global_store_dword v[4:5], v8, off
	v_mul_f32_e32 v4, v18, v12
	v_div_fixup_f32 v5, v7, v14, 1.0
	v_mul_f32_e32 v4, v4, v5
	v_min_f32_e32 v4, 0x7cf0bdc2, v4
	v_add_co_u32_e32 v2, vcc, s12, v2
	s_waitcnt vmcnt(4)
	v_mul_f32_e32 v4, v21, v4
	v_addc_co_u32_e32 v3, vcc, v28, v3, vcc
	global_store_dword v[2:3], v4, off
	v_mul_f32_e32 v2, v10, v12
	v_div_fixup_f32 v3, v6, v11, 1.0
	v_mul_f32_e32 v2, v2, v3
	v_min_f32_e32 v2, 0x7cf0bdc2, v2
	v_add_co_u32_e32 v0, vcc, s12, v0
	s_waitcnt vmcnt(4)
	v_mul_f32_e32 v2, v22, v2
	v_addc_co_u32_e32 v1, vcc, v28, v1, vcc
	global_store_dword v[0:1], v2, off
	s_endpgm
	.section	.rodata,"a",@progbits
	.p2align	6, 0x0
	.amdhsa_kernel _Z12ratt5_kernelIfEvPKT_S2_PS0_S2_S0_
		.amdhsa_group_segment_fixed_size 0
		.amdhsa_private_segment_fixed_size 0
		.amdhsa_kernarg_size 296
		.amdhsa_user_sgpr_count 6
		.amdhsa_user_sgpr_private_segment_buffer 1
		.amdhsa_user_sgpr_dispatch_ptr 0
		.amdhsa_user_sgpr_queue_ptr 0
		.amdhsa_user_sgpr_kernarg_segment_ptr 1
		.amdhsa_user_sgpr_dispatch_id 0
		.amdhsa_user_sgpr_flat_scratch_init 0
		.amdhsa_user_sgpr_private_segment_size 0
		.amdhsa_uses_dynamic_stack 0
		.amdhsa_system_sgpr_private_segment_wavefront_offset 0
		.amdhsa_system_sgpr_workgroup_id_x 1
		.amdhsa_system_sgpr_workgroup_id_y 0
		.amdhsa_system_sgpr_workgroup_id_z 0
		.amdhsa_system_sgpr_workgroup_info 0
		.amdhsa_system_vgpr_workitem_id 0
		.amdhsa_next_free_vgpr 45
		.amdhsa_next_free_sgpr 16
		.amdhsa_reserve_vcc 1
		.amdhsa_reserve_flat_scratch 0
		.amdhsa_float_round_mode_32 0
		.amdhsa_float_round_mode_16_64 0
		.amdhsa_float_denorm_mode_32 3
		.amdhsa_float_denorm_mode_16_64 3
		.amdhsa_dx10_clamp 1
		.amdhsa_ieee_mode 1
		.amdhsa_fp16_overflow 0
		.amdhsa_exception_fp_ieee_invalid_op 0
		.amdhsa_exception_fp_denorm_src 0
		.amdhsa_exception_fp_ieee_div_zero 0
		.amdhsa_exception_fp_ieee_overflow 0
		.amdhsa_exception_fp_ieee_underflow 0
		.amdhsa_exception_fp_ieee_inexact 0
		.amdhsa_exception_int_div_zero 0
	.end_amdhsa_kernel
	.section	.text._Z12ratt5_kernelIfEvPKT_S2_PS0_S2_S0_,"axG",@progbits,_Z12ratt5_kernelIfEvPKT_S2_PS0_S2_S0_,comdat
.Lfunc_end6:
	.size	_Z12ratt5_kernelIfEvPKT_S2_PS0_S2_S0_, .Lfunc_end6-_Z12ratt5_kernelIfEvPKT_S2_PS0_S2_S0_
                                        ; -- End function
	.set _Z12ratt5_kernelIfEvPKT_S2_PS0_S2_S0_.num_vgpr, 45
	.set _Z12ratt5_kernelIfEvPKT_S2_PS0_S2_S0_.num_agpr, 0
	.set _Z12ratt5_kernelIfEvPKT_S2_PS0_S2_S0_.numbered_sgpr, 16
	.set _Z12ratt5_kernelIfEvPKT_S2_PS0_S2_S0_.num_named_barrier, 0
	.set _Z12ratt5_kernelIfEvPKT_S2_PS0_S2_S0_.private_seg_size, 0
	.set _Z12ratt5_kernelIfEvPKT_S2_PS0_S2_S0_.uses_vcc, 1
	.set _Z12ratt5_kernelIfEvPKT_S2_PS0_S2_S0_.uses_flat_scratch, 0
	.set _Z12ratt5_kernelIfEvPKT_S2_PS0_S2_S0_.has_dyn_sized_stack, 0
	.set _Z12ratt5_kernelIfEvPKT_S2_PS0_S2_S0_.has_recursion, 0
	.set _Z12ratt5_kernelIfEvPKT_S2_PS0_S2_S0_.has_indirect_call, 0
	.section	.AMDGPU.csdata,"",@progbits
; Kernel info:
; codeLenInByte = 4828
; TotalNumSgprs: 20
; NumVgprs: 45
; ScratchSize: 0
; MemoryBound: 0
; FloatMode: 240
; IeeeMode: 1
; LDSByteSize: 0 bytes/workgroup (compile time only)
; SGPRBlocks: 2
; VGPRBlocks: 11
; NumSGPRsForWavesPerEU: 20
; NumVGPRsForWavesPerEU: 45
; Occupancy: 5
; WaveLimiterHint : 0
; COMPUTE_PGM_RSRC2:SCRATCH_EN: 0
; COMPUTE_PGM_RSRC2:USER_SGPR: 6
; COMPUTE_PGM_RSRC2:TRAP_HANDLER: 0
; COMPUTE_PGM_RSRC2:TGID_X_EN: 1
; COMPUTE_PGM_RSRC2:TGID_Y_EN: 0
; COMPUTE_PGM_RSRC2:TGID_Z_EN: 0
; COMPUTE_PGM_RSRC2:TIDIG_COMP_CNT: 0
	.section	.text._Z12ratt6_kernelIfEvPKT_S2_PS0_S2_S0_,"axG",@progbits,_Z12ratt6_kernelIfEvPKT_S2_PS0_S2_S0_,comdat
	.protected	_Z12ratt6_kernelIfEvPKT_S2_PS0_S2_S0_ ; -- Begin function _Z12ratt6_kernelIfEvPKT_S2_PS0_S2_S0_
	.globl	_Z12ratt6_kernelIfEvPKT_S2_PS0_S2_S0_
	.p2align	8
	.type	_Z12ratt6_kernelIfEvPKT_S2_PS0_S2_S0_,@function
_Z12ratt6_kernelIfEvPKT_S2_PS0_S2_S0_:  ; @_Z12ratt6_kernelIfEvPKT_S2_PS0_S2_S0_
; %bb.0:
	s_load_dword s0, s[4:5], 0x34
	s_load_dword s1, s[4:5], 0x28
	s_load_dwordx8 s[8:15], s[4:5], 0x0
	v_mov_b32_e32 v1, 0
	s_waitcnt lgkmcnt(0)
	s_and_b32 s0, s0, 0xffff
	s_mul_i32 s6, s6, s0
	v_add_u32_e32 v0, s6, v0
	s_mul_i32 s0, s1, s0
	v_mad_u64_u32 v[2:3], s[2:3], s0, 3, v[0:1]
	v_mov_b32_e32 v3, v1
	v_mov_b32_e32 v24, s15
	v_lshlrev_b64 v[4:5], 2, v[2:3]
	v_mad_u64_u32 v[2:3], s[2:3], s0, 14, v[2:3]
	v_mov_b32_e32 v3, v1
	v_add_co_u32_e32 v8, vcc, s14, v4
	v_lshlrev_b64 v[3:4], 2, v[2:3]
	v_addc_co_u32_e32 v9, vcc, v24, v5, vcc
	s_mul_i32 s1, s0, -11
	v_add_co_u32_e32 v10, vcc, s14, v3
	v_add_u32_e32 v2, s1, v2
	v_mov_b32_e32 v3, v1
	v_addc_co_u32_e32 v11, vcc, v24, v4, vcc
	v_lshlrev_b64 v[3:4], 2, v[2:3]
	v_mov_b32_e32 v23, s11
	v_mad_u64_u32 v[5:6], s[2:3], s0, 10, v[2:3]
	v_mov_b32_e32 v6, v1
	v_add_co_u32_e32 v18, vcc, s14, v3
	v_lshlrev_b64 v[2:3], 2, v[5:6]
	v_addc_co_u32_e32 v19, vcc, v24, v4, vcc
	v_add_co_u32_e32 v20, vcc, s14, v2
	s_mul_i32 s2, s0, 0x54
	v_addc_co_u32_e32 v21, vcc, v24, v3, vcc
	v_add_u32_e32 v2, s2, v5
	v_mov_b32_e32 v3, v1
	v_lshlrev_b64 v[2:3], 2, v[2:3]
	v_mov_b32_e32 v22, s13
	v_add_co_u32_e32 v12, vcc, s10, v2
	v_addc_co_u32_e32 v13, vcc, v23, v3, vcc
	v_add_co_u32_e32 v6, vcc, s12, v2
	v_add_u32_e32 v4, s0, v0
	v_mov_b32_e32 v5, v1
	v_addc_co_u32_e32 v7, vcc, v22, v3, vcc
	v_lshlrev_b64 v[2:3], 2, v[4:5]
	s_mul_i32 s2, s0, 11
	v_add_u32_e32 v4, s2, v4
	v_add_co_u32_e32 v2, vcc, s14, v2
	v_lshlrev_b64 v[4:5], 2, v[4:5]
	v_addc_co_u32_e32 v3, vcc, v24, v3, vcc
	v_add_co_u32_e32 v4, vcc, s14, v4
	v_lshlrev_b64 v[14:15], 2, v[0:1]
	v_addc_co_u32_e32 v5, vcc, v24, v5, vcc
	v_mov_b32_e32 v16, s9
	v_add_co_u32_e32 v25, vcc, s8, v14
	v_addc_co_u32_e32 v26, vcc, v16, v15, vcc
	global_load_dword v25, v[25:26], off
	v_add_u32_e32 v0, s2, v0
	s_load_dword s2, s[4:5], 0x20
	v_add_co_u32_e32 v14, vcc, s14, v14
	v_lshlrev_b64 v[16:17], 2, v[0:1]
	v_addc_co_u32_e32 v15, vcc, v24, v15, vcc
	v_add_co_u32_e32 v16, vcc, s14, v16
	v_addc_co_u32_e32 v17, vcc, v24, v17, vcc
	s_mul_i32 s4, s0, 0x62
	s_waitcnt vmcnt(0) lgkmcnt(0)
	v_mul_f32_e32 v25, s2, v25
	v_mul_f32_e32 v25, 0x4c9e9632, v25
	v_div_scale_f32 v26, s[2:3], v25, v25, 1.0
	v_rcp_f32_e32 v27, v26
	v_fma_f32 v28, -v26, v27, 1.0
	v_fmac_f32_e32 v27, v28, v27
	v_div_scale_f32 v28, vcc, 1.0, v25, 1.0
	v_mul_f32_e32 v29, v28, v27
	v_fma_f32 v30, -v26, v29, v28
	v_fmac_f32_e32 v29, v30, v27
	v_fma_f32 v26, -v26, v29, v28
	v_div_fmas_f32 v26, v26, v27, v29
	global_load_dword v27, v[18:19], off
	global_load_dword v28, v[20:21], off
	s_waitcnt vmcnt(0)
	v_mul_f32_e32 v20, v27, v28
	v_div_scale_f32 v18, s[2:3], v20, v20, 1.0
	v_rcp_f32_e32 v19, v18
	v_fma_f32 v21, -v18, v19, 1.0
	v_fmac_f32_e32 v19, v21, v19
	v_div_scale_f32 v21, vcc, 1.0, v20, 1.0
	v_mul_f32_e32 v27, v21, v19
	v_fma_f32 v28, -v18, v27, v21
	v_fmac_f32_e32 v27, v28, v19
	v_fma_f32 v18, -v18, v27, v21
	v_div_fmas_f32 v21, v18, v19, v27
	global_load_dword v27, v[14:15], off
	global_load_dword v19, v[16:17], off
	;; [unrolled: 1-line block ×3, first 2 shown]
	s_waitcnt vmcnt(1)
	v_mul_f32_e32 v15, v27, v19
	v_div_scale_f32 v14, s[2:3], v15, v15, 1.0
	s_mul_i32 s2, s0, 0x5a
	v_add_u32_e32 v0, s2, v0
	s_mul_i32 s2, s0, 0xffffff9d
	v_rcp_f32_e32 v16, v14
	v_fma_f32 v17, -v14, v16, 1.0
	v_fmac_f32_e32 v16, v17, v16
	v_div_scale_f32 v17, vcc, 1.0, v15, 1.0
	v_mul_f32_e32 v27, v17, v16
	v_fma_f32 v28, -v14, v27, v17
	v_fmac_f32_e32 v27, v28, v16
	v_fma_f32 v14, -v14, v27, v17
	v_div_fmas_f32 v16, v14, v16, v27
	global_load_dword v27, v[12:13], off
	global_load_dword v28, v[10:11], off
	;; [unrolled: 1-line block ×4, first 2 shown]
	v_div_fixup_f32 v8, v21, v20, 1.0
	s_waitcnt vmcnt(1)
	v_mul_f32_e32 v9, v17, v28
	v_mul_f32_e32 v8, v9, v8
	v_min_f32_e32 v8, 0x7cf0bdc2, v8
	v_mul_f32_e32 v8, v27, v8
	global_store_dword v[6:7], v8, off
	v_lshlrev_b64 v[6:7], 2, v[0:1]
	v_add_u32_e32 v0, s2, v0
	v_add_co_u32_e32 v20, vcc, s10, v6
	v_addc_co_u32_e32 v21, vcc, v23, v7, vcc
	global_load_dword v8, v[20:21], off
	global_load_dword v12, v[4:5], off
	;; [unrolled: 1-line block ×4, first 2 shown]
	v_div_fixup_f32 v3, v16, v15, 1.0
	s_waitcnt vmcnt(1)
	v_mul_f32_e32 v2, v10, v12
	v_mul_f32_e32 v2, v2, v3
	v_min_f32_e32 v2, 0x7cf0bdc2, v2
	v_mul_f32_e32 v4, v8, v2
	v_add_co_u32_e32 v2, vcc, s12, v6
	v_addc_co_u32_e32 v3, vcc, v22, v7, vcc
	global_store_dword v[2:3], v4, off
	v_lshlrev_b64 v[2:3], 2, v[0:1]
	v_lshl_add_u32 v0, s0, 1, v0
	v_add_co_u32_e32 v4, vcc, s14, v2
	v_addc_co_u32_e32 v5, vcc, v24, v3, vcc
	v_lshlrev_b64 v[2:3], 2, v[0:1]
	v_add_u32_e32 v0, s4, v0
	v_add_co_u32_e32 v2, vcc, s14, v2
	v_addc_co_u32_e32 v3, vcc, v24, v3, vcc
	global_load_dword v11, v[2:3], off
	global_load_dword v6, v[2:3], off
	;; [unrolled: 1-line block ×3, first 2 shown]
	s_waitcnt vmcnt(2)
	v_mul_f32_e32 v8, v19, v11
	v_div_scale_f32 v2, s[2:3], v8, v8, 1.0
	s_mul_i32 s2, s0, 0xffffff9f
	v_rcp_f32_e32 v3, v2
	v_fma_f32 v13, -v2, v3, 1.0
	v_fmac_f32_e32 v3, v13, v3
	v_div_scale_f32 v13, vcc, 1.0, v8, 1.0
	v_mul_f32_e32 v15, v13, v3
	v_fma_f32 v16, -v2, v15, v13
	v_fmac_f32_e32 v15, v16, v3
	v_fma_f32 v2, -v2, v15, v13
	v_div_fmas_f32 v13, v2, v3, v15
	v_lshlrev_b64 v[2:3], 2, v[0:1]
	v_add_u32_e32 v0, s2, v0
	v_add_co_u32_e32 v15, vcc, s10, v2
	v_addc_co_u32_e32 v16, vcc, v23, v3, vcc
	v_add_co_u32_e32 v20, vcc, s12, v2
	v_addc_co_u32_e32 v21, vcc, v22, v3, vcc
	global_load_dword v2, v[4:5], off
	global_load_dword v3, v[15:16], off
	v_div_fixup_f32 v4, v13, v8, 1.0
	s_waitcnt vmcnt(1)
	v_mul_f32_e32 v5, v12, v2
	v_mul_f32_e32 v4, v5, v4
	v_min_f32_e32 v4, 0x7cf0bdc2, v4
	s_waitcnt vmcnt(0)
	v_mul_f32_e32 v3, v3, v4
	global_store_dword v[20:21], v3, off
	v_lshlrev_b64 v[3:4], 2, v[0:1]
	v_add_u32_e32 v0, s4, v0
	v_add_co_u32_e32 v3, vcc, s14, v3
	v_addc_co_u32_e32 v4, vcc, v24, v4, vcc
	global_load_dword v3, v[3:4], off
	s_mul_i32 s4, s0, 0xffffffa1
	s_waitcnt vmcnt(0)
	v_mul_f32_e32 v5, v19, v3
	v_div_scale_f32 v3, s[2:3], v5, v5, 1.0
	v_rcp_f32_e32 v4, v3
	v_fma_f32 v8, -v3, v4, 1.0
	v_fmac_f32_e32 v4, v8, v4
	v_div_scale_f32 v8, vcc, 1.0, v5, 1.0
	v_mul_f32_e32 v13, v8, v4
	v_fma_f32 v15, -v3, v13, v8
	v_fmac_f32_e32 v13, v15, v4
	v_fma_f32 v3, -v3, v13, v8
	v_div_fmas_f32 v8, v3, v4, v13
	v_lshlrev_b64 v[3:4], 2, v[0:1]
	v_add_u32_e32 v0, s4, v0
	v_add_co_u32_e32 v15, vcc, s10, v3
	v_addc_co_u32_e32 v16, vcc, v23, v4, vcc
	global_load_dword v13, v[15:16], off
	v_add_co_u32_e32 v3, vcc, s12, v3
	v_mad_u64_u32 v[15:16], s[2:3], s0, 13, v[0:1]
	v_addc_co_u32_e32 v4, vcc, v22, v4, vcc
	v_mov_b32_e32 v16, v1
	v_lshlrev_b64 v[20:21], 2, v[15:16]
	v_div_fixup_f32 v5, v8, v5, 1.0
	v_mul_f32_e32 v8, v12, v11
	v_mul_f32_e32 v5, v8, v5
	v_min_f32_e32 v5, 0x7cf0bdc2, v5
	s_waitcnt vmcnt(0)
	v_mul_f32_e32 v5, v13, v5
	global_store_dword v[3:4], v5, off
	v_lshlrev_b64 v[3:4], 2, v[0:1]
	v_add_co_u32_e32 v3, vcc, s14, v3
	v_addc_co_u32_e32 v4, vcc, v24, v4, vcc
	v_add_co_u32_e32 v20, vcc, s14, v20
	v_addc_co_u32_e32 v21, vcc, v24, v21, vcc
	global_load_dword v0, v[20:21], off
	s_waitcnt vmcnt(0)
	v_mul_f32_e32 v5, v10, v0
	v_div_scale_f32 v0, s[2:3], v5, v5, 1.0
	s_mul_i32 s2, s0, 0x53
	v_rcp_f32_e32 v8, v0
	v_fma_f32 v13, -v0, v8, 1.0
	v_fmac_f32_e32 v8, v13, v8
	v_div_scale_f32 v13, vcc, 1.0, v5, 1.0
	v_mul_f32_e32 v16, v13, v8
	v_fma_f32 v20, -v0, v16, v13
	v_fmac_f32_e32 v16, v20, v8
	v_fma_f32 v0, -v0, v16, v13
	v_div_fmas_f32 v8, v0, v8, v16
	v_add_u32_e32 v0, s2, v15
	v_lshlrev_b64 v[15:16], 2, v[0:1]
	v_add_u32_e32 v0, s4, v0
	v_add_co_u32_e32 v20, vcc, s10, v15
	v_addc_co_u32_e32 v21, vcc, v23, v16, vcc
	global_load_dword v13, v[3:4], off
	global_load_dword v27, v[20:21], off
	v_add_co_u32_e32 v15, vcc, s12, v15
	v_addc_co_u32_e32 v16, vcc, v22, v16, vcc
	v_div_fixup_f32 v3, v8, v5, 1.0
	v_mul_f32_e32 v5, v19, v19
	s_waitcnt vmcnt(1)
	v_mul_f32_e32 v4, v12, v13
	v_mul_f32_e32 v3, v4, v3
	v_min_f32_e32 v3, 0x7cf0bdc2, v3
	s_waitcnt vmcnt(0)
	v_mul_f32_e32 v3, v27, v3
	global_store_dword v[15:16], v3, off
	v_div_scale_f32 v3, s[2:3], v5, v5, 1.0
	s_mul_i32 s2, s0, 0x60
	v_rcp_f32_e32 v4, v3
	v_fma_f32 v8, -v3, v4, 1.0
	v_fmac_f32_e32 v4, v8, v4
	v_div_scale_f32 v8, vcc, 1.0, v5, 1.0
	v_mul_f32_e32 v15, v8, v4
	v_fma_f32 v16, -v3, v15, v8
	v_fmac_f32_e32 v15, v16, v4
	v_fma_f32 v3, -v3, v15, v8
	v_div_fmas_f32 v8, v3, v4, v15
	v_lshlrev_b64 v[3:4], 2, v[0:1]
	v_add_u32_e32 v0, s2, v0
	v_add_co_u32_e32 v3, vcc, s14, v3
	v_lshlrev_b64 v[15:16], 2, v[0:1]
	v_addc_co_u32_e32 v4, vcc, v24, v4, vcc
	v_add_co_u32_e32 v19, vcc, s10, v15
	v_addc_co_u32_e32 v20, vcc, v23, v16, vcc
	v_add_co_u32_e32 v27, vcc, s12, v15
	v_addc_co_u32_e32 v28, vcc, v22, v16, vcc
	v_div_fixup_f32 v15, v8, v5, 1.0
	global_load_dword v21, v[19:20], off
	global_load_dword v16, v[3:4], off
	global_load_dword v5, v[3:4], off
	global_load_dword v8, v[3:4], off
	v_add_u32_e32 v0, s4, v0
	s_waitcnt vmcnt(2)
	v_mul_f32_e32 v3, v12, v16
	v_mul_f32_e32 v3, v15, v3
	v_min_f32_e32 v3, 0x7cf0bdc2, v3
	v_mul_f32_e32 v3, v21, v3
	global_store_dword v[27:28], v3, off
	v_lshlrev_b64 v[3:4], 2, v[0:1]
	v_add_u32_e32 v0, s2, v0
	v_add_co_u32_e32 v3, vcc, s14, v3
	v_lshlrev_b64 v[19:20], 2, v[0:1]
	v_addc_co_u32_e32 v4, vcc, v24, v4, vcc
	v_add_co_u32_e32 v27, vcc, s10, v19
	v_addc_co_u32_e32 v28, vcc, v23, v20, vcc
	global_load_dword v29, v[3:4], off
	global_load_dword v21, v[27:28], off
	v_add_co_u32_e32 v19, vcc, s12, v19
	s_mul_i32 s2, s0, 0xffffffae
	v_addc_co_u32_e32 v20, vcc, v22, v20, vcc
	v_add_u32_e32 v0, s2, v0
	s_waitcnt vmcnt(1)
	v_mul_f32_e32 v3, v12, v29
	v_mul_f32_e32 v3, v15, v3
	v_min_f32_e32 v3, 0x7cf0bdc2, v3
	s_waitcnt vmcnt(0)
	v_mul_f32_e32 v3, v21, v3
	global_store_dword v[19:20], v3, off
	v_lshlrev_b64 v[3:4], 2, v[0:1]
	v_add_u32_e32 v0, s1, v0
	v_add_co_u32_e32 v27, vcc, s14, v3
	v_addc_co_u32_e32 v28, vcc, v24, v4, vcc
	v_lshlrev_b64 v[3:4], 2, v[0:1]
	s_mul_i32 s1, s0, 0x5c
	v_add_co_u32_e32 v20, vcc, s14, v3
	v_addc_co_u32_e32 v21, vcc, v24, v4, vcc
	global_load_dword v19, v[20:21], off
	global_load_dword v4, v[20:21], off
	s_waitcnt vmcnt(1)
	v_mul_f32_e32 v3, v29, v19
	v_div_scale_f32 v12, s[2:3], v3, v3, 1.0
	s_mul_i32 s3, s0, 0x5e
	v_add_u32_e32 v0, s3, v0
	v_mul_f32_e32 v11, v11, v19
	v_mul_f32_e32 v11, v19, v11
	s_mul_i32 s2, s0, 0xffffffa5
	s_waitcnt vmcnt(0)
	v_mul_f32_e32 v5, v5, v4
	v_rcp_f32_e32 v15, v12
	v_fma_f32 v20, -v12, v15, 1.0
	v_fmac_f32_e32 v15, v20, v15
	v_div_scale_f32 v20, vcc, 1.0, v3, 1.0
	v_mul_f32_e32 v21, v20, v15
	v_fma_f32 v29, -v12, v21, v20
	v_fmac_f32_e32 v21, v29, v15
	v_fma_f32 v12, -v12, v21, v20
	v_div_fmas_f32 v12, v12, v15, v21
	v_lshlrev_b64 v[20:21], 2, v[0:1]
	v_add_u32_e32 v0, s0, v0
	v_add_co_u32_e32 v29, vcc, s10, v20
	v_addc_co_u32_e32 v30, vcc, v23, v21, vcc
	v_add_co_u32_e32 v31, vcc, s12, v20
	v_addc_co_u32_e32 v32, vcc, v22, v21, vcc
	global_load_dword v20, v[27:28], off
	global_load_dword v21, v[29:30], off
	v_lshlrev_b64 v[27:28], 2, v[0:1]
	v_add_u32_e32 v0, s0, v0
	v_add_co_u32_e32 v29, vcc, s10, v27
	v_addc_co_u32_e32 v30, vcc, v23, v28, vcc
	v_div_fixup_f32 v3, v12, v3, 1.0
	global_load_dword v12, v[29:30], off
	v_lshlrev_b64 v[29:30], 2, v[0:1]
	v_add_u32_e32 v0, s2, v0
	v_add_co_u32_e32 v33, vcc, s10, v29
	v_addc_co_u32_e32 v34, vcc, v23, v30, vcc
	global_load_dword v33, v[33:34], off
	s_waitcnt vmcnt(3)
	v_mul_f32_e32 v15, v10, v20
	v_mul_f32_e32 v3, v15, v3
	v_min_f32_e32 v3, 0x7cf0bdc2, v3
	s_waitcnt vmcnt(2)
	v_mul_f32_e32 v3, v21, v3
	global_store_dword v[31:32], v3, off
	v_div_fixup_f32 v3, v26, v25, 1.0
	v_mul_f32_e32 v21, v10, v19
	v_mul_f32_e32 v3, 0x49776020, v3
	;; [unrolled: 1-line block ×4, first 2 shown]
	v_div_scale_f32 v25, s[4:5], v21, v21, 1.0
	v_mul_f32_e32 v17, v17, v20
	v_mul_f32_e32 v13, v13, v20
	;; [unrolled: 1-line block ×3, first 2 shown]
	v_rcp_f32_e32 v26, v25
	v_fma_f32 v31, -v25, v26, 1.0
	v_fmac_f32_e32 v26, v31, v26
	v_div_scale_f32 v31, vcc, 1.0, v21, 1.0
	v_mul_f32_e32 v32, v31, v26
	v_fma_f32 v34, -v25, v32, v31
	v_fmac_f32_e32 v32, v34, v26
	v_fma_f32 v25, -v25, v32, v31
	v_div_fmas_f32 v31, v25, v26, v32
	v_add_co_u32_e32 v25, vcc, s12, v27
	v_mul_f32_e32 v27, v2, v20
	v_addc_co_u32_e32 v26, vcc, v22, v28, vcc
	v_div_fixup_f32 v21, v31, v21, 1.0
	v_mul_f32_e32 v21, v27, v21
	v_min_f32_e32 v21, 0x7cf0bdc2, v21
	s_waitcnt vmcnt(2)
	v_mul_f32_e32 v12, v12, v21
	v_mul_f32_e32 v21, v3, v11
	v_div_scale_f32 v11, s[4:5], v21, v21, 1.0
	global_store_dword v[25:26], v12, off
	v_rcp_f32_e32 v12, v11
	v_fma_f32 v25, -v11, v12, 1.0
	v_fmac_f32_e32 v12, v25, v12
	v_div_scale_f32 v25, vcc, 1.0, v21, 1.0
	v_mul_f32_e32 v26, v25, v12
	v_fma_f32 v27, -v11, v26, v25
	v_fmac_f32_e32 v26, v27, v12
	v_fma_f32 v11, -v11, v26, v25
	v_div_fmas_f32 v25, v11, v12, v26
	v_add_co_u32_e32 v11, vcc, s12, v29
	v_addc_co_u32_e32 v12, vcc, v22, v30, vcc
	v_div_fixup_f32 v21, v25, v21, 1.0
	v_mul_f32_e32 v17, v17, v21
	v_min_f32_e32 v17, 0x7cf0bdc2, v17
	s_waitcnt vmcnt(2)
	v_mul_f32_e32 v17, v33, v17
	global_store_dword v[11:12], v17, off
	v_lshlrev_b64 v[11:12], 2, v[0:1]
	v_add_u32_e32 v0, s1, v0
	v_add_co_u32_e32 v11, vcc, s14, v11
	v_addc_co_u32_e32 v12, vcc, v24, v12, vcc
	global_load_dword v12, v[11:12], off
	s_waitcnt vmcnt(0)
	v_mul_f32_e32 v11, v19, v12
	v_div_scale_f32 v17, s[4:5], v11, v11, 1.0
	s_mul_i32 s4, s0, 0xffffffa6
	v_mul_f32_e32 v10, v10, v12
	v_mul_f32_e32 v10, v3, v10
	v_mul_f32_e32 v2, v2, v12
	v_rcp_f32_e32 v21, v17
	v_fma_f32 v25, -v17, v21, 1.0
	v_fmac_f32_e32 v21, v25, v21
	v_div_scale_f32 v25, vcc, 1.0, v11, 1.0
	v_mul_f32_e32 v26, v25, v21
	v_fma_f32 v27, -v17, v26, v25
	v_fmac_f32_e32 v26, v27, v21
	v_fma_f32 v17, -v17, v26, v25
	v_div_fmas_f32 v17, v17, v21, v26
	v_lshlrev_b64 v[25:26], 2, v[0:1]
	v_add_u32_e32 v0, s4, v0
	v_add_co_u32_e32 v27, vcc, s10, v25
	v_addc_co_u32_e32 v28, vcc, v23, v26, vcc
	global_load_dword v21, v[27:28], off
	v_add_co_u32_e32 v25, vcc, s12, v25
	v_addc_co_u32_e32 v26, vcc, v22, v26, vcc
	v_div_fixup_f32 v11, v17, v11, 1.0
	v_mul_f32_e32 v11, v13, v11
	v_min_f32_e32 v11, 0x7cf0bdc2, v11
	s_waitcnt vmcnt(0)
	v_mul_f32_e32 v11, v21, v11
	global_store_dword v[25:26], v11, off
	v_lshlrev_b64 v[25:26], 2, v[0:1]
	v_add_co_u32_e32 v25, vcc, s14, v25
	v_addc_co_u32_e32 v26, vcc, v24, v26, vcc
	global_load_dword v17, v[25:26], off
	global_load_dword v13, v[25:26], off
	s_waitcnt vmcnt(1)
	v_mul_f32_e32 v11, v19, v17
	v_div_scale_f32 v21, s[4:5], v11, v11, 1.0
	s_mul_i32 s4, s0, 0x5b
	v_add_u32_e32 v0, s4, v0
	v_rcp_f32_e32 v25, v21
	v_fma_f32 v26, -v21, v25, 1.0
	v_fmac_f32_e32 v25, v26, v25
	v_div_scale_f32 v26, vcc, 1.0, v11, 1.0
	v_mul_f32_e32 v27, v26, v25
	v_fma_f32 v28, -v21, v27, v26
	v_fmac_f32_e32 v27, v28, v25
	v_fma_f32 v21, -v21, v27, v26
	v_div_fmas_f32 v21, v21, v25, v27
	v_lshlrev_b64 v[25:26], 2, v[0:1]
	v_add_u32_e32 v0, s0, v0
	v_add_co_u32_e32 v27, vcc, s10, v25
	v_addc_co_u32_e32 v28, vcc, v23, v26, vcc
	global_load_dword v31, v[27:28], off
	v_add_co_u32_e32 v25, vcc, s12, v25
	v_lshlrev_b64 v[27:28], 2, v[0:1]
	v_addc_co_u32_e32 v26, vcc, v22, v26, vcc
	v_add_co_u32_e32 v29, vcc, s10, v27
	v_addc_co_u32_e32 v30, vcc, v23, v28, vcc
	global_load_dword v29, v[29:30], off
	v_div_fixup_f32 v11, v21, v11, 1.0
	v_mul_f32_e32 v11, v16, v11
	v_min_f32_e32 v11, 0x7cf0bdc2, v11
	s_waitcnt vmcnt(1)
	v_mul_f32_e32 v11, v31, v11
	global_store_dword v[25:26], v11, off
	v_mul_f32_e32 v11, v19, v19
	v_mul_f32_e32 v11, v11, v12
	;; [unrolled: 1-line block ×3, first 2 shown]
	v_div_scale_f32 v16, s[4:5], v11, v11, 1.0
	s_mul_i32 s4, s0, 0xffffffa3
	v_add_u32_e32 v0, s4, v0
	v_rcp_f32_e32 v19, v16
	v_fma_f32 v21, -v16, v19, 1.0
	v_fmac_f32_e32 v19, v21, v19
	v_div_scale_f32 v21, vcc, 1.0, v11, 1.0
	v_mul_f32_e32 v25, v21, v19
	v_fma_f32 v26, -v16, v25, v21
	v_fmac_f32_e32 v25, v26, v19
	v_fma_f32 v16, -v16, v25, v21
	v_div_fmas_f32 v16, v16, v19, v25
	v_add_co_u32_e32 v25, vcc, s12, v27
	v_addc_co_u32_e32 v26, vcc, v22, v28, vcc
	v_div_fixup_f32 v11, v16, v11, 1.0
	v_mul_f32_e32 v16, v20, v20
	v_mul_f32_e32 v11, v16, v11
	v_lshlrev_b64 v[19:20], 2, v[0:1]
	v_min_f32_e32 v11, 0x7cf0bdc2, v11
	s_waitcnt vmcnt(1)
	v_mul_f32_e32 v11, v11, v29
	v_add_co_u32_e32 v19, vcc, s14, v19
	global_store_dword v[25:26], v11, off
	v_addc_co_u32_e32 v20, vcc, v24, v20, vcc
	global_load_dword v16, v[19:20], off
	global_load_dword v11, v[19:20], off
	v_add_u32_e32 v0, s3, v0
	s_mul_i32 s3, s0, 0xffffff99
	s_waitcnt vmcnt(1)
	v_div_scale_f32 v19, s[4:5], v16, v16, 1.0
	s_waitcnt vmcnt(0)
	v_mul_f32_e32 v7, v7, v11
	v_rcp_f32_e32 v20, v19
	v_fma_f32 v21, -v19, v20, 1.0
	v_fmac_f32_e32 v20, v21, v20
	v_div_scale_f32 v21, vcc, 1.0, v16, 1.0
	v_mul_f32_e32 v25, v21, v20
	v_fma_f32 v26, -v19, v25, v21
	v_fmac_f32_e32 v25, v26, v20
	v_fma_f32 v19, -v19, v25, v21
	v_div_fmas_f32 v21, v19, v20, v25
	v_lshlrev_b64 v[19:20], 2, v[0:1]
	v_add_u32_e32 v0, s0, v0
	v_add_co_u32_e32 v25, vcc, s10, v19
	v_addc_co_u32_e32 v26, vcc, v23, v20, vcc
	global_load_dword v33, v[25:26], off
	v_add_co_u32_e32 v19, vcc, s12, v19
	v_lshlrev_b64 v[25:26], 2, v[0:1]
	v_addc_co_u32_e32 v20, vcc, v22, v20, vcc
	v_add_co_u32_e32 v27, vcc, s10, v25
	v_addc_co_u32_e32 v28, vcc, v23, v26, vcc
	v_div_fixup_f32 v16, v21, v16, 1.0
	global_load_dword v21, v[27:28], off
	v_mul_f32_e32 v16, v12, v16
	v_min_f32_e32 v16, 0x7cf0bdc2, v16
	v_add_u32_e32 v0, s0, v0
	v_lshlrev_b64 v[27:28], 2, v[0:1]
	v_add_u32_e32 v0, s0, v0
	v_add_co_u32_e32 v29, vcc, s10, v27
	v_addc_co_u32_e32 v30, vcc, v23, v28, vcc
	global_load_dword v34, v[29:30], off
	v_lshlrev_b64 v[29:30], 2, v[0:1]
	v_add_u32_e32 v0, s2, v0
	v_add_co_u32_e32 v31, vcc, s10, v29
	v_addc_co_u32_e32 v32, vcc, v23, v30, vcc
	global_load_dword v31, v[31:32], off
	s_waitcnt vmcnt(3)
	v_mul_f32_e32 v16, v33, v16
	global_store_dword v[19:20], v16, off
	v_div_scale_f32 v16, s[4:5], v10, v10, 1.0
	v_rcp_f32_e32 v19, v16
	v_fma_f32 v20, -v16, v19, 1.0
	v_fmac_f32_e32 v19, v20, v19
	v_div_scale_f32 v20, vcc, 1.0, v10, 1.0
	v_mul_f32_e32 v32, v20, v19
	v_fma_f32 v33, -v16, v32, v20
	v_fmac_f32_e32 v32, v33, v19
	v_fma_f32 v16, -v16, v32, v20
	v_div_fmas_f32 v16, v16, v19, v32
	v_add_co_u32_e32 v19, vcc, s12, v25
	v_addc_co_u32_e32 v20, vcc, v22, v26, vcc
	v_div_fixup_f32 v10, v16, v10, 1.0
	v_mul_f32_e32 v10, v17, v10
	v_min_f32_e32 v10, 0x7cf0bdc2, v10
	s_waitcnt vmcnt(3)
	v_mul_f32_e32 v10, v10, v21
	global_store_dword v[19:20], v10, off
	v_div_scale_f32 v10, s[4:5], v15, v15, 1.0
	v_rcp_f32_e32 v16, v10
	v_fma_f32 v17, -v10, v16, 1.0
	v_fmac_f32_e32 v16, v17, v16
	v_div_scale_f32 v17, vcc, 1.0, v15, 1.0
	v_mul_f32_e32 v19, v17, v16
	v_fma_f32 v20, -v10, v19, v17
	v_fmac_f32_e32 v19, v20, v16
	v_fma_f32 v10, -v10, v19, v17
	v_div_fmas_f32 v10, v10, v16, v19
	v_add_co_u32_e32 v16, vcc, s12, v27
	v_addc_co_u32_e32 v17, vcc, v22, v28, vcc
	v_div_fixup_f32 v10, v10, v15, 1.0
	v_mul_f32_e32 v10, v10, v2
	v_min_f32_e32 v10, 0x7cf0bdc2, v10
	;; [unrolled: 18-line block ×3, first 2 shown]
	s_waitcnt vmcnt(3)
	v_mul_f32_e32 v2, v31, v2
	global_store_dword v[15:16], v2, off
	v_lshlrev_b64 v[15:16], 2, v[0:1]
	v_add_u32_e32 v0, s1, v0
	v_add_co_u32_e32 v15, vcc, s14, v15
	v_addc_co_u32_e32 v16, vcc, v24, v16, vcc
	global_load_dword v2, v[15:16], off
	v_mul_f32_e32 v7, v7, v10
	v_min_f32_e32 v7, 0x7cf0bdc2, v7
	s_waitcnt vmcnt(0)
	v_mul_f32_e32 v2, v9, v2
	v_div_scale_f32 v5, s[4:5], v2, v2, 1.0
	v_rcp_f32_e32 v9, v5
	v_fma_f32 v15, -v5, v9, 1.0
	v_fmac_f32_e32 v9, v15, v9
	v_div_scale_f32 v15, vcc, 1.0, v2, 1.0
	v_mul_f32_e32 v16, v15, v9
	v_fma_f32 v17, -v5, v16, v15
	v_fmac_f32_e32 v16, v17, v9
	v_fma_f32 v5, -v5, v16, v15
	v_div_fmas_f32 v5, v5, v9, v16
	v_lshlrev_b64 v[15:16], 2, v[0:1]
	v_add_u32_e32 v0, s0, v0
	v_add_co_u32_e32 v19, vcc, s10, v15
	v_addc_co_u32_e32 v20, vcc, v23, v16, vcc
	global_load_dword v17, v[19:20], off
	v_add_co_u32_e32 v15, vcc, s12, v15
	v_lshlrev_b64 v[19:20], 2, v[0:1]
	v_addc_co_u32_e32 v16, vcc, v22, v16, vcc
	v_add_co_u32_e32 v25, vcc, s10, v19
	v_addc_co_u32_e32 v26, vcc, v23, v20, vcc
	global_load_dword v21, v[25:26], off
	v_div_fixup_f32 v9, v5, v2, 1.0
	v_mul_f32_e32 v2, v6, v12
	v_mul_f32_e32 v5, v2, v9
	v_min_f32_e32 v5, 0x7cf0bdc2, v5
	v_add_u32_e32 v0, s3, v0
	s_mul_i32 s3, s0, 0x68
	s_waitcnt vmcnt(1)
	v_mul_f32_e32 v5, v17, v5
	global_store_dword v[15:16], v5, off
	v_mul_f32_e32 v5, v18, v4
	v_div_scale_f32 v15, s[4:5], v5, v5, 1.0
	v_rcp_f32_e32 v16, v15
	v_fma_f32 v17, -v15, v16, 1.0
	v_fmac_f32_e32 v16, v17, v16
	v_div_scale_f32 v17, vcc, 1.0, v5, 1.0
	v_mul_f32_e32 v25, v17, v16
	v_fma_f32 v26, -v15, v25, v17
	v_fmac_f32_e32 v25, v26, v16
	v_fma_f32 v15, -v15, v25, v17
	v_div_fmas_f32 v17, v15, v16, v25
	v_add_co_u32_e32 v15, vcc, s12, v19
	v_addc_co_u32_e32 v16, vcc, v22, v20, vcc
	v_div_fixup_f32 v5, v17, v5, 1.0
	v_mul_f32_e32 v2, v2, v5
	v_min_f32_e32 v2, 0x7cf0bdc2, v2
	s_waitcnt vmcnt(1)
	v_mul_f32_e32 v2, v21, v2
	global_store_dword v[15:16], v2, off
	v_mul_f32_e32 v2, v4, v13
	v_div_scale_f32 v4, s[4:5], v2, v2, 1.0
	v_lshlrev_b64 v[15:16], 2, v[0:1]
	v_add_u32_e32 v0, s3, v0
	v_add_co_u32_e32 v15, vcc, s14, v15
	v_addc_co_u32_e32 v16, vcc, v24, v16, vcc
	v_rcp_f32_e32 v5, v4
	v_fma_f32 v13, -v4, v5, 1.0
	v_fmac_f32_e32 v5, v13, v5
	v_div_scale_f32 v13, vcc, 1.0, v2, 1.0
	v_mul_f32_e32 v17, v13, v5
	v_fma_f32 v19, -v4, v17, v13
	v_fmac_f32_e32 v17, v19, v5
	v_fma_f32 v4, -v4, v17, v13
	v_div_fmas_f32 v13, v4, v5, v17
	v_lshlrev_b64 v[4:5], 2, v[0:1]
	v_add_u32_e32 v0, s2, v0
	v_add_co_u32_e32 v19, vcc, s10, v4
	v_addc_co_u32_e32 v20, vcc, v23, v5, vcc
	v_add_co_u32_e32 v4, vcc, s12, v4
	v_lshlrev_b64 v[25:26], 2, v[0:1]
	v_addc_co_u32_e32 v5, vcc, v22, v5, vcc
	v_add_co_u32_e32 v25, vcc, s14, v25
	v_addc_co_u32_e32 v26, vcc, v24, v26, vcc
	global_load_dword v17, v[15:16], off
	global_load_dword v21, v[19:20], off
	global_load_dword v27, v[25:26], off
	v_div_fixup_f32 v2, v13, v2, 1.0
	v_add_u32_e32 v0, s1, v0
	s_mul_i32 s1, s0, 0xffffff93
	s_waitcnt vmcnt(2)
	v_mul_f32_e32 v13, v17, v12
	v_mul_f32_e32 v2, v13, v2
	s_waitcnt vmcnt(0)
	v_div_scale_f32 v13, s[2:3], v27, v27, 1.0
	v_min_f32_e32 v2, 0x7cf0bdc2, v2
	v_mul_f32_e32 v2, v21, v2
	global_store_dword v[4:5], v2, off
	v_div_scale_f32 v2, vcc, 1.0, v27, 1.0
	v_rcp_f32_e32 v4, v13
	v_fma_f32 v5, -v13, v4, 1.0
	v_fmac_f32_e32 v4, v5, v4
	v_mul_f32_e32 v5, v2, v4
	v_fma_f32 v15, -v13, v5, v2
	v_fmac_f32_e32 v5, v15, v4
	v_fma_f32 v2, -v13, v5, v2
	v_div_fmas_f32 v2, v2, v4, v5
	v_lshlrev_b64 v[4:5], 2, v[0:1]
	v_add_u32_e32 v0, s0, v0
	v_add_co_u32_e32 v15, vcc, s10, v4
	v_addc_co_u32_e32 v16, vcc, v23, v5, vcc
	global_load_dword v25, v[15:16], off
	v_mul_f32_e32 v13, v18, v12
	v_add_co_u32_e32 v16, vcc, s12, v4
	v_lshlrev_b64 v[18:19], 2, v[0:1]
	v_mul_f32_e32 v3, v3, v13
	v_addc_co_u32_e32 v17, vcc, v22, v5, vcc
	v_add_u32_e32 v0, s0, v0
	v_div_fixup_f32 v2, v2, v27, 1.0
	v_mul_f32_e32 v26, v3, v2
	v_add_co_u32_e32 v2, vcc, s10, v18
	v_addc_co_u32_e32 v3, vcc, v23, v19, vcc
	global_load_dword v27, v[2:3], off
	v_lshlrev_b64 v[2:3], 2, v[0:1]
	v_add_u32_e32 v0, s0, v0
	v_add_co_u32_e32 v4, vcc, s10, v2
	v_addc_co_u32_e32 v5, vcc, v23, v3, vcc
	global_load_dword v15, v[4:5], off
	v_lshlrev_b64 v[4:5], 2, v[0:1]
	v_add_u32_e32 v0, s1, v0
	v_add_co_u32_e32 v20, vcc, s10, v4
	v_addc_co_u32_e32 v21, vcc, v23, v5, vcc
	global_load_dword v13, v[20:21], off
	v_min_f32_e32 v20, 0x7cf0bdc2, v26
	s_mulk_i32 s0, 0x6e
	s_waitcnt vmcnt(3)
	v_mul_f32_e32 v20, v25, v20
	global_store_dword v[16:17], v20, off
	v_div_scale_f32 v16, s[2:3], v11, v11, 1.0
	v_rcp_f32_e32 v17, v16
	v_fma_f32 v20, -v16, v17, 1.0
	v_fmac_f32_e32 v17, v20, v17
	v_div_scale_f32 v20, vcc, 1.0, v11, 1.0
	s_waitcnt vmcnt(2)
	v_mul_f32_e32 v7, v15, v7
	v_mul_f32_e32 v21, v20, v17
	v_fma_f32 v25, -v16, v21, v20
	v_fmac_f32_e32 v21, v25, v17
	v_fma_f32 v16, -v16, v21, v20
	v_div_fmas_f32 v20, v16, v17, v21
	v_add_co_u32_e32 v16, vcc, s12, v18
	v_addc_co_u32_e32 v17, vcc, v22, v19, vcc
	v_div_fixup_f32 v18, v20, v11, 1.0
	v_mul_f32_e32 v12, v12, v18
	v_min_f32_e32 v12, 0x7cf0bdc2, v12
	v_mul_f32_e32 v12, v27, v12
	global_store_dword v[16:17], v12, off
	v_lshlrev_b64 v[16:17], 2, v[0:1]
	v_add_u32_e32 v0, s0, v0
	v_add_co_u32_e32 v16, vcc, s14, v16
	v_addc_co_u32_e32 v17, vcc, v24, v17, vcc
	global_load_dword v12, v[16:17], off
	v_lshlrev_b64 v[0:1], 2, v[0:1]
	v_add_co_u32_e32 v16, vcc, s10, v0
	v_addc_co_u32_e32 v17, vcc, v23, v1, vcc
	global_load_dword v16, v[16:17], off
	s_waitcnt vmcnt(1)
	v_mul_f32_e32 v8, v8, v12
	v_div_scale_f32 v12, s[0:1], v8, v8, 1.0
	v_div_scale_f32 v17, vcc, 1.0, v8, 1.0
	v_rcp_f32_e32 v18, v12
	v_fma_f32 v10, -v12, v18, 1.0
	v_fmac_f32_e32 v18, v10, v18
	v_mul_f32_e32 v10, v17, v18
	v_fma_f32 v15, -v12, v10, v17
	v_fmac_f32_e32 v10, v15, v18
	v_fma_f32 v12, -v12, v10, v17
	v_div_fmas_f32 v10, v12, v18, v10
	v_add_co_u32_e32 v2, vcc, s12, v2
	v_addc_co_u32_e32 v3, vcc, v22, v3, vcc
	global_store_dword v[2:3], v7, off
	v_mul_f32_e32 v2, v6, v11
	v_mul_f32_e32 v2, v2, v9
	v_min_f32_e32 v2, 0x7cf0bdc2, v2
	v_mul_f32_e32 v6, v13, v2
	v_add_co_u32_e32 v2, vcc, s12, v4
	v_addc_co_u32_e32 v3, vcc, v22, v5, vcc
	global_store_dword v[2:3], v6, off
	v_mul_f32_e32 v2, v14, v11
	v_div_fixup_f32 v3, v10, v8, 1.0
	v_mul_f32_e32 v2, v2, v3
	v_min_f32_e32 v2, 0x7cf0bdc2, v2
	v_add_co_u32_e32 v0, vcc, s12, v0
	s_waitcnt vmcnt(2)
	v_mul_f32_e32 v2, v16, v2
	v_addc_co_u32_e32 v1, vcc, v22, v1, vcc
	global_store_dword v[0:1], v2, off
	s_endpgm
	.section	.rodata,"a",@progbits
	.p2align	6, 0x0
	.amdhsa_kernel _Z12ratt6_kernelIfEvPKT_S2_PS0_S2_S0_
		.amdhsa_group_segment_fixed_size 0
		.amdhsa_private_segment_fixed_size 0
		.amdhsa_kernarg_size 296
		.amdhsa_user_sgpr_count 6
		.amdhsa_user_sgpr_private_segment_buffer 1
		.amdhsa_user_sgpr_dispatch_ptr 0
		.amdhsa_user_sgpr_queue_ptr 0
		.amdhsa_user_sgpr_kernarg_segment_ptr 1
		.amdhsa_user_sgpr_dispatch_id 0
		.amdhsa_user_sgpr_flat_scratch_init 0
		.amdhsa_user_sgpr_private_segment_size 0
		.amdhsa_uses_dynamic_stack 0
		.amdhsa_system_sgpr_private_segment_wavefront_offset 0
		.amdhsa_system_sgpr_workgroup_id_x 1
		.amdhsa_system_sgpr_workgroup_id_y 0
		.amdhsa_system_sgpr_workgroup_id_z 0
		.amdhsa_system_sgpr_workgroup_info 0
		.amdhsa_system_vgpr_workitem_id 0
		.amdhsa_next_free_vgpr 35
		.amdhsa_next_free_sgpr 16
		.amdhsa_reserve_vcc 1
		.amdhsa_reserve_flat_scratch 0
		.amdhsa_float_round_mode_32 0
		.amdhsa_float_round_mode_16_64 0
		.amdhsa_float_denorm_mode_32 3
		.amdhsa_float_denorm_mode_16_64 3
		.amdhsa_dx10_clamp 1
		.amdhsa_ieee_mode 1
		.amdhsa_fp16_overflow 0
		.amdhsa_exception_fp_ieee_invalid_op 0
		.amdhsa_exception_fp_denorm_src 0
		.amdhsa_exception_fp_ieee_div_zero 0
		.amdhsa_exception_fp_ieee_overflow 0
		.amdhsa_exception_fp_ieee_underflow 0
		.amdhsa_exception_fp_ieee_inexact 0
		.amdhsa_exception_int_div_zero 0
	.end_amdhsa_kernel
	.section	.text._Z12ratt6_kernelIfEvPKT_S2_PS0_S2_S0_,"axG",@progbits,_Z12ratt6_kernelIfEvPKT_S2_PS0_S2_S0_,comdat
.Lfunc_end7:
	.size	_Z12ratt6_kernelIfEvPKT_S2_PS0_S2_S0_, .Lfunc_end7-_Z12ratt6_kernelIfEvPKT_S2_PS0_S2_S0_
                                        ; -- End function
	.set _Z12ratt6_kernelIfEvPKT_S2_PS0_S2_S0_.num_vgpr, 35
	.set _Z12ratt6_kernelIfEvPKT_S2_PS0_S2_S0_.num_agpr, 0
	.set _Z12ratt6_kernelIfEvPKT_S2_PS0_S2_S0_.numbered_sgpr, 16
	.set _Z12ratt6_kernelIfEvPKT_S2_PS0_S2_S0_.num_named_barrier, 0
	.set _Z12ratt6_kernelIfEvPKT_S2_PS0_S2_S0_.private_seg_size, 0
	.set _Z12ratt6_kernelIfEvPKT_S2_PS0_S2_S0_.uses_vcc, 1
	.set _Z12ratt6_kernelIfEvPKT_S2_PS0_S2_S0_.uses_flat_scratch, 0
	.set _Z12ratt6_kernelIfEvPKT_S2_PS0_S2_S0_.has_dyn_sized_stack, 0
	.set _Z12ratt6_kernelIfEvPKT_S2_PS0_S2_S0_.has_recursion, 0
	.set _Z12ratt6_kernelIfEvPKT_S2_PS0_S2_S0_.has_indirect_call, 0
	.section	.AMDGPU.csdata,"",@progbits
; Kernel info:
; codeLenInByte = 4576
; TotalNumSgprs: 20
; NumVgprs: 35
; ScratchSize: 0
; MemoryBound: 0
; FloatMode: 240
; IeeeMode: 1
; LDSByteSize: 0 bytes/workgroup (compile time only)
; SGPRBlocks: 2
; VGPRBlocks: 8
; NumSGPRsForWavesPerEU: 20
; NumVGPRsForWavesPerEU: 35
; Occupancy: 7
; WaveLimiterHint : 0
; COMPUTE_PGM_RSRC2:SCRATCH_EN: 0
; COMPUTE_PGM_RSRC2:USER_SGPR: 6
; COMPUTE_PGM_RSRC2:TRAP_HANDLER: 0
; COMPUTE_PGM_RSRC2:TGID_X_EN: 1
; COMPUTE_PGM_RSRC2:TGID_Y_EN: 0
; COMPUTE_PGM_RSRC2:TGID_Z_EN: 0
; COMPUTE_PGM_RSRC2:TIDIG_COMP_CNT: 0
	.section	.text._Z12ratt7_kernelIfEvPKT_S2_PS0_S2_S0_,"axG",@progbits,_Z12ratt7_kernelIfEvPKT_S2_PS0_S2_S0_,comdat
	.protected	_Z12ratt7_kernelIfEvPKT_S2_PS0_S2_S0_ ; -- Begin function _Z12ratt7_kernelIfEvPKT_S2_PS0_S2_S0_
	.globl	_Z12ratt7_kernelIfEvPKT_S2_PS0_S2_S0_
	.p2align	8
	.type	_Z12ratt7_kernelIfEvPKT_S2_PS0_S2_S0_,@function
_Z12ratt7_kernelIfEvPKT_S2_PS0_S2_S0_:  ; @_Z12ratt7_kernelIfEvPKT_S2_PS0_S2_S0_
; %bb.0:
	s_load_dword s0, s[4:5], 0x34
	s_load_dword s2, s[4:5], 0x28
	s_load_dwordx8 s[8:15], s[4:5], 0x0
	v_mov_b32_e32 v1, 0
	s_waitcnt lgkmcnt(0)
	s_and_b32 s0, s0, 0xffff
	s_mul_i32 s6, s6, s0
	v_add_u32_e32 v0, s6, v0
	s_mul_i32 s2, s2, s0
	v_lshlrev_b64 v[2:3], 2, v[0:1]
	v_add_u32_e32 v0, s2, v0
	v_mad_u64_u32 v[10:11], s[0:1], s2, 24, v[0:1]
	v_lshlrev_b64 v[4:5], 2, v[0:1]
	v_mov_b32_e32 v20, s15
	v_add_co_u32_e32 v6, vcc, s14, v4
	v_mov_b32_e32 v11, v1
	v_addc_co_u32_e32 v7, vcc, v20, v5, vcc
	v_lshlrev_b64 v[4:5], 2, v[10:11]
	v_add_u32_e32 v0, s2, v10
	v_add_co_u32_e32 v8, vcc, s14, v4
	v_addc_co_u32_e32 v9, vcc, v20, v5, vcc
	v_lshlrev_b64 v[4:5], 2, v[0:1]
	s_mul_i32 s0, s2, 0x63
	v_add_co_u32_e32 v14, vcc, s14, v4
	v_add_u32_e32 v0, s0, v0
	v_addc_co_u32_e32 v15, vcc, v20, v5, vcc
	v_lshlrev_b64 v[4:5], 2, v[0:1]
	v_mov_b32_e32 v17, s11
	v_add_co_u32_e32 v12, vcc, s10, v4
	v_addc_co_u32_e32 v13, vcc, v17, v5, vcc
	v_mov_b32_e32 v16, s13
	v_add_co_u32_e32 v10, vcc, s12, v4
	v_addc_co_u32_e32 v11, vcc, v16, v5, vcc
	;; [unrolled: 3-line block ×3, first 2 shown]
	global_load_dword v18, v[18:19], off
	s_mul_i32 s0, s2, 0xffffff9b
	v_add_u32_e32 v0, s0, v0
	s_load_dword s0, s[4:5], 0x20
	v_add_co_u32_e32 v2, vcc, s14, v2
	v_lshlrev_b64 v[4:5], 2, v[0:1]
	v_addc_co_u32_e32 v3, vcc, v20, v3, vcc
	v_add_co_u32_e32 v4, vcc, s14, v4
	v_addc_co_u32_e32 v5, vcc, v20, v5, vcc
	s_lshl_b32 s4, s2, 1
	s_mul_i32 s3, s2, 0x72
	s_mul_i32 s6, s2, 0xffffff8f
	s_waitcnt vmcnt(0) lgkmcnt(0)
	v_mul_f32_e32 v18, s0, v18
	v_mul_f32_e32 v23, 0x4c9e9632, v18
	v_div_scale_f32 v18, s[0:1], v23, v23, 1.0
	v_rcp_f32_e32 v19, v18
	v_fma_f32 v21, -v18, v19, 1.0
	v_fmac_f32_e32 v19, v21, v19
	v_div_scale_f32 v21, vcc, 1.0, v23, 1.0
	v_mul_f32_e32 v22, v21, v19
	v_fma_f32 v24, -v18, v22, v21
	v_fmac_f32_e32 v22, v24, v19
	v_fma_f32 v18, -v18, v22, v21
	v_div_fmas_f32 v24, v18, v19, v22
	global_load_dword v21, v[14:15], off
	global_load_dword v19, v[14:15], off
	;; [unrolled: 1-line block ×3, first 2 shown]
	s_waitcnt vmcnt(2)
	v_div_scale_f32 v14, s[0:1], v21, v21, 1.0
	s_mul_i32 s0, s2, 0x66
	v_add_u32_e32 v0, s0, v0
	v_rcp_f32_e32 v15, v14
	v_fma_f32 v22, -v14, v15, 1.0
	v_fmac_f32_e32 v15, v22, v15
	v_div_scale_f32 v22, vcc, 1.0, v21, 1.0
	v_mul_f32_e32 v25, v22, v15
	v_fma_f32 v26, -v14, v25, v22
	v_fmac_f32_e32 v25, v26, v15
	v_fma_f32 v14, -v14, v25, v22
	v_div_fmas_f32 v25, v14, v15, v25
	global_load_dword v26, v[12:13], off
	global_load_dword v22, v[8:9], off
	;; [unrolled: 1-line block ×4, first 2 shown]
	v_div_fixup_f32 v6, v24, v23, 1.0
	v_mul_f32_e32 v12, 0x49776020, v6
	v_div_fixup_f32 v6, v25, v21, 1.0
	s_waitcnt vmcnt(1)
	v_mul_f32_e32 v13, v15, v22
	v_mul_f32_e32 v7, v13, v12
	;; [unrolled: 1-line block ×3, first 2 shown]
	v_min_f32_e32 v6, 0x7cf0bdc2, v6
	v_mul_f32_e32 v6, v26, v6
	global_store_dword v[10:11], v6, off
	global_load_dword v11, v[4:5], off
	s_nop 0
	global_load_dword v23, v[2:3], off
	global_load_dword v10, v[2:3], off
	v_lshlrev_b64 v[6:7], 2, v[0:1]
	v_add_co_u32_e32 v8, vcc, s10, v6
	v_addc_co_u32_e32 v9, vcc, v17, v7, vcc
	v_add_co_u32_e32 v6, vcc, s12, v6
	v_addc_co_u32_e32 v7, vcc, v16, v7, vcc
	s_waitcnt vmcnt(1)
	v_mul_f32_e32 v2, v23, v11
	v_div_scale_f32 v3, s[0:1], v2, v2, 1.0
	s_mul_i32 s0, s2, 0xffffff8d
	v_add_u32_e32 v0, s0, v0
	s_waitcnt vmcnt(0)
	v_mul_f32_e32 v10, v10, v18
	v_rcp_f32_e32 v4, v3
	v_fma_f32 v5, -v3, v4, 1.0
	v_fmac_f32_e32 v4, v5, v4
	v_div_scale_f32 v5, vcc, 1.0, v2, 1.0
	v_mul_f32_e32 v24, v5, v4
	v_fma_f32 v25, -v3, v24, v5
	v_fmac_f32_e32 v24, v25, v4
	v_fma_f32 v3, -v3, v24, v5
	v_div_fmas_f32 v3, v3, v4, v24
	global_load_dword v4, v[8:9], off
	v_div_fixup_f32 v2, v3, v2, 1.0
	v_mul_f32_e32 v2, v13, v2
	v_min_f32_e32 v2, 0x7cf0bdc2, v2
	s_waitcnt vmcnt(0)
	v_mul_f32_e32 v2, v4, v2
	global_store_dword v[6:7], v2, off
	v_lshlrev_b64 v[2:3], 2, v[0:1]
	v_add_u32_e32 v0, s4, v0
	v_add_co_u32_e32 v2, vcc, s14, v2
	v_lshlrev_b64 v[4:5], 2, v[0:1]
	v_addc_co_u32_e32 v3, vcc, v20, v3, vcc
	v_add_co_u32_e32 v4, vcc, s14, v4
	v_addc_co_u32_e32 v5, vcc, v20, v5, vcc
	global_load_dword v6, v[4:5], off
	global_load_dword v9, v[4:5], off
	;; [unrolled: 1-line block ×4, first 2 shown]
	v_add_u32_e32 v0, s3, v0
	s_waitcnt vmcnt(1)
	v_mul_f32_e32 v6, v7, v6
	v_div_scale_f32 v2, s[0:1], v6, v6, 1.0
	s_mul_i32 s0, s2, 0xffffff83
	v_rcp_f32_e32 v3, v2
	v_fma_f32 v4, -v2, v3, 1.0
	v_fmac_f32_e32 v3, v4, v3
	v_div_scale_f32 v4, vcc, 1.0, v6, 1.0
	v_mul_f32_e32 v5, v4, v3
	v_fma_f32 v7, -v2, v5, v4
	v_fmac_f32_e32 v5, v7, v3
	v_fma_f32 v2, -v2, v5, v4
	v_div_fmas_f32 v7, v2, v3, v5
	v_lshlrev_b64 v[2:3], 2, v[0:1]
	v_add_u32_e32 v0, s0, v0
	v_add_co_u32_e32 v4, vcc, s10, v2
	v_addc_co_u32_e32 v5, vcc, v17, v3, vcc
	global_load_dword v4, v[4:5], off
	v_add_co_u32_e32 v2, vcc, s12, v2
	v_addc_co_u32_e32 v3, vcc, v16, v3, vcc
	v_div_fixup_f32 v7, v7, v6, 1.0
	v_mul_f32_e32 v5, v13, v7
	v_min_f32_e32 v5, 0x7cf0bdc2, v5
	s_waitcnt vmcnt(0)
	v_mul_f32_e32 v4, v4, v5
	global_store_dword v[2:3], v4, off
	v_lshlrev_b64 v[2:3], 2, v[0:1]
	v_add_u32_e32 v0, s4, v0
	v_add_co_u32_e32 v4, vcc, s14, v2
	v_addc_co_u32_e32 v5, vcc, v20, v3, vcc
	v_lshlrev_b64 v[2:3], 2, v[0:1]
	v_add_co_u32_e32 v2, vcc, s14, v2
	v_addc_co_u32_e32 v3, vcc, v20, v3, vcc
	global_load_dword v2, v[2:3], off
	s_waitcnt vmcnt(0)
	v_mul_f32_e32 v3, v11, v2
	v_div_scale_f32 v6, s[0:1], v3, v3, 1.0
	s_mul_i32 s0, s2, 0x7c
	v_add_u32_e32 v0, s0, v0
	s_mul_i32 s0, s2, 0xffffff89
	s_mul_i32 s1, s2, 0x73
	v_rcp_f32_e32 v24, v6
	v_fma_f32 v25, -v6, v24, 1.0
	v_fmac_f32_e32 v24, v25, v24
	v_div_scale_f32 v25, vcc, 1.0, v3, 1.0
	v_mul_f32_e32 v26, v25, v24
	v_fma_f32 v27, -v6, v26, v25
	v_fmac_f32_e32 v26, v27, v24
	v_fma_f32 v6, -v6, v26, v25
	v_div_fmas_f32 v28, v6, v24, v26
	v_lshlrev_b64 v[24:25], 2, v[0:1]
	v_add_u32_e32 v0, s0, v0
	v_add_co_u32_e32 v26, vcc, s10, v24
	v_addc_co_u32_e32 v27, vcc, v17, v25, vcc
	global_load_dword v6, v[4:5], off
	global_load_dword v29, v[26:27], off
	v_add_co_u32_e32 v24, vcc, s12, v24
	v_addc_co_u32_e32 v25, vcc, v16, v25, vcc
	v_div_fixup_f32 v3, v28, v3, 1.0
	s_waitcnt vmcnt(1)
	v_mul_f32_e32 v5, v22, v6
	v_mul_f32_e32 v3, v5, v3
	v_min_f32_e32 v3, 0x7cf0bdc2, v3
	s_waitcnt vmcnt(0)
	v_mul_f32_e32 v3, v29, v3
	global_store_dword v[24:25], v3, off
	v_mad_u64_u32 v[24:25], s[4:5], s2, 5, v[0:1]
	v_lshlrev_b64 v[3:4], 2, v[0:1]
	v_mov_b32_e32 v25, v1
	v_add_co_u32_e32 v3, vcc, s14, v3
	v_lshlrev_b64 v[25:26], 2, v[24:25]
	v_addc_co_u32_e32 v4, vcc, v20, v4, vcc
	v_add_co_u32_e32 v25, vcc, s14, v25
	v_addc_co_u32_e32 v26, vcc, v20, v26, vcc
	global_load_dword v0, v[3:4], off
	global_load_dword v27, v[25:26], off
	s_waitcnt vmcnt(0)
	v_mul_f32_e32 v26, v0, v27
	v_div_scale_f32 v0, s[4:5], v26, v26, 1.0
	s_mul_i32 s4, s2, 0xffffff84
	v_rcp_f32_e32 v3, v0
	v_fma_f32 v4, -v0, v3, 1.0
	v_fmac_f32_e32 v3, v4, v3
	v_div_scale_f32 v4, vcc, 1.0, v26, 1.0
	v_mul_f32_e32 v25, v4, v3
	v_fma_f32 v27, -v0, v25, v4
	v_fmac_f32_e32 v25, v27, v3
	v_fma_f32 v0, -v0, v25, v4
	v_div_fmas_f32 v27, v0, v3, v25
	v_add_u32_e32 v0, s1, v24
	v_lshlrev_b64 v[3:4], 2, v[0:1]
	v_add_u32_e32 v0, s4, v0
	v_add_co_u32_e32 v24, vcc, s10, v3
	v_addc_co_u32_e32 v25, vcc, v17, v4, vcc
	global_load_dword v24, v[24:25], off
	v_add_co_u32_e32 v3, vcc, s12, v3
	v_addc_co_u32_e32 v4, vcc, v16, v4, vcc
	v_div_fixup_f32 v25, v27, v26, 1.0
	v_mul_f32_e32 v5, v5, v25
	v_min_f32_e32 v5, 0x7cf0bdc2, v5
	s_waitcnt vmcnt(0)
	v_mul_f32_e32 v5, v24, v5
	global_store_dword v[3:4], v5, off
	v_lshlrev_b64 v[3:4], 2, v[0:1]
	v_add_co_u32_e32 v3, vcc, s14, v3
	v_addc_co_u32_e32 v4, vcc, v20, v4, vcc
	global_load_dword v24, v[3:4], off
	s_waitcnt vmcnt(0)
	v_mul_f32_e32 v5, v11, v24
	v_div_scale_f32 v3, s[4:5], v5, v5, 1.0
	s_mul_i32 s4, s2, 0x7d
	v_add_u32_e32 v0, s4, v0
	s_mul_i32 s4, s2, 0xffffff92
	v_rcp_f32_e32 v4, v3
	v_fma_f32 v11, -v3, v4, 1.0
	v_fmac_f32_e32 v4, v11, v4
	v_div_scale_f32 v11, vcc, 1.0, v5, 1.0
	v_mul_f32_e32 v25, v11, v4
	v_fma_f32 v26, -v3, v25, v11
	v_fmac_f32_e32 v25, v26, v4
	v_fma_f32 v3, -v3, v25, v11
	v_div_fmas_f32 v11, v3, v4, v25
	v_lshlrev_b64 v[3:4], 2, v[0:1]
	v_add_u32_e32 v0, s4, v0
	v_add_co_u32_e32 v25, vcc, s10, v3
	v_addc_co_u32_e32 v26, vcc, v17, v4, vcc
	global_load_dword v25, v[25:26], off
	v_add_co_u32_e32 v3, vcc, s12, v3
	v_addc_co_u32_e32 v4, vcc, v16, v4, vcc
	v_div_fixup_f32 v5, v11, v5, 1.0
	v_mul_f32_e32 v11, v22, v2
	v_mul_f32_e32 v5, v11, v5
	v_min_f32_e32 v5, 0x7cf0bdc2, v5
	s_waitcnt vmcnt(0)
	v_mul_f32_e32 v5, v25, v5
	global_store_dword v[3:4], v5, off
	v_lshlrev_b64 v[3:4], 2, v[0:1]
	v_add_u32_e32 v0, s2, v0
	v_add_co_u32_e32 v25, vcc, s14, v3
	v_addc_co_u32_e32 v26, vcc, v20, v4, vcc
	v_lshlrev_b64 v[3:4], 2, v[0:1]
	v_add_co_u32_e32 v27, vcc, s14, v3
	v_addc_co_u32_e32 v28, vcc, v20, v4, vcc
	global_load_dword v5, v[27:28], off
	global_load_dword v4, v[27:28], off
	;; [unrolled: 1-line block ×3, first 2 shown]
	s_waitcnt vmcnt(2)
	v_div_scale_f32 v11, s[4:5], v5, v5, 1.0
	s_mul_i32 s4, s2, 0x6e
	v_add_u32_e32 v0, s4, v0
	v_rcp_f32_e32 v22, v11
	v_fma_f32 v27, -v11, v22, 1.0
	v_fmac_f32_e32 v22, v27, v22
	v_div_scale_f32 v27, vcc, 1.0, v5, 1.0
	v_mul_f32_e32 v28, v27, v22
	v_fma_f32 v29, -v11, v28, v27
	v_fmac_f32_e32 v28, v29, v22
	v_fma_f32 v11, -v11, v28, v27
	v_div_fmas_f32 v11, v11, v22, v28
	v_lshlrev_b64 v[27:28], 2, v[0:1]
	v_add_u32_e32 v0, s6, v0
	v_add_co_u32_e32 v29, vcc, s10, v27
	v_addc_co_u32_e32 v30, vcc, v17, v28, vcc
	global_load_dword v22, v[25:26], off
	global_load_dword v31, v[29:30], off
	v_add_co_u32_e32 v27, vcc, s12, v27
	v_lshlrev_b64 v[25:26], 2, v[0:1]
	v_addc_co_u32_e32 v28, vcc, v16, v28, vcc
	v_add_co_u32_e32 v25, vcc, s14, v25
	v_addc_co_u32_e32 v26, vcc, v20, v26, vcc
	v_div_fixup_f32 v5, v11, v5, 1.0
	v_add_u32_e32 v0, s3, v0
	s_waitcnt vmcnt(1)
	v_mul_f32_e32 v15, v15, v22
	v_mul_f32_e32 v11, v12, v15
	;; [unrolled: 1-line block ×3, first 2 shown]
	v_min_f32_e32 v5, 0x7cf0bdc2, v5
	s_waitcnt vmcnt(0)
	v_mul_f32_e32 v5, v31, v5
	global_store_dword v[27:28], v5, off
	global_load_dword v11, v[25:26], off
	s_nop 0
	global_load_dword v5, v[25:26], off
	s_waitcnt vmcnt(1)
	v_mul_f32_e32 v29, v23, v11
	v_div_scale_f32 v25, s[4:5], v29, v29, 1.0
	v_rcp_f32_e32 v26, v25
	v_fma_f32 v27, -v25, v26, 1.0
	v_fmac_f32_e32 v26, v27, v26
	v_div_scale_f32 v27, vcc, 1.0, v29, 1.0
	v_mul_f32_e32 v28, v27, v26
	v_fma_f32 v30, -v25, v28, v27
	v_fmac_f32_e32 v28, v30, v26
	v_fma_f32 v25, -v25, v28, v27
	v_div_fmas_f32 v30, v25, v26, v28
	v_lshlrev_b64 v[25:26], 2, v[0:1]
	v_add_u32_e32 v0, s6, v0
	v_add_co_u32_e32 v27, vcc, s10, v25
	v_addc_co_u32_e32 v28, vcc, v17, v26, vcc
	global_load_dword v27, v[27:28], off
	v_add_co_u32_e32 v25, vcc, s12, v25
	v_addc_co_u32_e32 v26, vcc, v16, v26, vcc
	v_div_fixup_f32 v28, v30, v29, 1.0
	v_mul_f32_e32 v28, v15, v28
	v_min_f32_e32 v28, 0x7cf0bdc2, v28
	s_waitcnt vmcnt(0)
	v_mul_f32_e32 v27, v27, v28
	global_store_dword v[25:26], v27, off
	v_lshlrev_b64 v[25:26], 2, v[0:1]
	v_add_u32_e32 v0, s3, v0
	v_add_co_u32_e32 v25, vcc, s14, v25
	v_addc_co_u32_e32 v26, vcc, v20, v26, vcc
	global_load_dword v25, v[25:26], off
	s_mul_i32 s3, s2, 0x83
	s_waitcnt vmcnt(0)
	v_mul_f32_e32 v23, v23, v25
	v_div_scale_f32 v25, s[4:5], v23, v23, 1.0
	v_rcp_f32_e32 v26, v25
	v_fma_f32 v27, -v25, v26, 1.0
	v_fmac_f32_e32 v26, v27, v26
	v_div_scale_f32 v27, vcc, 1.0, v23, 1.0
	v_mul_f32_e32 v28, v27, v26
	v_fma_f32 v29, -v25, v28, v27
	v_fmac_f32_e32 v28, v29, v26
	v_fma_f32 v25, -v25, v28, v27
	v_div_fmas_f32 v29, v25, v26, v28
	v_lshlrev_b64 v[25:26], 2, v[0:1]
	v_add_u32_e32 v0, s2, v0
	v_add_co_u32_e32 v27, vcc, s10, v25
	v_addc_co_u32_e32 v28, vcc, v17, v26, vcc
	global_load_dword v35, v[27:28], off
	v_add_co_u32_e32 v25, vcc, s12, v25
	v_lshlrev_b64 v[27:28], 2, v[0:1]
	v_addc_co_u32_e32 v26, vcc, v16, v26, vcc
	v_add_u32_e32 v0, s2, v0
	v_div_fixup_f32 v23, v29, v23, 1.0
	v_add_co_u32_e32 v29, vcc, s10, v27
	v_addc_co_u32_e32 v30, vcc, v17, v28, vcc
	v_mul_f32_e32 v15, v15, v23
	global_load_dword v23, v[29:30], off
	v_lshlrev_b64 v[29:30], 2, v[0:1]
	v_min_f32_e32 v15, 0x7cf0bdc2, v15
	v_add_co_u32_e32 v31, vcc, s10, v29
	v_addc_co_u32_e32 v32, vcc, v17, v30, vcc
	global_load_dword v36, v[31:32], off
	v_add_u32_e32 v0, s2, v0
	v_lshlrev_b64 v[31:32], 2, v[0:1]
	v_add_co_u32_e32 v33, vcc, s10, v31
	v_addc_co_u32_e32 v34, vcc, v17, v32, vcc
	global_load_dword v33, v[33:34], off
	s_waitcnt vmcnt(3)
	v_mul_f32_e32 v15, v35, v15
	global_store_dword v[25:26], v15, off
	v_div_scale_f32 v15, s[4:5], v13, v13, 1.0
	v_rcp_f32_e32 v25, v15
	v_fma_f32 v26, -v15, v25, 1.0
	v_fmac_f32_e32 v25, v26, v25
	v_div_scale_f32 v26, vcc, 1.0, v13, 1.0
	v_mul_f32_e32 v34, v26, v25
	v_fma_f32 v35, -v15, v34, v26
	v_fmac_f32_e32 v34, v35, v25
	v_fma_f32 v15, -v15, v34, v26
	v_div_fmas_f32 v15, v15, v25, v34
	v_add_co_u32_e32 v25, vcc, s12, v27
	v_addc_co_u32_e32 v26, vcc, v16, v28, vcc
	v_div_fixup_f32 v13, v15, v13, 1.0
	v_mul_f32_e32 v15, v6, v22
	v_mul_f32_e32 v13, v13, v15
	v_min_f32_e32 v13, 0x7cf0bdc2, v13
	s_waitcnt vmcnt(3)
	v_mul_f32_e32 v13, v13, v23
	v_mul_f32_e32 v7, v7, v15
	global_store_dword v[25:26], v13, off
	v_add_co_u32_e32 v25, vcc, s12, v29
	v_min_f32_e32 v7, 0x7cf0bdc2, v7
	v_addc_co_u32_e32 v26, vcc, v16, v30, vcc
	s_waitcnt vmcnt(3)
	v_mul_f32_e32 v7, v7, v36
	global_store_dword v[25:26], v7, off
	v_mul_f32_e32 v7, v24, v11
	v_div_scale_f32 v13, s[4:5], v7, v7, 1.0
	s_mul_i32 s4, s2, 0xffffff7b
	v_add_u32_e32 v0, s4, v0
	v_mul_f32_e32 v6, v21, v6
	s_mul_i32 s5, s2, 0xffffff85
	v_rcp_f32_e32 v15, v13
	v_fma_f32 v23, -v13, v15, 1.0
	v_fmac_f32_e32 v15, v23, v15
	v_div_scale_f32 v23, vcc, 1.0, v7, 1.0
	v_mul_f32_e32 v24, v23, v15
	v_fma_f32 v25, -v13, v24, v23
	v_fmac_f32_e32 v24, v25, v15
	v_fma_f32 v13, -v13, v24, v23
	v_div_fmas_f32 v13, v13, v15, v24
	v_add_co_u32_e32 v23, vcc, s12, v31
	v_mad_u64_u32 v[25:26], s[6:7], s2, 3, v[0:1]
	v_addc_co_u32_e32 v24, vcc, v16, v32, vcc
	v_mov_b32_e32 v26, v1
	v_lshlrev_b64 v[26:27], 2, v[25:26]
	v_div_fixup_f32 v7, v13, v7, 1.0
	v_mul_f32_e32 v13, v2, v22
	v_mul_f32_e32 v7, v13, v7
	v_min_f32_e32 v7, 0x7cf0bdc2, v7
	s_waitcnt vmcnt(3)
	v_mul_f32_e32 v7, v7, v33
	global_store_dword v[23:24], v7, off
	v_lshlrev_b64 v[23:24], 2, v[0:1]
	v_mul_f32_e32 v2, v21, v2
	v_add_co_u32_e32 v23, vcc, s14, v23
	v_addc_co_u32_e32 v24, vcc, v20, v24, vcc
	v_add_co_u32_e32 v26, vcc, s14, v26
	v_addc_co_u32_e32 v27, vcc, v20, v27, vcc
	global_load_dword v7, v[26:27], off
	s_waitcnt vmcnt(0)
	v_mul_f32_e32 v11, v11, v7
	v_div_scale_f32 v0, s[6:7], v11, v11, 1.0
	v_rcp_f32_e32 v13, v0
	v_fma_f32 v15, -v0, v13, 1.0
	v_fmac_f32_e32 v13, v15, v13
	v_div_scale_f32 v15, vcc, 1.0, v11, 1.0
	v_mul_f32_e32 v26, v15, v13
	v_fma_f32 v27, -v0, v26, v15
	v_fmac_f32_e32 v26, v27, v13
	v_fma_f32 v0, -v0, v26, v15
	v_div_fmas_f32 v13, v0, v13, v26
	v_add_u32_e32 v0, s3, v25
	v_lshlrev_b64 v[25:26], 2, v[0:1]
	v_add_u32_e32 v0, s2, v0
	v_add_co_u32_e32 v27, vcc, s10, v25
	v_addc_co_u32_e32 v28, vcc, v17, v26, vcc
	global_load_dword v15, v[23:24], off
	global_load_dword v29, v[27:28], off
	v_add_co_u32_e32 v25, vcc, s12, v25
	v_lshlrev_b64 v[23:24], 2, v[0:1]
	v_addc_co_u32_e32 v26, vcc, v16, v26, vcc
	v_add_co_u32_e32 v27, vcc, s10, v23
	v_addc_co_u32_e32 v28, vcc, v17, v24, vcc
	global_load_dword v27, v[27:28], off
	v_div_fixup_f32 v11, v13, v11, 1.0
	v_add_u32_e32 v0, s5, v0
	s_mul_i32 s5, s2, 0x7b
	s_waitcnt vmcnt(2)
	v_mul_f32_e32 v13, v22, v15
	v_mul_f32_e32 v11, v13, v11
	v_min_f32_e32 v11, 0x7cf0bdc2, v11
	s_waitcnt vmcnt(1)
	v_mul_f32_e32 v11, v29, v11
	global_store_dword v[25:26], v11, off
	v_div_scale_f32 v11, s[6:7], v6, v6, 1.0
	v_rcp_f32_e32 v15, v11
	v_fma_f32 v25, -v11, v15, 1.0
	v_fmac_f32_e32 v15, v25, v15
	v_div_scale_f32 v25, vcc, 1.0, v6, 1.0
	v_mul_f32_e32 v26, v25, v15
	v_fma_f32 v28, -v11, v26, v25
	v_fmac_f32_e32 v26, v28, v15
	v_fma_f32 v11, -v11, v26, v25
	v_div_fmas_f32 v11, v11, v15, v26
	v_add_co_u32_e32 v23, vcc, s12, v23
	v_addc_co_u32_e32 v24, vcc, v16, v24, vcc
	v_div_fixup_f32 v6, v11, v6, 1.0
	v_mul_f32_e32 v6, v6, v13
	v_min_f32_e32 v6, 0x7cf0bdc2, v6
	s_waitcnt vmcnt(1)
	v_mul_f32_e32 v6, v6, v27
	global_store_dword v[23:24], v6, off
	v_lshlrev_b64 v[23:24], 2, v[0:1]
	v_add_u32_e32 v0, s2, v0
	v_add_co_u32_e32 v23, vcc, s14, v23
	v_lshlrev_b64 v[25:26], 2, v[0:1]
	v_addc_co_u32_e32 v24, vcc, v20, v24, vcc
	v_add_co_u32_e32 v25, vcc, s14, v25
	v_addc_co_u32_e32 v26, vcc, v20, v26, vcc
	global_load_dword v15, v[25:26], off
	global_load_dword v6, v[23:24], off
	;; [unrolled: 1-line block ×3, first 2 shown]
	v_add_u32_e32 v0, s5, v0
	s_waitcnt vmcnt(1)
	v_mul_f32_e32 v15, v6, v15
	v_div_scale_f32 v23, s[6:7], v15, v15, 1.0
	v_rcp_f32_e32 v24, v23
	v_fma_f32 v25, -v23, v24, 1.0
	v_fmac_f32_e32 v24, v25, v24
	v_div_scale_f32 v25, vcc, 1.0, v15, 1.0
	v_mul_f32_e32 v26, v25, v24
	v_fma_f32 v27, -v23, v26, v25
	v_fmac_f32_e32 v26, v27, v24
	v_fma_f32 v23, -v23, v26, v25
	v_div_fmas_f32 v29, v23, v24, v26
	v_lshlrev_b64 v[23:24], 2, v[0:1]
	v_add_u32_e32 v0, s2, v0
	v_add_co_u32_e32 v25, vcc, s10, v23
	v_addc_co_u32_e32 v26, vcc, v17, v24, vcc
	global_load_dword v30, v[25:26], off
	v_add_co_u32_e32 v23, vcc, s12, v23
	v_lshlrev_b64 v[25:26], 2, v[0:1]
	v_addc_co_u32_e32 v24, vcc, v16, v24, vcc
	v_add_co_u32_e32 v27, vcc, s10, v25
	v_addc_co_u32_e32 v28, vcc, v17, v26, vcc
	global_load_dword v27, v[27:28], off
	v_div_fixup_f32 v15, v29, v15, 1.0
	v_mul_f32_e32 v13, v13, v15
	v_min_f32_e32 v13, 0x7cf0bdc2, v13
	v_add_u32_e32 v0, s4, v0
	s_waitcnt vmcnt(1)
	v_mul_f32_e32 v13, v30, v13
	global_store_dword v[23:24], v13, off
	v_div_scale_f32 v13, s[6:7], v2, v2, 1.0
	v_rcp_f32_e32 v15, v13
	v_fma_f32 v21, -v13, v15, 1.0
	v_fmac_f32_e32 v15, v21, v15
	v_div_scale_f32 v21, vcc, 1.0, v2, 1.0
	v_mul_f32_e32 v23, v21, v15
	v_fma_f32 v24, -v13, v23, v21
	v_fmac_f32_e32 v23, v24, v15
	v_fma_f32 v13, -v13, v23, v21
	v_div_fmas_f32 v13, v13, v15, v23
	v_add_co_u32_e32 v23, vcc, s12, v25
	v_addc_co_u32_e32 v24, vcc, v16, v26, vcc
	v_div_fixup_f32 v2, v13, v2, 1.0
	v_mul_f32_e32 v13, v22, v7
	v_mul_f32_e32 v2, v2, v13
	v_min_f32_e32 v2, 0x7cf0bdc2, v2
	s_waitcnt vmcnt(1)
	v_mul_f32_e32 v2, v2, v27
	global_store_dword v[23:24], v2, off
	v_mul_f32_e32 v2, v7, v4
	v_div_scale_f32 v7, s[4:5], v2, v2, 1.0
	v_lshlrev_b64 v[23:24], 2, v[0:1]
	s_mul_i32 s4, s2, 0x86
	v_add_co_u32_e32 v23, vcc, s14, v23
	v_addc_co_u32_e32 v24, vcc, v20, v24, vcc
	v_add_u32_e32 v0, s4, v0
	v_rcp_f32_e32 v13, v7
	v_fma_f32 v15, -v7, v13, 1.0
	v_fmac_f32_e32 v13, v15, v13
	v_div_scale_f32 v15, vcc, 1.0, v2, 1.0
	v_mul_f32_e32 v21, v15, v13
	v_fma_f32 v25, -v7, v21, v15
	v_fmac_f32_e32 v21, v25, v13
	v_lshlrev_b64 v[25:26], 2, v[0:1]
	v_fma_f32 v7, -v7, v21, v15
	v_div_fmas_f32 v7, v7, v13, v21
	v_add_co_u32_e32 v27, vcc, s10, v25
	v_addc_co_u32_e32 v28, vcc, v17, v26, vcc
	global_load_dword v13, v[23:24], off
	global_load_dword v15, v[27:28], off
	v_add_co_u32_e32 v25, vcc, s12, v25
	v_addc_co_u32_e32 v26, vcc, v16, v26, vcc
	v_add_u32_e32 v0, s2, v0
	v_div_fixup_f32 v2, v7, v2, 1.0
	s_waitcnt vmcnt(1)
	v_mul_f32_e32 v13, v22, v13
	v_mul_f32_e32 v2, v13, v2
	v_min_f32_e32 v2, 0x7cf0bdc2, v2
	s_waitcnt vmcnt(0)
	v_mul_f32_e32 v2, v15, v2
	global_store_dword v[25:26], v2, off
	v_mul_f32_e32 v2, v9, v4
	v_div_scale_f32 v4, s[4:5], v2, v2, 1.0
	v_lshlrev_b64 v[21:22], 2, v[0:1]
	s_mul_i32 s4, s2, 0xffffff7e
	v_add_co_u32_e32 v23, vcc, s10, v21
	v_addc_co_u32_e32 v24, vcc, v17, v22, vcc
	global_load_dword v7, v[23:24], off
	v_add_u32_e32 v0, s4, v0
	v_mul_f32_e32 v9, v8, v9
	v_rcp_f32_e32 v13, v4
	v_fma_f32 v15, -v4, v13, 1.0
	v_fmac_f32_e32 v13, v15, v13
	v_div_scale_f32 v15, vcc, 1.0, v2, 1.0
	v_mul_f32_e32 v23, v15, v13
	v_fma_f32 v24, -v4, v23, v15
	v_fmac_f32_e32 v23, v24, v13
	v_fma_f32 v4, -v4, v23, v15
	v_div_fmas_f32 v4, v4, v13, v23
	v_add_co_u32_e32 v21, vcc, s12, v21
	v_lshlrev_b64 v[23:24], 2, v[0:1]
	v_addc_co_u32_e32 v22, vcc, v16, v22, vcc
	v_add_co_u32_e32 v23, vcc, s14, v23
	v_addc_co_u32_e32 v24, vcc, v20, v24, vcc
	global_load_dword v13, v[23:24], off
	v_add_u32_e32 v0, s3, v0
	s_mul_i32 s3, s2, 0xffffff8e
	v_div_fixup_f32 v2, v4, v2, 1.0
	v_mul_f32_e32 v4, v6, v3
	v_mul_f32_e32 v2, v4, v2
	v_min_f32_e32 v2, 0x7cf0bdc2, v2
	s_waitcnt vmcnt(1)
	v_mul_f32_e32 v2, v7, v2
	global_store_dword v[21:22], v2, off
	s_waitcnt vmcnt(1)
	v_mul_f32_e32 v13, v13, v5
	v_div_scale_f32 v4, s[4:5], v13, v13, 1.0
	v_div_scale_f32 v5, vcc, 1.0, v13, 1.0
	v_rcp_f32_e32 v2, v4
	v_fma_f32 v6, -v4, v2, 1.0
	v_fmac_f32_e32 v2, v6, v2
	v_mul_f32_e32 v6, v5, v2
	v_fma_f32 v7, -v4, v6, v5
	v_fmac_f32_e32 v6, v7, v2
	v_fma_f32 v4, -v4, v6, v5
	v_div_fmas_f32 v2, v4, v2, v6
	v_lshlrev_b64 v[4:5], 2, v[0:1]
	v_add_u32_e32 v0, s3, v0
	v_add_co_u32_e32 v6, vcc, s10, v4
	v_addc_co_u32_e32 v7, vcc, v17, v5, vcc
	v_add_co_u32_e32 v4, vcc, s12, v4
	v_lshlrev_b64 v[21:22], 2, v[0:1]
	v_addc_co_u32_e32 v5, vcc, v16, v5, vcc
	v_add_co_u32_e32 v21, vcc, s14, v21
	v_addc_co_u32_e32 v22, vcc, v20, v22, vcc
	global_load_dword v15, v[21:22], off
	global_load_dword v23, v[6:7], off
	v_div_fixup_f32 v2, v2, v13, 1.0
	v_mul_f32_e32 v13, v8, v3
	v_mul_f32_e32 v2, v13, v2
	v_min_f32_e32 v2, 0x7cf0bdc2, v2
	v_add_u32_e32 v0, s1, v0
	s_mul_i32 s1, s2, 0xffffff8c
	v_mul_f32_e32 v8, v8, v11
	s_waitcnt vmcnt(1)
	v_div_scale_f32 v6, s[4:5], v15, v15, 1.0
	v_div_scale_f32 v3, vcc, 1.0, v15, 1.0
	s_waitcnt vmcnt(0)
	v_mul_f32_e32 v2, v23, v2
	global_store_dword v[4:5], v2, off
	v_rcp_f32_e32 v2, v6
	v_fma_f32 v4, -v6, v2, 1.0
	v_fmac_f32_e32 v2, v4, v2
	v_mul_f32_e32 v4, v3, v2
	v_fma_f32 v5, -v6, v4, v3
	v_fmac_f32_e32 v4, v5, v2
	v_fma_f32 v3, -v6, v4, v3
	v_div_fmas_f32 v6, v3, v2, v4
	v_lshlrev_b64 v[2:3], 2, v[0:1]
	v_add_u32_e32 v0, s1, v0
	v_add_co_u32_e32 v4, vcc, s10, v2
	v_addc_co_u32_e32 v5, vcc, v17, v3, vcc
	global_load_dword v4, v[4:5], off
	v_mul_f32_e32 v5, v12, v13
	v_add_co_u32_e32 v2, vcc, s12, v2
	v_addc_co_u32_e32 v3, vcc, v16, v3, vcc
	s_mul_i32 s1, s2, 0x75
	v_div_fixup_f32 v6, v6, v15, 1.0
	v_mul_f32_e32 v5, v5, v6
	v_min_f32_e32 v5, 0x7cf0bdc2, v5
	s_waitcnt vmcnt(0)
	v_mul_f32_e32 v4, v4, v5
	global_store_dword v[2:3], v4, off
	v_lshlrev_b64 v[2:3], 2, v[0:1]
	v_add_u32_e32 v0, s1, v0
	v_add_co_u32_e32 v6, vcc, s14, v2
	v_addc_co_u32_e32 v7, vcc, v20, v3, vcc
	global_load_dword v6, v[6:7], off
	v_lshlrev_b64 v[22:23], 2, v[0:1]
	v_add_u32_e32 v0, s2, v0
	v_lshlrev_b64 v[2:3], 2, v[0:1]
	v_add_u32_e32 v0, s0, v0
	v_lshlrev_b64 v[4:5], 2, v[0:1]
	v_add_co_u32_e32 v4, vcc, s14, v4
	v_addc_co_u32_e32 v5, vcc, v20, v5, vcc
	s_waitcnt vmcnt(0)
	v_mul_f32_e32 v15, v14, v6
	v_div_scale_f32 v6, s[0:1], v15, v15, 1.0
	v_mul_f32_e32 v14, v14, v19
	v_rcp_f32_e32 v7, v6
	v_fma_f32 v20, -v6, v7, 1.0
	v_fmac_f32_e32 v7, v20, v7
	v_div_scale_f32 v20, vcc, 1.0, v15, 1.0
	v_mul_f32_e32 v21, v20, v7
	v_fma_f32 v24, -v6, v21, v20
	v_fmac_f32_e32 v21, v24, v7
	v_fma_f32 v6, -v6, v21, v20
	v_mul_f32_e32 v20, v12, v9
	v_div_scale_f32 v9, s[0:1], v20, v20, 1.0
	v_div_fmas_f32 v21, v6, v7, v21
	v_add_co_u32_e32 v24, vcc, s10, v22
	v_addc_co_u32_e32 v25, vcc, v17, v23, vcc
	v_add_co_u32_e32 v6, vcc, s12, v22
	v_addc_co_u32_e32 v7, vcc, v16, v23, vcc
	v_mul_f32_e32 v12, v12, v14
	v_rcp_f32_e32 v22, v9
	v_fma_f32 v23, -v9, v22, 1.0
	v_fmac_f32_e32 v22, v23, v22
	v_div_scale_f32 v23, vcc, 1.0, v20, 1.0
	v_mul_f32_e32 v26, v23, v22
	v_fma_f32 v27, -v9, v26, v23
	v_fmac_f32_e32 v26, v27, v22
	v_fma_f32 v9, -v9, v26, v23
	v_div_fmas_f32 v22, v9, v22, v26
	global_load_dword v23, v[24:25], off
	global_load_dword v9, v[4:5], off
	v_add_co_u32_e32 v4, vcc, s10, v2
	v_addc_co_u32_e32 v5, vcc, v17, v3, vcc
	global_load_dword v4, v[4:5], off
	v_div_fixup_f32 v5, v21, v15, 1.0
	v_mul_f32_e32 v5, v13, v5
	v_min_f32_e32 v5, 0x7cf0bdc2, v5
	s_waitcnt vmcnt(2)
	v_mul_f32_e32 v5, v23, v5
	global_store_dword v[6:7], v5, off
	s_waitcnt vmcnt(2)
	v_div_scale_f32 v5, s[0:1], v9, v9, 1.0
	v_div_scale_f32 v6, vcc, 1.0, v9, 1.0
	v_div_fixup_f32 v7, v22, v20, 1.0
	v_mul_f32_e32 v7, v19, v7
	v_min_f32_e32 v7, 0x7cf0bdc2, v7
	s_waitcnt vmcnt(1)
	v_mul_f32_e32 v4, v4, v7
	v_add_co_u32_e64 v2, s[0:1], s12, v2
	v_addc_co_u32_e64 v3, s[0:1], v16, v3, s[0:1]
	global_store_dword v[2:3], v4, off
	s_mul_i32 s0, s2, 0x78
	v_add_u32_e32 v0, s0, v0
	v_rcp_f32_e32 v7, v5
	v_fma_f32 v2, -v5, v7, 1.0
	v_fmac_f32_e32 v7, v2, v7
	v_mul_f32_e32 v13, v6, v7
	v_fma_f32 v2, -v5, v13, v6
	v_fmac_f32_e32 v13, v2, v7
	v_lshlrev_b64 v[2:3], 2, v[0:1]
	v_fma_f32 v15, -v5, v13, v6
	v_add_co_u32_e64 v4, s[0:1], s10, v2
	v_addc_co_u32_e64 v5, s[0:1], v17, v3, s[0:1]
	v_add_u32_e32 v0, s2, v0
	global_load_dword v6, v[4:5], off
	v_lshlrev_b64 v[4:5], 2, v[0:1]
	v_div_fmas_f32 v13, v15, v7, v13
	v_add_co_u32_e32 v20, vcc, s10, v4
	v_addc_co_u32_e32 v21, vcc, v17, v5, vcc
	global_load_dword v7, v[20:21], off
	v_add_u32_e32 v0, s2, v0
	v_lshlrev_b64 v[0:1], 2, v[0:1]
	v_div_scale_f32 v11, s[0:1], v8, v8, 1.0
	v_add_co_u32_e32 v20, vcc, s10, v0
	v_addc_co_u32_e32 v21, vcc, v17, v1, vcc
	global_load_dword v15, v[20:21], off
	v_div_scale_f32 v17, vcc, 1.0, v8, 1.0
	v_div_fixup_f32 v9, v13, v9, 1.0
	v_div_scale_f32 v13, s[0:1], v10, v10, 1.0
	v_mul_f32_e32 v9, v12, v9
	v_min_f32_e32 v9, 0x7cf0bdc2, v9
	v_rcp_f32_e32 v19, v11
	v_fma_f32 v12, -v11, v19, 1.0
	v_fmac_f32_e32 v19, v12, v19
	v_mul_f32_e32 v12, v17, v19
	v_fma_f32 v18, -v11, v12, v17
	v_fmac_f32_e32 v12, v18, v19
	v_div_scale_f32 v18, s[0:1], 1.0, v10, 1.0
	v_fma_f32 v11, -v11, v12, v17
	v_rcp_f32_e32 v17, v13
	v_div_fmas_f32 v11, v11, v19, v12
	s_mov_b64 vcc, s[0:1]
	v_fma_f32 v12, -v13, v17, 1.0
	v_fmac_f32_e32 v17, v12, v17
	v_mul_f32_e32 v12, v18, v17
	v_fma_f32 v19, -v13, v12, v18
	v_fmac_f32_e32 v12, v19, v17
	v_fma_f32 v13, -v13, v12, v18
	v_div_fmas_f32 v12, v13, v17, v12
	v_add_co_u32_e32 v2, vcc, s12, v2
	v_addc_co_u32_e32 v3, vcc, v16, v3, vcc
	s_waitcnt vmcnt(2)
	v_mul_f32_e32 v6, v6, v9
	global_store_dword v[2:3], v6, off
	v_div_fixup_f32 v2, v11, v8, 1.0
	v_mul_f32_e32 v2, v14, v2
	v_min_f32_e32 v2, 0x7cf0bdc2, v2
	s_waitcnt vmcnt(2)
	v_mul_f32_e32 v6, v7, v2
	v_add_co_u32_e32 v2, vcc, s12, v4
	v_addc_co_u32_e32 v3, vcc, v16, v5, vcc
	global_store_dword v[2:3], v6, off
	v_div_fixup_f32 v2, v12, v10, 1.0
	v_mul_f32_e32 v2, v14, v2
	v_min_f32_e32 v2, 0x7cf0bdc2, v2
	v_add_co_u32_e32 v0, vcc, s12, v0
	s_waitcnt vmcnt(2)
	v_mul_f32_e32 v2, v15, v2
	v_addc_co_u32_e32 v1, vcc, v16, v1, vcc
	global_store_dword v[0:1], v2, off
	s_endpgm
	.section	.rodata,"a",@progbits
	.p2align	6, 0x0
	.amdhsa_kernel _Z12ratt7_kernelIfEvPKT_S2_PS0_S2_S0_
		.amdhsa_group_segment_fixed_size 0
		.amdhsa_private_segment_fixed_size 0
		.amdhsa_kernarg_size 296
		.amdhsa_user_sgpr_count 6
		.amdhsa_user_sgpr_private_segment_buffer 1
		.amdhsa_user_sgpr_dispatch_ptr 0
		.amdhsa_user_sgpr_queue_ptr 0
		.amdhsa_user_sgpr_kernarg_segment_ptr 1
		.amdhsa_user_sgpr_dispatch_id 0
		.amdhsa_user_sgpr_flat_scratch_init 0
		.amdhsa_user_sgpr_private_segment_size 0
		.amdhsa_uses_dynamic_stack 0
		.amdhsa_system_sgpr_private_segment_wavefront_offset 0
		.amdhsa_system_sgpr_workgroup_id_x 1
		.amdhsa_system_sgpr_workgroup_id_y 0
		.amdhsa_system_sgpr_workgroup_id_z 0
		.amdhsa_system_sgpr_workgroup_info 0
		.amdhsa_system_vgpr_workitem_id 0
		.amdhsa_next_free_vgpr 37
		.amdhsa_next_free_sgpr 16
		.amdhsa_reserve_vcc 1
		.amdhsa_reserve_flat_scratch 0
		.amdhsa_float_round_mode_32 0
		.amdhsa_float_round_mode_16_64 0
		.amdhsa_float_denorm_mode_32 3
		.amdhsa_float_denorm_mode_16_64 3
		.amdhsa_dx10_clamp 1
		.amdhsa_ieee_mode 1
		.amdhsa_fp16_overflow 0
		.amdhsa_exception_fp_ieee_invalid_op 0
		.amdhsa_exception_fp_denorm_src 0
		.amdhsa_exception_fp_ieee_div_zero 0
		.amdhsa_exception_fp_ieee_overflow 0
		.amdhsa_exception_fp_ieee_underflow 0
		.amdhsa_exception_fp_ieee_inexact 0
		.amdhsa_exception_int_div_zero 0
	.end_amdhsa_kernel
	.section	.text._Z12ratt7_kernelIfEvPKT_S2_PS0_S2_S0_,"axG",@progbits,_Z12ratt7_kernelIfEvPKT_S2_PS0_S2_S0_,comdat
.Lfunc_end8:
	.size	_Z12ratt7_kernelIfEvPKT_S2_PS0_S2_S0_, .Lfunc_end8-_Z12ratt7_kernelIfEvPKT_S2_PS0_S2_S0_
                                        ; -- End function
	.set _Z12ratt7_kernelIfEvPKT_S2_PS0_S2_S0_.num_vgpr, 37
	.set _Z12ratt7_kernelIfEvPKT_S2_PS0_S2_S0_.num_agpr, 0
	.set _Z12ratt7_kernelIfEvPKT_S2_PS0_S2_S0_.numbered_sgpr, 16
	.set _Z12ratt7_kernelIfEvPKT_S2_PS0_S2_S0_.num_named_barrier, 0
	.set _Z12ratt7_kernelIfEvPKT_S2_PS0_S2_S0_.private_seg_size, 0
	.set _Z12ratt7_kernelIfEvPKT_S2_PS0_S2_S0_.uses_vcc, 1
	.set _Z12ratt7_kernelIfEvPKT_S2_PS0_S2_S0_.uses_flat_scratch, 0
	.set _Z12ratt7_kernelIfEvPKT_S2_PS0_S2_S0_.has_dyn_sized_stack, 0
	.set _Z12ratt7_kernelIfEvPKT_S2_PS0_S2_S0_.has_recursion, 0
	.set _Z12ratt7_kernelIfEvPKT_S2_PS0_S2_S0_.has_indirect_call, 0
	.section	.AMDGPU.csdata,"",@progbits
; Kernel info:
; codeLenInByte = 4768
; TotalNumSgprs: 20
; NumVgprs: 37
; ScratchSize: 0
; MemoryBound: 0
; FloatMode: 240
; IeeeMode: 1
; LDSByteSize: 0 bytes/workgroup (compile time only)
; SGPRBlocks: 2
; VGPRBlocks: 9
; NumSGPRsForWavesPerEU: 20
; NumVGPRsForWavesPerEU: 37
; Occupancy: 6
; WaveLimiterHint : 0
; COMPUTE_PGM_RSRC2:SCRATCH_EN: 0
; COMPUTE_PGM_RSRC2:USER_SGPR: 6
; COMPUTE_PGM_RSRC2:TRAP_HANDLER: 0
; COMPUTE_PGM_RSRC2:TGID_X_EN: 1
; COMPUTE_PGM_RSRC2:TGID_Y_EN: 0
; COMPUTE_PGM_RSRC2:TGID_Z_EN: 0
; COMPUTE_PGM_RSRC2:TIDIG_COMP_CNT: 0
	.section	.text._Z12ratt8_kernelIfEvPKT_S2_PS0_S2_S0_,"axG",@progbits,_Z12ratt8_kernelIfEvPKT_S2_PS0_S2_S0_,comdat
	.protected	_Z12ratt8_kernelIfEvPKT_S2_PS0_S2_S0_ ; -- Begin function _Z12ratt8_kernelIfEvPKT_S2_PS0_S2_S0_
	.globl	_Z12ratt8_kernelIfEvPKT_S2_PS0_S2_S0_
	.p2align	8
	.type	_Z12ratt8_kernelIfEvPKT_S2_PS0_S2_S0_,@function
_Z12ratt8_kernelIfEvPKT_S2_PS0_S2_S0_:  ; @_Z12ratt8_kernelIfEvPKT_S2_PS0_S2_S0_
; %bb.0:
	s_load_dword s0, s[4:5], 0x34
	s_load_dword s1, s[4:5], 0x28
	s_load_dwordx8 s[8:15], s[4:5], 0x0
	v_mov_b32_e32 v1, 0
	v_mov_b32_e32 v3, v1
	s_waitcnt lgkmcnt(0)
	s_and_b32 s0, s0, 0xffff
	s_mul_i32 s6, s6, s0
	s_mul_i32 s0, s1, s0
	v_add_u32_e32 v0, s6, v0
	s_lshl_b32 s1, s0, 1
	v_add_u32_e32 v2, s1, v0
	v_lshlrev_b64 v[4:5], 2, v[2:3]
	v_mad_u64_u32 v[2:3], s[2:3], s0, 24, v[2:3]
	v_mov_b32_e32 v3, v1
	v_mov_b32_e32 v20, s15
	v_add_co_u32_e32 v6, vcc, s14, v4
	v_lshlrev_b64 v[3:4], 2, v[2:3]
	v_addc_co_u32_e32 v7, vcc, v20, v5, vcc
	s_mul_i32 s2, s0, 0xffffffea
	v_add_co_u32_e32 v8, vcc, s14, v3
	v_add_u32_e32 v2, s2, v2
	v_mov_b32_e32 v3, v1
	v_addc_co_u32_e32 v9, vcc, v20, v4, vcc
	v_lshlrev_b64 v[3:4], 2, v[2:3]
	s_mul_i32 s2, s0, 21
	v_add_co_u32_e32 v14, vcc, s14, v3
	v_add_u32_e32 v2, s2, v2
	v_mov_b32_e32 v3, v1
	v_addc_co_u32_e32 v15, vcc, v20, v4, vcc
	v_lshlrev_b64 v[3:4], 2, v[2:3]
	s_mul_i32 s3, s0, 0x7d
	v_add_co_u32_e32 v16, vcc, s14, v3
	v_addc_co_u32_e32 v17, vcc, v20, v4, vcc
	v_add_u32_e32 v4, s3, v2
	v_mov_b32_e32 v5, v1
	v_lshlrev_b64 v[2:3], 2, v[4:5]
	v_mov_b32_e32 v19, s11
	v_add_co_u32_e32 v12, vcc, s10, v2
	v_addc_co_u32_e32 v13, vcc, v19, v3, vcc
	v_mov_b32_e32 v18, s13
	v_add_co_u32_e32 v10, vcc, s12, v2
	v_addc_co_u32_e32 v11, vcc, v18, v3, vcc
	v_lshlrev_b64 v[2:3], 2, v[0:1]
	v_mov_b32_e32 v5, s9
	v_add_co_u32_e32 v21, vcc, s8, v2
	v_addc_co_u32_e32 v22, vcc, v5, v3, vcc
	global_load_dword v5, v[21:22], off
	s_load_dword s3, s[4:5], 0x20
	v_add_u32_e32 v0, s0, v0
	s_waitcnt vmcnt(0) lgkmcnt(0)
	v_mul_f32_e32 v5, s3, v5
	v_mul_f32_e32 v22, 0x4c9e9632, v5
	v_div_scale_f32 v5, s[4:5], v22, v22, 1.0
	s_mul_i32 s3, s0, 0x92
	v_rcp_f32_e32 v21, v5
	v_fma_f32 v23, -v5, v21, 1.0
	v_fmac_f32_e32 v21, v23, v21
	v_div_scale_f32 v23, vcc, 1.0, v22, 1.0
	v_mul_f32_e32 v24, v23, v21
	v_fma_f32 v25, -v5, v24, v23
	v_fmac_f32_e32 v24, v25, v21
	v_fma_f32 v5, -v5, v24, v23
	v_div_fmas_f32 v23, v5, v21, v24
	global_load_dword v21, v[14:15], off
	global_load_dword v24, v[16:17], off
	s_waitcnt vmcnt(0)
	v_mul_f32_e32 v5, v21, v24
	v_div_scale_f32 v14, s[4:5], v5, v5, 1.0
	s_mul_i32 s4, s0, 0xffffff6f
	v_add_u32_e32 v4, s4, v4
	s_mul_i32 s5, s0, 0xffffff6c
	v_rcp_f32_e32 v15, v14
	v_fma_f32 v16, -v14, v15, 1.0
	v_fmac_f32_e32 v15, v16, v15
	v_div_scale_f32 v16, vcc, 1.0, v5, 1.0
	v_mul_f32_e32 v17, v16, v15
	v_fma_f32 v25, -v14, v17, v16
	v_fmac_f32_e32 v17, v25, v15
	v_fma_f32 v14, -v14, v17, v16
	v_div_fmas_f32 v17, v14, v15, v17
	global_load_dword v25, v[12:13], off
	global_load_dword v16, v[8:9], off
	;; [unrolled: 1-line block ×4, first 2 shown]
	v_div_fixup_f32 v5, v17, v5, 1.0
	s_waitcnt vmcnt(1)
	v_mul_f32_e32 v6, v15, v16
	v_mul_f32_e32 v5, v6, v5
	v_min_f32_e32 v5, 0x7cf0bdc2, v5
	v_mul_f32_e32 v5, v25, v5
	global_store_dword v[10:11], v5, off
	v_mov_b32_e32 v5, v1
	v_lshlrev_b64 v[7:8], 2, v[4:5]
	v_mov_b32_e32 v6, v1
	v_add_u32_e32 v5, s3, v4
	v_add_co_u32_e32 v7, vcc, s14, v7
	v_lshlrev_b64 v[9:10], 2, v[5:6]
	v_addc_co_u32_e32 v8, vcc, v20, v8, vcc
	v_add_co_u32_e32 v11, vcc, s10, v9
	v_addc_co_u32_e32 v12, vcc, v19, v10, vcc
	v_add_co_u32_e32 v25, vcc, s12, v9
	global_load_dword v9, v[7:8], off
	v_addc_co_u32_e32 v26, vcc, v18, v10, vcc
	s_waitcnt vmcnt(0)
	v_mul_f32_e32 v4, v24, v9
	v_div_scale_f32 v6, s[6:7], v4, v4, 1.0
	v_rcp_f32_e32 v7, v6
	v_fma_f32 v8, -v6, v7, 1.0
	v_fmac_f32_e32 v7, v8, v7
	v_div_scale_f32 v8, vcc, 1.0, v4, 1.0
	v_mul_f32_e32 v10, v8, v7
	v_fma_f32 v13, -v6, v10, v8
	v_fmac_f32_e32 v10, v13, v7
	v_fma_f32 v6, -v6, v10, v8
	v_div_fmas_f32 v6, v6, v7, v10
	global_load_dword v7, v[11:12], off
	v_div_fixup_f32 v4, v6, v4, 1.0
	v_mul_f32_e32 v6, v16, v21
	v_mul_f32_e32 v4, v6, v4
	v_min_f32_e32 v4, 0x7cf0bdc2, v4
	v_add_u32_e32 v6, s5, v5
	s_mul_i32 s5, s0, 3
	s_waitcnt vmcnt(0)
	v_mul_f32_e32 v4, v7, v4
	v_mov_b32_e32 v7, v1
	global_store_dword v[25:26], v4, off
	v_lshlrev_b64 v[4:5], 2, v[6:7]
	v_add_u32_e32 v6, s5, v6
	v_add_co_u32_e32 v4, vcc, s14, v4
	v_lshlrev_b64 v[7:8], 2, v[6:7]
	v_addc_co_u32_e32 v5, vcc, v20, v5, vcc
	v_add_co_u32_e32 v12, vcc, s14, v7
	v_addc_co_u32_e32 v13, vcc, v20, v8, vcc
	global_load_dword v8, v[12:13], off
	global_load_dword v10, v[12:13], off
	;; [unrolled: 1-line block ×3, first 2 shown]
	v_add_u32_e32 v6, s3, v6
	s_waitcnt vmcnt(2)
	v_mul_f32_e32 v17, v24, v8
	v_div_scale_f32 v7, s[6:7], v17, v17, 1.0
	s_mul_i32 s6, s0, 0xffffff75
	v_rcp_f32_e32 v12, v7
	v_fma_f32 v13, -v7, v12, 1.0
	v_fmac_f32_e32 v12, v13, v12
	v_div_scale_f32 v13, vcc, 1.0, v17, 1.0
	v_mul_f32_e32 v24, v13, v12
	v_fma_f32 v25, -v7, v24, v13
	v_fmac_f32_e32 v24, v25, v12
	v_fma_f32 v7, -v7, v24, v13
	v_div_fmas_f32 v26, v7, v12, v24
	v_mov_b32_e32 v7, v1
	v_lshlrev_b64 v[12:13], 2, v[6:7]
	v_add_co_u32_e32 v24, vcc, s10, v12
	v_addc_co_u32_e32 v25, vcc, v19, v13, vcc
	global_load_dword v7, v[4:5], off
	global_load_dword v27, v[24:25], off
	v_add_co_u32_e32 v12, vcc, s12, v12
	v_addc_co_u32_e32 v13, vcc, v18, v13, vcc
	v_mov_b32_e32 v5, v1
	v_mov_b32_e32 v25, v1
	v_div_fixup_f32 v4, v26, v17, 1.0
	s_waitcnt vmcnt(1)
	v_mul_f32_e32 v28, v16, v7
	v_mul_f32_e32 v4, v28, v4
	v_min_f32_e32 v4, 0x7cf0bdc2, v4
	s_waitcnt vmcnt(0)
	v_mul_f32_e32 v4, v27, v4
	global_store_dword v[12:13], v4, off
	v_add_u32_e32 v4, s6, v6
	v_lshlrev_b64 v[5:6], 2, v[4:5]
	v_add_u32_e32 v24, s5, v4
	v_add_co_u32_e32 v16, vcc, s14, v5
	v_lshlrev_b64 v[4:5], 2, v[24:25]
	v_addc_co_u32_e32 v17, vcc, v20, v6, vcc
	v_add_co_u32_e32 v25, vcc, s14, v4
	v_addc_co_u32_e32 v26, vcc, v20, v5, vcc
	v_div_fixup_f32 v4, v23, v22, 1.0
	global_load_dword v5, v[16:17], off
	global_load_dword v23, v[25:26], off
	;; [unrolled: 1-line block ×3, first 2 shown]
	v_mul_f32_e32 v4, 0x49776020, v4
	s_mul_i32 s5, s0, 0x89
	s_waitcnt vmcnt(2)
	v_mul_f32_e32 v6, v21, v5
	s_waitcnt vmcnt(1)
	v_mul_f32_e32 v6, v6, v23
	v_mul_f32_e32 v6, v4, v6
	v_div_scale_f32 v13, s[6:7], v6, v6, 1.0
	v_rcp_f32_e32 v16, v13
	v_fma_f32 v17, -v13, v16, 1.0
	v_fmac_f32_e32 v16, v17, v16
	v_div_scale_f32 v17, vcc, 1.0, v6, 1.0
	v_mul_f32_e32 v22, v17, v16
	v_fma_f32 v25, -v13, v22, v17
	v_fmac_f32_e32 v22, v25, v16
	v_fma_f32 v13, -v13, v22, v17
	v_div_fmas_f32 v13, v13, v16, v22
	v_add_u32_e32 v16, s5, v24
	v_mov_b32_e32 v17, v1
	v_lshlrev_b64 v[24:25], 2, v[16:17]
	s_mul_i32 s5, s0, 0xffffff7c
	v_add_co_u32_e32 v26, vcc, s10, v24
	v_addc_co_u32_e32 v27, vcc, v19, v25, vcc
	global_load_dword v17, v[26:27], off
	v_add_co_u32_e32 v24, vcc, s12, v24
	v_addc_co_u32_e32 v25, vcc, v18, v25, vcc
	v_add_u32_e32 v16, s5, v16
	s_mul_i32 s5, s0, 0x87
	v_div_fixup_f32 v6, v13, v6, 1.0
	v_mul_f32_e32 v6, v28, v6
	v_min_f32_e32 v6, 0x7cf0bdc2, v6
	s_waitcnt vmcnt(0)
	v_mul_f32_e32 v6, v17, v6
	v_mov_b32_e32 v17, v1
	global_store_dword v[24:25], v6, off
	v_lshlrev_b64 v[24:25], 2, v[16:17]
	v_subrev_u32_e32 v16, s1, v16
	v_add_co_u32_e32 v24, vcc, s14, v24
	v_addc_co_u32_e32 v25, vcc, v20, v25, vcc
	v_add_co_u32_e32 v27, vcc, s14, v2
	v_addc_co_u32_e32 v28, vcc, v20, v3, vcc
	v_lshlrev_b64 v[2:3], 2, v[16:17]
	v_add_u32_e32 v16, s5, v16
	v_add_co_u32_e32 v29, vcc, s14, v2
	v_addc_co_u32_e32 v30, vcc, v20, v3, vcc
	global_load_dword v2, v[29:30], off
	global_load_dword v26, v[27:28], off
	;; [unrolled: 1-line block ×4, first 2 shown]
	s_waitcnt vmcnt(2)
	v_mul_f32_e32 v3, v26, v2
	v_mul_f32_e32 v6, v4, v3
	v_div_scale_f32 v3, s[6:7], v6, v6, 1.0
	s_waitcnt vmcnt(0)
	v_mul_f32_e32 v22, v22, v13
	v_rcp_f32_e32 v17, v3
	v_fma_f32 v27, -v3, v17, 1.0
	v_fmac_f32_e32 v17, v27, v17
	v_div_scale_f32 v27, vcc, 1.0, v6, 1.0
	v_mul_f32_e32 v28, v27, v17
	v_fma_f32 v29, -v3, v28, v27
	v_fmac_f32_e32 v28, v29, v17
	v_fma_f32 v3, -v3, v28, v27
	v_div_fmas_f32 v29, v3, v17, v28
	v_mov_b32_e32 v17, v1
	v_lshlrev_b64 v[16:17], 2, v[16:17]
	v_add_co_u32_e32 v27, vcc, s10, v16
	v_addc_co_u32_e32 v28, vcc, v19, v17, vcc
	global_load_dword v3, v[24:25], off
	global_load_dword v30, v[27:28], off
	v_add_co_u32_e32 v16, vcc, s12, v16
	v_addc_co_u32_e32 v17, vcc, v18, v17, vcc
	v_div_fixup_f32 v6, v29, v6, 1.0
	s_waitcnt vmcnt(1)
	v_mul_f32_e32 v6, v3, v6
	v_min_f32_e32 v6, 0x7cf0bdc2, v6
	s_waitcnt vmcnt(0)
	v_mul_f32_e32 v6, v30, v6
	global_store_dword v[16:17], v6, off
	v_lshlrev_b64 v[16:17], 2, v[0:1]
	v_add_u32_e32 v0, s2, v0
	v_add_co_u32_e32 v27, vcc, s14, v16
	v_addc_co_u32_e32 v28, vcc, v20, v17, vcc
	v_lshlrev_b64 v[16:17], 2, v[0:1]
	s_mul_i32 s2, s0, 0x85
	v_add_co_u32_e32 v29, vcc, s14, v16
	v_addc_co_u32_e32 v30, vcc, v20, v17, vcc
	global_load_dword v25, v[29:30], off
	global_load_dword v16, v[29:30], off
	;; [unrolled: 1-line block ×3, first 2 shown]
	v_add_u32_e32 v0, s2, v0
	s_mul_i32 s2, s0, 0x88
	v_mul_f32_e32 v7, v7, v3
	s_waitcnt vmcnt(2)
	v_div_scale_f32 v6, s[6:7], v25, v25, 1.0
	s_mul_i32 s6, s0, 0xffffff79
	s_mul_i32 s7, s0, 0xffffff6e
	v_mul_f32_e32 v5, v5, v25
	v_rcp_f32_e32 v24, v6
	v_fma_f32 v29, -v6, v24, 1.0
	v_fmac_f32_e32 v24, v29, v24
	v_div_scale_f32 v29, vcc, 1.0, v25, 1.0
	v_mul_f32_e32 v30, v29, v24
	v_fma_f32 v31, -v6, v30, v29
	v_fmac_f32_e32 v30, v31, v24
	v_fma_f32 v6, -v6, v30, v29
	v_div_fmas_f32 v6, v6, v24, v30
	v_lshlrev_b64 v[29:30], 2, v[0:1]
	v_add_u32_e32 v0, s6, v0
	v_add_co_u32_e32 v31, vcc, s10, v29
	v_addc_co_u32_e32 v32, vcc, v19, v30, vcc
	global_load_dword v24, v[27:28], off
	s_nop 0
	global_load_dword v27, v[31:32], off
	v_add_co_u32_e32 v29, vcc, s12, v29
	v_addc_co_u32_e32 v30, vcc, v18, v30, vcc
	v_div_fixup_f32 v6, v6, v25, 1.0
	s_waitcnt vmcnt(1)
	v_mul_f32_e32 v33, v3, v24
	v_mul_f32_e32 v28, v4, v33
	;; [unrolled: 1-line block ×3, first 2 shown]
	v_min_f32_e32 v6, 0x7cf0bdc2, v6
	s_waitcnt vmcnt(0)
	v_mul_f32_e32 v6, v27, v6
	v_lshlrev_b64 v[27:28], 2, v[0:1]
	global_store_dword v[29:30], v6, off
	v_add_co_u32_e32 v29, vcc, s14, v27
	v_addc_co_u32_e32 v30, vcc, v20, v28, vcc
	global_load_dword v28, v[29:30], off
	global_load_dword v6, v[29:30], off
	v_add_u32_e32 v0, s2, v0
	s_waitcnt vmcnt(1)
	v_mul_f32_e32 v34, v26, v28
	v_div_scale_f32 v26, s[8:9], v34, v34, 1.0
	v_mul_f32_e32 v9, v9, v28
	v_rcp_f32_e32 v27, v26
	v_fma_f32 v29, -v26, v27, 1.0
	v_fmac_f32_e32 v27, v29, v27
	v_div_scale_f32 v29, vcc, 1.0, v34, 1.0
	v_mul_f32_e32 v30, v29, v27
	v_fma_f32 v31, -v26, v30, v29
	v_fmac_f32_e32 v30, v31, v27
	v_fma_f32 v26, -v26, v30, v29
	v_div_fmas_f32 v35, v26, v27, v30
	v_lshlrev_b64 v[26:27], 2, v[0:1]
	v_add_u32_e32 v0, s0, v0
	v_add_co_u32_e32 v29, vcc, s10, v26
	v_addc_co_u32_e32 v30, vcc, v19, v27, vcc
	global_load_dword v36, v[29:30], off
	v_add_co_u32_e32 v26, vcc, s12, v26
	v_lshlrev_b64 v[29:30], 2, v[0:1]
	v_addc_co_u32_e32 v27, vcc, v18, v27, vcc
	v_add_co_u32_e32 v31, vcc, s10, v29
	v_addc_co_u32_e32 v32, vcc, v19, v30, vcc
	global_load_dword v31, v[31:32], off
	v_div_fixup_f32 v32, v35, v34, 1.0
	v_mul_f32_e32 v32, v33, v32
	v_min_f32_e32 v32, 0x7cf0bdc2, v32
	v_add_u32_e32 v0, s7, v0
	s_mul_i32 s7, s0, 0x8f
	s_waitcnt vmcnt(1)
	v_mul_f32_e32 v32, v36, v32
	global_store_dword v[26:27], v32, off
	v_mul_f32_e32 v32, v21, v28
	v_div_scale_f32 v26, s[8:9], v32, v32, 1.0
	v_rcp_f32_e32 v27, v26
	v_fma_f32 v33, -v26, v27, 1.0
	v_fmac_f32_e32 v27, v33, v27
	v_div_scale_f32 v33, vcc, 1.0, v32, 1.0
	v_mul_f32_e32 v34, v33, v27
	v_fma_f32 v35, -v26, v34, v33
	v_fmac_f32_e32 v34, v35, v27
	v_fma_f32 v26, -v26, v34, v33
	v_div_fmas_f32 v33, v26, v27, v34
	v_add_co_u32_e32 v26, vcc, s12, v29
	v_mul_f32_e32 v35, v15, v3
	v_addc_co_u32_e32 v27, vcc, v18, v30, vcc
	v_div_fixup_f32 v29, v33, v32, 1.0
	v_mul_f32_e32 v15, v35, v29
	v_min_f32_e32 v15, 0x7cf0bdc2, v15
	s_waitcnt vmcnt(1)
	v_mul_f32_e32 v15, v31, v15
	global_store_dword v[26:27], v15, off
	v_lshlrev_b64 v[26:27], 2, v[0:1]
	v_lshl_add_u32 v0, s0, 2, v0
	v_add_co_u32_e32 v29, vcc, s14, v26
	v_addc_co_u32_e32 v30, vcc, v20, v27, vcc
	v_lshlrev_b64 v[26:27], 2, v[0:1]
	v_add_u32_e32 v0, s7, v0
	v_add_co_u32_e32 v26, vcc, s14, v26
	v_addc_co_u32_e32 v27, vcc, v20, v27, vcc
	global_load_dword v27, v[26:27], off
	s_nop 0
	global_load_dword v26, v[29:30], off
	global_load_dword v15, v[29:30], off
	s_mul_i32 s7, s0, 0xffffff6b
	s_waitcnt vmcnt(1)
	v_mul_f32_e32 v26, v26, v27
	v_div_scale_f32 v29, s[8:9], v26, v26, 1.0
	v_rcp_f32_e32 v30, v29
	v_fma_f32 v31, -v29, v30, 1.0
	v_fmac_f32_e32 v30, v31, v30
	v_div_scale_f32 v31, vcc, 1.0, v26, 1.0
	v_mul_f32_e32 v32, v31, v30
	v_fma_f32 v33, -v29, v32, v31
	v_fmac_f32_e32 v32, v33, v30
	v_fma_f32 v29, -v29, v32, v31
	v_div_fmas_f32 v33, v29, v30, v32
	v_lshlrev_b64 v[29:30], 2, v[0:1]
	v_add_u32_e32 v0, s7, v0
	v_add_co_u32_e32 v31, vcc, s10, v29
	v_addc_co_u32_e32 v32, vcc, v19, v30, vcc
	global_load_dword v31, v[31:32], off
	v_add_co_u32_e32 v29, vcc, s12, v29
	v_addc_co_u32_e32 v30, vcc, v18, v30, vcc
	s_mul_i32 s7, s0, 0x96
	v_div_fixup_f32 v26, v33, v26, 1.0
	v_mul_f32_e32 v26, v35, v26
	v_min_f32_e32 v26, 0x7cf0bdc2, v26
	s_waitcnt vmcnt(0)
	v_mul_f32_e32 v26, v31, v26
	global_store_dword v[29:30], v26, off
	v_lshlrev_b64 v[29:30], 2, v[0:1]
	v_add_u32_e32 v0, s7, v0
	v_add_co_u32_e32 v29, vcc, s14, v29
	v_addc_co_u32_e32 v30, vcc, v20, v30, vcc
	global_load_dword v26, v[29:30], off
	s_mul_i32 s7, s0, 0xffffff7a
	s_waitcnt vmcnt(0)
	v_mul_f32_e32 v23, v23, v26
	v_div_scale_f32 v29, s[8:9], v23, v23, 1.0
	v_rcp_f32_e32 v30, v29
	v_fma_f32 v31, -v29, v30, 1.0
	v_fmac_f32_e32 v30, v31, v30
	v_div_scale_f32 v31, vcc, 1.0, v23, 1.0
	v_mul_f32_e32 v32, v31, v30
	v_fma_f32 v33, -v29, v32, v31
	v_fmac_f32_e32 v32, v33, v30
	v_fma_f32 v29, -v29, v32, v31
	v_div_fmas_f32 v36, v29, v30, v32
	v_lshlrev_b64 v[29:30], 2, v[0:1]
	v_add_u32_e32 v0, s0, v0
	v_add_co_u32_e32 v31, vcc, s10, v29
	v_addc_co_u32_e32 v32, vcc, v19, v30, vcc
	global_load_dword v37, v[31:32], off
	v_add_co_u32_e32 v29, vcc, s12, v29
	v_lshlrev_b64 v[31:32], 2, v[0:1]
	v_addc_co_u32_e32 v30, vcc, v18, v30, vcc
	v_add_co_u32_e32 v33, vcc, s10, v31
	v_addc_co_u32_e32 v34, vcc, v19, v32, vcc
	global_load_dword v38, v[33:34], off
	v_div_fixup_f32 v23, v36, v23, 1.0
	v_mul_f32_e32 v23, v35, v23
	v_min_f32_e32 v23, 0x7cf0bdc2, v23
	v_add_u32_e32 v0, s0, v0
	v_lshlrev_b64 v[33:34], 2, v[0:1]
	v_add_u32_e32 v0, s7, v0
	v_add_co_u32_e32 v35, vcc, s10, v33
	v_addc_co_u32_e32 v36, vcc, v19, v34, vcc
	global_load_dword v35, v[35:36], off
	s_waitcnt vmcnt(2)
	v_mul_f32_e32 v23, v37, v23
	global_store_dword v[29:30], v23, off
	v_div_scale_f32 v23, s[8:9], v9, v9, 1.0
	v_rcp_f32_e32 v29, v23
	v_fma_f32 v30, -v23, v29, 1.0
	v_fmac_f32_e32 v29, v30, v29
	v_div_scale_f32 v30, vcc, 1.0, v9, 1.0
	v_mul_f32_e32 v36, v30, v29
	v_fma_f32 v37, -v23, v36, v30
	v_fmac_f32_e32 v36, v37, v29
	v_fma_f32 v23, -v23, v36, v30
	v_div_fmas_f32 v23, v23, v29, v36
	v_add_co_u32_e32 v29, vcc, s12, v31
	v_addc_co_u32_e32 v30, vcc, v18, v32, vcc
	v_div_fixup_f32 v9, v23, v9, 1.0
	v_mul_f32_e32 v23, v21, v3
	v_mul_f32_e32 v9, v23, v9
	v_min_f32_e32 v9, 0x7cf0bdc2, v9
	s_waitcnt vmcnt(2)
	v_mul_f32_e32 v9, v9, v38
	global_store_dword v[29:30], v9, off
	v_mul_f32_e32 v9, v8, v28
	v_div_scale_f32 v23, s[8:9], v9, v9, 1.0
	v_mul_f32_e32 v8, v8, v3
	v_rcp_f32_e32 v28, v23
	v_fma_f32 v29, -v23, v28, 1.0
	v_fmac_f32_e32 v28, v29, v28
	v_div_scale_f32 v29, vcc, 1.0, v9, 1.0
	v_mul_f32_e32 v30, v29, v28
	v_fma_f32 v31, -v23, v30, v29
	v_fmac_f32_e32 v30, v31, v28
	v_fma_f32 v23, -v23, v30, v29
	v_div_fmas_f32 v23, v23, v28, v30
	v_add_co_u32_e32 v28, vcc, s12, v33
	v_addc_co_u32_e32 v29, vcc, v18, v34, vcc
	v_div_fixup_f32 v9, v23, v9, 1.0
	v_mul_f32_e32 v7, v7, v9
	v_min_f32_e32 v7, 0x7cf0bdc2, v7
	s_waitcnt vmcnt(2)
	v_mul_f32_e32 v7, v7, v35
	global_store_dword v[28:29], v7, off
	v_lshlrev_b64 v[28:29], 2, v[0:1]
	v_add_u32_e32 v0, s5, v0
	v_add_co_u32_e32 v28, vcc, s14, v28
	v_addc_co_u32_e32 v29, vcc, v20, v29, vcc
	global_load_dword v7, v[28:29], off
	global_load_dword v23, v[28:29], off
	s_waitcnt vmcnt(1)
	v_mul_f32_e32 v7, v21, v7
	v_div_scale_f32 v9, s[8:9], v7, v7, 1.0
	v_rcp_f32_e32 v21, v9
	v_fma_f32 v28, -v9, v21, 1.0
	v_fmac_f32_e32 v21, v28, v21
	v_div_scale_f32 v28, vcc, 1.0, v7, 1.0
	v_mul_f32_e32 v29, v28, v21
	v_fma_f32 v30, -v9, v29, v28
	v_fmac_f32_e32 v29, v30, v21
	v_fma_f32 v9, -v9, v29, v28
	v_div_fmas_f32 v9, v9, v21, v29
	v_lshlrev_b64 v[28:29], 2, v[0:1]
	v_add_u32_e32 v0, s0, v0
	v_add_co_u32_e32 v30, vcc, s10, v28
	v_addc_co_u32_e32 v31, vcc, v19, v29, vcc
	global_load_dword v21, v[30:31], off
	v_add_co_u32_e32 v28, vcc, s12, v28
	v_lshlrev_b64 v[30:31], 2, v[0:1]
	v_addc_co_u32_e32 v29, vcc, v18, v29, vcc
	v_add_co_u32_e32 v32, vcc, s10, v30
	v_addc_co_u32_e32 v33, vcc, v19, v31, vcc
	global_load_dword v32, v[32:33], off
	v_div_fixup_f32 v7, v9, v7, 1.0
	v_mul_f32_e32 v7, v8, v7
	v_min_f32_e32 v7, 0x7cf0bdc2, v7
	v_add_u32_e32 v0, s6, v0
	s_waitcnt vmcnt(1)
	v_mul_f32_e32 v7, v21, v7
	global_store_dword v[28:29], v7, off
	v_div_scale_f32 v7, s[8:9], v5, v5, 1.0
	v_rcp_f32_e32 v8, v7
	v_fma_f32 v9, -v7, v8, 1.0
	v_fmac_f32_e32 v8, v9, v8
	v_div_scale_f32 v9, vcc, 1.0, v5, 1.0
	v_mul_f32_e32 v21, v9, v8
	v_fma_f32 v25, -v7, v21, v9
	v_fmac_f32_e32 v21, v25, v8
	v_fma_f32 v7, -v7, v21, v9
	v_div_fmas_f32 v9, v7, v8, v21
	v_add_co_u32_e32 v7, vcc, s12, v30
	v_addc_co_u32_e32 v8, vcc, v18, v31, vcc
	v_div_fixup_f32 v5, v9, v5, 1.0
	v_mul_f32_e32 v9, v3, v27
	v_mul_f32_e32 v5, v5, v9
	v_min_f32_e32 v5, 0x7cf0bdc2, v5
	s_waitcnt vmcnt(1)
	v_mul_f32_e32 v5, v5, v32
	global_store_dword v[7:8], v5, off
	v_lshlrev_b64 v[7:8], 2, v[0:1]
	v_add_u32_e32 v0, s2, v0
	v_add_co_u32_e32 v7, vcc, s14, v7
	v_addc_co_u32_e32 v8, vcc, v20, v8, vcc
	global_load_dword v5, v[7:8], off
	s_mul_i32 s2, s0, 0xffffff66
	s_waitcnt vmcnt(0)
	v_mul_f32_e32 v9, v24, v5
	v_div_scale_f32 v7, s[6:7], v9, v9, 1.0
	v_mul_f32_e32 v5, v17, v5
	v_rcp_f32_e32 v8, v7
	v_fma_f32 v21, -v7, v8, 1.0
	v_fmac_f32_e32 v8, v21, v8
	v_div_scale_f32 v21, vcc, 1.0, v9, 1.0
	v_mul_f32_e32 v24, v21, v8
	v_fma_f32 v25, -v7, v24, v21
	v_fmac_f32_e32 v24, v25, v8
	v_fma_f32 v7, -v7, v24, v21
	v_div_fmas_f32 v21, v7, v8, v24
	v_lshlrev_b64 v[7:8], 2, v[0:1]
	v_add_u32_e32 v0, s2, v0
	v_add_co_u32_e32 v24, vcc, s10, v7
	v_addc_co_u32_e32 v25, vcc, v19, v8, vcc
	global_load_dword v24, v[24:25], off
	v_add_co_u32_e32 v7, vcc, s12, v7
	v_addc_co_u32_e32 v8, vcc, v18, v8, vcc
	v_div_fixup_f32 v9, v21, v9, 1.0
	v_mul_f32_e32 v21, v3, v26
	v_mul_f32_e32 v9, v21, v9
	v_min_f32_e32 v9, 0x7cf0bdc2, v9
	s_waitcnt vmcnt(0)
	v_mul_f32_e32 v9, v24, v9
	global_store_dword v[7:8], v9, off
	v_lshlrev_b64 v[7:8], 2, v[0:1]
	v_add_u32_e32 v0, s1, v0
	v_add_co_u32_e32 v7, vcc, s14, v7
	v_lshlrev_b64 v[24:25], 2, v[0:1]
	v_addc_co_u32_e32 v8, vcc, v20, v8, vcc
	v_add_co_u32_e32 v24, vcc, s14, v24
	v_addc_co_u32_e32 v25, vcc, v20, v25, vcc
	global_load_dword v9, v[24:25], off
	s_mul_i32 s1, s0, 0x99
	v_add_u32_e32 v0, s1, v0
	s_mul_i32 s1, s0, 0xffffff77
	s_waitcnt vmcnt(0)
	v_mul_f32_e32 v2, v2, v9
	v_div_scale_f32 v21, s[6:7], v2, v2, 1.0
	v_rcp_f32_e32 v24, v21
	v_fma_f32 v25, -v21, v24, 1.0
	v_fmac_f32_e32 v24, v25, v24
	v_div_scale_f32 v25, vcc, 1.0, v2, 1.0
	v_mul_f32_e32 v26, v25, v24
	v_fma_f32 v27, -v21, v26, v25
	v_fmac_f32_e32 v26, v27, v24
	v_fma_f32 v21, -v21, v26, v25
	v_div_fmas_f32 v21, v21, v24, v26
	v_lshlrev_b64 v[24:25], 2, v[0:1]
	v_add_u32_e32 v0, s0, v0
	v_add_co_u32_e32 v26, vcc, s10, v24
	v_addc_co_u32_e32 v27, vcc, v19, v25, vcc
	global_load_dword v28, v[7:8], off
	global_load_dword v29, v[26:27], off
	v_add_co_u32_e32 v24, vcc, s12, v24
	v_lshlrev_b64 v[7:8], 2, v[0:1]
	v_addc_co_u32_e32 v25, vcc, v18, v25, vcc
	v_add_co_u32_e32 v26, vcc, s10, v7
	v_addc_co_u32_e32 v27, vcc, v19, v8, vcc
	global_load_dword v30, v[26:27], off
	v_div_fixup_f32 v21, v21, v2, 1.0
	v_add_u32_e32 v0, s0, v0
	s_waitcnt vmcnt(2)
	v_mul_f32_e32 v28, v3, v28
	v_mul_f32_e32 v21, v28, v21
	v_min_f32_e32 v21, 0x7cf0bdc2, v21
	s_waitcnt vmcnt(1)
	v_mul_f32_e32 v21, v29, v21
	global_store_dword v[24:25], v21, off
	v_div_scale_f32 v21, s[6:7], v5, v5, 1.0
	v_lshlrev_b64 v[2:3], 2, v[0:1]
	v_add_u32_e32 v0, s1, v0
	v_add_co_u32_e32 v26, vcc, s10, v2
	v_addc_co_u32_e32 v27, vcc, v19, v3, vcc
	global_load_dword v26, v[26:27], off
	s_mul_i32 s1, s0, 0x8a
	v_rcp_f32_e32 v24, v21
	v_fma_f32 v25, -v21, v24, 1.0
	v_fmac_f32_e32 v24, v25, v24
	v_div_scale_f32 v25, vcc, 1.0, v5, 1.0
	v_mul_f32_e32 v27, v25, v24
	v_fma_f32 v29, -v21, v27, v25
	v_fmac_f32_e32 v27, v29, v24
	v_fma_f32 v21, -v21, v27, v25
	v_div_fmas_f32 v21, v21, v24, v27
	v_add_co_u32_e32 v7, vcc, s12, v7
	v_addc_co_u32_e32 v8, vcc, v18, v8, vcc
	v_div_fixup_f32 v5, v21, v5, 1.0
	v_mul_f32_e32 v5, v28, v5
	v_min_f32_e32 v5, 0x7cf0bdc2, v5
	s_waitcnt vmcnt(2)
	v_mul_f32_e32 v5, v30, v5
	global_store_dword v[7:8], v5, off
	v_mul_f32_e32 v7, v9, v6
	v_div_scale_f32 v5, s[6:7], v7, v7, 1.0
	v_rcp_f32_e32 v6, v5
	v_fma_f32 v8, -v5, v6, 1.0
	v_fmac_f32_e32 v6, v8, v6
	v_div_scale_f32 v8, vcc, 1.0, v7, 1.0
	v_mul_f32_e32 v9, v8, v6
	v_fma_f32 v21, -v5, v9, v8
	v_fmac_f32_e32 v9, v21, v6
	v_fma_f32 v5, -v5, v9, v8
	v_div_fmas_f32 v8, v5, v6, v9
	v_add_co_u32_e32 v5, vcc, s12, v2
	v_addc_co_u32_e32 v6, vcc, v18, v3, vcc
	v_mul_f32_e32 v2, v15, v13
	v_div_fixup_f32 v3, v8, v7, 1.0
	v_mul_f32_e32 v3, v2, v3
	v_min_f32_e32 v3, 0x7cf0bdc2, v3
	s_waitcnt vmcnt(1)
	v_mul_f32_e32 v3, v26, v3
	global_store_dword v[5:6], v3, off
	v_lshlrev_b64 v[5:6], 2, v[0:1]
	v_add_u32_e32 v0, s1, v0
	v_add_co_u32_e32 v5, vcc, s14, v5
	v_addc_co_u32_e32 v6, vcc, v20, v6, vcc
	global_load_dword v3, v[5:6], off
	v_lshlrev_b64 v[7:8], 2, v[0:1]
	v_add_u32_e32 v0, s4, v0
	v_lshlrev_b64 v[24:25], 2, v[0:1]
	v_mul_f32_e32 v2, v4, v2
	v_add_co_u32_e32 v24, vcc, s14, v24
	v_addc_co_u32_e32 v25, vcc, v20, v25, vcc
	v_add_u32_e32 v0, s3, v0
	v_mul_f32_e32 v26, v17, v16
	s_waitcnt vmcnt(0)
	v_div_scale_f32 v5, s[4:5], v3, v3, 1.0
	v_rcp_f32_e32 v6, v5
	v_fma_f32 v9, -v5, v6, 1.0
	v_fmac_f32_e32 v6, v9, v6
	v_div_scale_f32 v9, vcc, 1.0, v3, 1.0
	v_mul_f32_e32 v20, v9, v6
	v_fma_f32 v21, -v5, v20, v9
	v_fmac_f32_e32 v20, v21, v6
	v_fma_f32 v5, -v5, v20, v9
	v_div_fmas_f32 v9, v5, v6, v20
	v_add_co_u32_e32 v5, vcc, s10, v7
	v_addc_co_u32_e32 v6, vcc, v19, v8, vcc
	global_load_dword v21, v[5:6], off
	global_load_dword v20, v[24:25], off
	v_add_co_u32_e32 v7, vcc, s12, v7
	v_addc_co_u32_e32 v8, vcc, v18, v8, vcc
	v_div_fixup_f32 v3, v9, v3, 1.0
	v_mul_f32_e32 v2, v2, v3
	v_min_f32_e32 v2, 0x7cf0bdc2, v2
	s_waitcnt vmcnt(1)
	v_mul_f32_e32 v2, v21, v2
	s_waitcnt vmcnt(0)
	v_div_scale_f32 v3, s[4:5], v20, v20, 1.0
	global_store_dword v[7:8], v2, off
	v_div_scale_f32 v2, vcc, 1.0, v20, 1.0
	v_rcp_f32_e32 v5, v3
	v_fma_f32 v6, -v3, v5, 1.0
	v_fmac_f32_e32 v5, v6, v5
	v_mul_f32_e32 v6, v2, v5
	v_fma_f32 v7, -v3, v6, v2
	v_fmac_f32_e32 v6, v7, v5
	v_fma_f32 v2, -v3, v6, v2
	v_div_fmas_f32 v7, v2, v5, v6
	v_lshlrev_b64 v[2:3], 2, v[0:1]
	v_add_u32_e32 v0, s0, v0
	v_add_co_u32_e32 v5, vcc, s10, v2
	v_addc_co_u32_e32 v6, vcc, v19, v3, vcc
	global_load_dword v36, v[5:6], off
	v_add_co_u32_e32 v28, vcc, s12, v2
	v_lshlrev_b64 v[8:9], 2, v[0:1]
	v_addc_co_u32_e32 v29, vcc, v18, v3, vcc
	v_mul_f32_e32 v2, v4, v26
	v_add_u32_e32 v0, s0, v0
	v_div_fixup_f32 v3, v7, v20, 1.0
	v_mul_f32_e32 v37, v2, v3
	v_add_co_u32_e32 v2, vcc, s10, v8
	v_addc_co_u32_e32 v3, vcc, v19, v9, vcc
	global_load_dword v27, v[2:3], off
	v_lshlrev_b64 v[6:7], 2, v[0:1]
	v_add_u32_e32 v0, s0, v0
	v_add_co_u32_e32 v24, vcc, s10, v6
	v_lshlrev_b64 v[4:5], 2, v[0:1]
	v_addc_co_u32_e32 v25, vcc, v19, v7, vcc
	v_add_u32_e32 v0, s0, v0
	v_add_co_u32_e32 v30, vcc, s10, v4
	v_lshlrev_b64 v[2:3], 2, v[0:1]
	v_addc_co_u32_e32 v31, vcc, v19, v5, vcc
	;; [unrolled: 4-line block ×3, first 2 shown]
	v_add_co_u32_e32 v34, vcc, s10, v0
	v_addc_co_u32_e32 v35, vcc, v19, v1, vcc
	global_load_dword v25, v[24:25], off
	s_nop 0
	global_load_dword v24, v[30:31], off
	global_load_dword v21, v[32:33], off
	;; [unrolled: 1-line block ×3, first 2 shown]
	v_min_f32_e32 v30, 0x7cf0bdc2, v37
	s_waitcnt vmcnt(5)
	v_mul_f32_e32 v30, v36, v30
	global_store_dword v[28:29], v30, off
	v_div_scale_f32 v28, s[0:1], v22, v22, 1.0
	v_rcp_f32_e32 v29, v28
	v_fma_f32 v30, -v28, v29, 1.0
	v_fmac_f32_e32 v29, v30, v29
	v_div_scale_f32 v30, vcc, 1.0, v22, 1.0
	v_mul_f32_e32 v31, v30, v29
	v_fma_f32 v32, -v28, v31, v30
	v_fmac_f32_e32 v31, v32, v29
	v_fma_f32 v28, -v28, v31, v30
	v_div_fmas_f32 v28, v28, v29, v31
	v_add_co_u32_e32 v8, vcc, s12, v8
	v_addc_co_u32_e32 v9, vcc, v18, v9, vcc
	v_div_fixup_f32 v22, v28, v22, 1.0
	v_mul_f32_e32 v22, v26, v22
	v_min_f32_e32 v22, 0x7cf0bdc2, v22
	s_waitcnt vmcnt(5)
	v_mul_f32_e32 v22, v27, v22
	global_store_dword v[8:9], v22, off
	v_mul_f32_e32 v8, v15, v12
	v_div_scale_f32 v9, s[0:1], v8, v8, 1.0
	v_rcp_f32_e32 v12, v9
	v_fma_f32 v15, -v9, v12, 1.0
	v_fmac_f32_e32 v12, v15, v12
	v_div_scale_f32 v15, vcc, 1.0, v8, 1.0
	v_mul_f32_e32 v22, v15, v12
	v_fma_f32 v26, -v9, v22, v15
	v_fmac_f32_e32 v22, v26, v12
	v_fma_f32 v9, -v9, v22, v15
	v_div_fmas_f32 v9, v9, v12, v22
	v_add_co_u32_e32 v6, vcc, s12, v6
	v_addc_co_u32_e32 v7, vcc, v18, v7, vcc
	v_div_fixup_f32 v8, v9, v8, 1.0
	v_mul_f32_e32 v9, v14, v16
	v_mul_f32_e32 v8, v9, v8
	v_min_f32_e32 v8, 0x7cf0bdc2, v8
	s_waitcnt vmcnt(5)
	v_mul_f32_e32 v8, v25, v8
	global_store_dword v[6:7], v8, off
	v_mul_f32_e32 v6, v17, v23
	v_div_scale_f32 v7, s[0:1], v6, v6, 1.0
	v_rcp_f32_e32 v8, v7
	v_fma_f32 v12, -v7, v8, 1.0
	v_fmac_f32_e32 v8, v12, v8
	v_div_scale_f32 v12, vcc, 1.0, v6, 1.0
	v_mul_f32_e32 v14, v12, v8
	v_fma_f32 v15, -v7, v14, v12
	v_fmac_f32_e32 v14, v15, v8
	v_fma_f32 v7, -v7, v14, v12
	v_div_fmas_f32 v7, v7, v8, v14
	v_mul_f32_e32 v8, v10, v13
	v_div_scale_f32 v12, s[0:1], v8, v8, 1.0
	v_div_fixup_f32 v6, v7, v6, 1.0
	v_mul_f32_e32 v6, v9, v6
	v_rcp_f32_e32 v13, v12
	v_min_f32_e32 v6, 0x7cf0bdc2, v6
	s_waitcnt vmcnt(5)
	v_mul_f32_e32 v6, v24, v6
	v_fma_f32 v14, -v12, v13, 1.0
	v_fmac_f32_e32 v13, v14, v13
	v_div_scale_f32 v14, vcc, 1.0, v8, 1.0
	v_mul_f32_e32 v15, v14, v13
	v_fma_f32 v17, -v12, v15, v14
	v_fmac_f32_e32 v15, v17, v13
	v_fma_f32 v12, -v12, v15, v14
	v_div_fmas_f32 v12, v12, v13, v15
	v_mul_f32_e32 v13, v11, v20
	v_div_scale_f32 v14, s[0:1], v13, v13, 1.0
	v_div_scale_f32 v7, vcc, 1.0, v13, 1.0
	v_rcp_f32_e32 v9, v14
	v_fma_f32 v15, -v14, v9, 1.0
	v_fmac_f32_e32 v9, v15, v9
	v_mul_f32_e32 v15, v7, v9
	v_fma_f32 v17, -v14, v15, v7
	v_fmac_f32_e32 v15, v17, v9
	v_fma_f32 v7, -v14, v15, v7
	v_div_fmas_f32 v7, v7, v9, v15
	v_add_co_u32_e32 v4, vcc, s12, v4
	v_addc_co_u32_e32 v5, vcc, v18, v5, vcc
	global_store_dword v[4:5], v6, off
	v_mul_f32_e32 v4, v11, v16
	v_div_fixup_f32 v5, v12, v8, 1.0
	v_mul_f32_e32 v4, v4, v5
	v_min_f32_e32 v4, 0x7cf0bdc2, v4
	v_add_co_u32_e32 v2, vcc, s12, v2
	s_waitcnt vmcnt(5)
	v_mul_f32_e32 v4, v21, v4
	v_addc_co_u32_e32 v3, vcc, v18, v3, vcc
	global_store_dword v[2:3], v4, off
	v_mul_f32_e32 v2, v10, v16
	v_div_fixup_f32 v3, v7, v13, 1.0
	v_mul_f32_e32 v2, v2, v3
	v_min_f32_e32 v2, 0x7cf0bdc2, v2
	v_add_co_u32_e32 v0, vcc, s12, v0
	s_waitcnt vmcnt(5)
	v_mul_f32_e32 v2, v19, v2
	v_addc_co_u32_e32 v1, vcc, v18, v1, vcc
	global_store_dword v[0:1], v2, off
	s_endpgm
	.section	.rodata,"a",@progbits
	.p2align	6, 0x0
	.amdhsa_kernel _Z12ratt8_kernelIfEvPKT_S2_PS0_S2_S0_
		.amdhsa_group_segment_fixed_size 0
		.amdhsa_private_segment_fixed_size 0
		.amdhsa_kernarg_size 296
		.amdhsa_user_sgpr_count 6
		.amdhsa_user_sgpr_private_segment_buffer 1
		.amdhsa_user_sgpr_dispatch_ptr 0
		.amdhsa_user_sgpr_queue_ptr 0
		.amdhsa_user_sgpr_kernarg_segment_ptr 1
		.amdhsa_user_sgpr_dispatch_id 0
		.amdhsa_user_sgpr_flat_scratch_init 0
		.amdhsa_user_sgpr_private_segment_size 0
		.amdhsa_uses_dynamic_stack 0
		.amdhsa_system_sgpr_private_segment_wavefront_offset 0
		.amdhsa_system_sgpr_workgroup_id_x 1
		.amdhsa_system_sgpr_workgroup_id_y 0
		.amdhsa_system_sgpr_workgroup_id_z 0
		.amdhsa_system_sgpr_workgroup_info 0
		.amdhsa_system_vgpr_workitem_id 0
		.amdhsa_next_free_vgpr 39
		.amdhsa_next_free_sgpr 16
		.amdhsa_reserve_vcc 1
		.amdhsa_reserve_flat_scratch 0
		.amdhsa_float_round_mode_32 0
		.amdhsa_float_round_mode_16_64 0
		.amdhsa_float_denorm_mode_32 3
		.amdhsa_float_denorm_mode_16_64 3
		.amdhsa_dx10_clamp 1
		.amdhsa_ieee_mode 1
		.amdhsa_fp16_overflow 0
		.amdhsa_exception_fp_ieee_invalid_op 0
		.amdhsa_exception_fp_denorm_src 0
		.amdhsa_exception_fp_ieee_div_zero 0
		.amdhsa_exception_fp_ieee_overflow 0
		.amdhsa_exception_fp_ieee_underflow 0
		.amdhsa_exception_fp_ieee_inexact 0
		.amdhsa_exception_int_div_zero 0
	.end_amdhsa_kernel
	.section	.text._Z12ratt8_kernelIfEvPKT_S2_PS0_S2_S0_,"axG",@progbits,_Z12ratt8_kernelIfEvPKT_S2_PS0_S2_S0_,comdat
.Lfunc_end9:
	.size	_Z12ratt8_kernelIfEvPKT_S2_PS0_S2_S0_, .Lfunc_end9-_Z12ratt8_kernelIfEvPKT_S2_PS0_S2_S0_
                                        ; -- End function
	.set _Z12ratt8_kernelIfEvPKT_S2_PS0_S2_S0_.num_vgpr, 39
	.set _Z12ratt8_kernelIfEvPKT_S2_PS0_S2_S0_.num_agpr, 0
	.set _Z12ratt8_kernelIfEvPKT_S2_PS0_S2_S0_.numbered_sgpr, 16
	.set _Z12ratt8_kernelIfEvPKT_S2_PS0_S2_S0_.num_named_barrier, 0
	.set _Z12ratt8_kernelIfEvPKT_S2_PS0_S2_S0_.private_seg_size, 0
	.set _Z12ratt8_kernelIfEvPKT_S2_PS0_S2_S0_.uses_vcc, 1
	.set _Z12ratt8_kernelIfEvPKT_S2_PS0_S2_S0_.uses_flat_scratch, 0
	.set _Z12ratt8_kernelIfEvPKT_S2_PS0_S2_S0_.has_dyn_sized_stack, 0
	.set _Z12ratt8_kernelIfEvPKT_S2_PS0_S2_S0_.has_recursion, 0
	.set _Z12ratt8_kernelIfEvPKT_S2_PS0_S2_S0_.has_indirect_call, 0
	.section	.AMDGPU.csdata,"",@progbits
; Kernel info:
; codeLenInByte = 4860
; TotalNumSgprs: 20
; NumVgprs: 39
; ScratchSize: 0
; MemoryBound: 0
; FloatMode: 240
; IeeeMode: 1
; LDSByteSize: 0 bytes/workgroup (compile time only)
; SGPRBlocks: 2
; VGPRBlocks: 9
; NumSGPRsForWavesPerEU: 20
; NumVGPRsForWavesPerEU: 39
; Occupancy: 6
; WaveLimiterHint : 0
; COMPUTE_PGM_RSRC2:SCRATCH_EN: 0
; COMPUTE_PGM_RSRC2:USER_SGPR: 6
; COMPUTE_PGM_RSRC2:TRAP_HANDLER: 0
; COMPUTE_PGM_RSRC2:TGID_X_EN: 1
; COMPUTE_PGM_RSRC2:TGID_Y_EN: 0
; COMPUTE_PGM_RSRC2:TGID_Z_EN: 0
; COMPUTE_PGM_RSRC2:TIDIG_COMP_CNT: 0
	.section	.text._Z12ratt9_kernelIfEvPKT_S2_PS0_S2_S0_,"axG",@progbits,_Z12ratt9_kernelIfEvPKT_S2_PS0_S2_S0_,comdat
	.protected	_Z12ratt9_kernelIfEvPKT_S2_PS0_S2_S0_ ; -- Begin function _Z12ratt9_kernelIfEvPKT_S2_PS0_S2_S0_
	.globl	_Z12ratt9_kernelIfEvPKT_S2_PS0_S2_S0_
	.p2align	8
	.type	_Z12ratt9_kernelIfEvPKT_S2_PS0_S2_S0_,@function
_Z12ratt9_kernelIfEvPKT_S2_PS0_S2_S0_:  ; @_Z12ratt9_kernelIfEvPKT_S2_PS0_S2_S0_
; %bb.0:
	s_load_dword s0, s[4:5], 0x34
	s_load_dword s1, s[4:5], 0x28
	s_load_dwordx8 s[8:15], s[4:5], 0x0
	v_mov_b32_e32 v1, 0
	v_mov_b32_e32 v9, v1
	s_waitcnt lgkmcnt(0)
	s_and_b32 s2, s0, 0xffff
	s_mul_i32 s6, s6, s2
	v_add_u32_e32 v0, s6, v0
	v_lshlrev_b64 v[2:3], 2, v[0:1]
	v_mov_b32_e32 v5, s9
	v_add_co_u32_e32 v4, vcc, s8, v2
	v_addc_co_u32_e32 v5, vcc, v5, v3, vcc
	global_load_dword v19, v[4:5], off
	s_load_dword s0, s[4:5], 0x20
	s_mul_i32 s6, s1, s2
	v_mad_u64_u32 v[6:7], s[2:3], s6, 6, v[0:1]
	v_mov_b32_e32 v24, s15
	s_mul_i32 s5, s6, 0x9a
	v_lshl_add_u32 v8, s6, 4, v6
	v_mad_u64_u32 v[4:5], s[2:3], s6, -15, v[8:9]
	v_mov_b32_e32 v5, v1
	s_mul_i32 s4, s6, 0xffffff55
	v_mad_u64_u32 v[10:11], s[2:3], s6, 14, v[4:5]
	v_lshlrev_b64 v[12:13], 2, v[4:5]
	v_mov_b32_e32 v11, v1
	v_add_co_u32_e32 v4, vcc, s14, v12
	v_lshlrev_b64 v[11:12], 2, v[10:11]
	v_addc_co_u32_e32 v5, vcc, v24, v13, vcc
	v_add_co_u32_e32 v11, vcc, s14, v11
	v_addc_co_u32_e32 v12, vcc, v24, v12, vcc
	global_load_dword v25, v[4:5], off
	global_load_dword v23, v[11:12], off
	v_add_u32_e32 v21, s5, v10
	v_mov_b32_e32 v11, v1
	v_add_u32_e32 v10, s4, v21
	v_lshlrev_b64 v[11:12], 2, v[10:11]
	s_mul_i32 s1, s6, 0xa0
	v_mad_u64_u32 v[14:15], s[2:3], s6, 7, v[10:11]
	v_mov_b32_e32 v15, v1
	v_add_co_u32_e32 v10, vcc, s14, v11
	v_mad_u64_u32 v[16:17], s[2:3], s6, 5, v[14:15]
	v_addc_co_u32_e32 v11, vcc, v24, v12, vcc
	v_lshlrev_b64 v[12:13], 2, v[14:15]
	v_mov_b32_e32 v17, v1
	v_add_co_u32_e32 v12, vcc, s14, v12
	v_lshlrev_b64 v[14:15], 2, v[16:17]
	v_addc_co_u32_e32 v13, vcc, v24, v13, vcc
	v_add_co_u32_e32 v14, vcc, s14, v14
	global_load_dword v28, v[10:11], off
	global_load_dword v27, v[12:13], off
	v_addc_co_u32_e32 v15, vcc, v24, v15, vcc
	global_load_dword v29, v[14:15], off
	v_mov_b32_e32 v7, v1
	s_mul_i32 s2, s6, 0xffffff67
	v_lshlrev_b64 v[6:7], 2, v[6:7]
	v_add_u32_e32 v18, s1, v16
	v_add_u32_e32 v16, s2, v18
	v_add_co_u32_e32 v6, vcc, s14, v6
	v_lshlrev_b64 v[31:32], 2, v[16:17]
	v_addc_co_u32_e32 v7, vcc, v24, v7, vcc
	v_add_co_u32_e32 v31, vcc, s14, v31
	v_addc_co_u32_e32 v32, vcc, v24, v32, vcc
	global_load_dword v31, v[31:32], off
	v_lshlrev_b64 v[8:9], 2, v[8:9]
	global_load_dword v30, v[6:7], off
	v_mov_b32_e32 v22, v1
	v_mov_b32_e32 v26, s11
	;; [unrolled: 1-line block ×3, first 2 shown]
	v_add_u32_e32 v0, s6, v0
	s_waitcnt vmcnt(7) lgkmcnt(0)
	v_mul_f32_e32 v17, s0, v19
	v_mul_f32_e32 v32, 0x4c9e9632, v17
	v_div_scale_f32 v34, s[0:1], v32, v32, 1.0
	v_add_co_u32_e32 v19, vcc, s14, v8
	v_addc_co_u32_e32 v20, vcc, v24, v9, vcc
	v_div_scale_f32 v35, vcc, 1.0, v32, 1.0
	v_lshlrev_b64 v[8:9], 2, v[21:22]
	v_add_co_u32_e64 v21, s[0:1], s10, v8
	v_addc_co_u32_e64 v22, s[0:1], v26, v9, s[0:1]
	global_load_dword v22, v[21:22], off
	s_nop 0
	global_load_dword v21, v[19:20], off
	global_load_dword v33, v[4:5], off
	;; [unrolled: 1-line block ×3, first 2 shown]
	v_mov_b32_e32 v19, v1
	v_rcp_f32_e32 v36, v34
	v_fma_f32 v4, -v34, v36, 1.0
	v_fmac_f32_e32 v36, v4, v36
	v_mul_f32_e32 v37, v35, v36
	v_fma_f32 v4, -v34, v37, v35
	v_fmac_f32_e32 v37, v4, v36
	v_lshlrev_b64 v[4:5], 2, v[18:19]
	v_fma_f32 v34, -v34, v37, v35
	v_add_co_u32_e64 v18, s[2:3], s10, v4
	v_addc_co_u32_e64 v19, s[2:3], v26, v5, s[2:3]
	global_load_dword v35, v[18:19], off
	s_nop 0
	global_load_dword v19, v[12:13], off
	global_load_dword v18, v[14:15], off
	s_nop 0
	global_load_dword v12, v[12:13], off
	s_nop 0
	global_load_dword v15, v[10:11], off
	v_add_u32_e32 v10, s5, v16
	s_mul_i32 s2, s6, 0xffffff5e
	v_div_fmas_f32 v36, v34, v36, v37
	v_add_u32_e32 v34, s2, v10
	s_lshl_b32 s2, s6, 1
	s_waitcnt vmcnt(14)
	v_mul_f32_e32 v20, v25, v23
	v_subrev_u32_e32 v37, s2, v34
	v_div_scale_f32 v39, s[0:1], v20, v20, 1.0
	v_lshlrev_b64 v[13:14], 2, v[37:38]
	v_div_scale_f32 v40, s[0:1], 1.0, v20, 1.0
	v_add_co_u32_e32 v13, vcc, s14, v13
	v_addc_co_u32_e32 v14, vcc, v24, v14, vcc
	global_load_dword v38, v[13:14], off
	s_waitcnt vmcnt(13)
	v_mul_f32_e32 v11, v28, v27
	v_div_fixup_f32 v13, v36, v32, 1.0
	s_waitcnt vmcnt(12)
	v_mul_f32_e32 v11, v11, v29
	v_mul_f32_e32 v16, 0x49776020, v13
	;; [unrolled: 1-line block ×3, first 2 shown]
	v_div_scale_f32 v32, s[2:3], v11, v11, 1.0
	v_rcp_f32_e32 v13, v39
	s_mov_b64 vcc, s[0:1]
	v_mul_f32_e32 v23, v23, v27
	v_fma_f32 v14, -v39, v13, 1.0
	v_fmac_f32_e32 v13, v14, v13
	v_mul_f32_e32 v14, v40, v13
	v_fma_f32 v36, -v39, v14, v40
	v_fmac_f32_e32 v14, v36, v13
	v_div_scale_f32 v36, s[2:3], 1.0, v11, 1.0
	v_fma_f32 v39, -v39, v14, v40
	v_div_fmas_f32 v39, v39, v13, v14
	global_load_dword v14, v[6:7], off
	v_rcp_f32_e32 v40, v32
	s_waitcnt vmcnt(11)
	v_mul_f32_e32 v48, v30, v31
	v_add_co_u32_e32 v6, vcc, s12, v8
	v_fma_f32 v8, -v32, v40, 1.0
	v_div_scale_f32 v41, s[0:1], v48, v48, 1.0
	v_fmac_f32_e32 v40, v8, v40
	v_mov_b32_e32 v13, s13
	v_addc_co_u32_e32 v7, vcc, v13, v9, vcc
	v_mul_f32_e32 v8, v36, v40
	v_fma_f32 v9, -v32, v8, v36
	v_fmac_f32_e32 v8, v9, v40
	v_fma_f32 v9, -v32, v8, v36
	s_mov_b64 vcc, s[2:3]
	v_div_fmas_f32 v8, v9, v40, v8
	v_add_co_u32_e64 v4, s[0:1], s12, v4
	v_addc_co_u32_e64 v5, s[0:1], v13, v5, s[0:1]
	v_add_co_u32_e64 v2, s[0:1], s14, v2
	v_addc_co_u32_e64 v3, s[0:1], v24, v3, s[0:1]
	v_div_fixup_f32 v9, v39, v20, 1.0
	s_waitcnt vmcnt(9)
	v_mul_f32_e32 v20, v30, v21
	global_load_dword v39, v[2:3], off
	v_mul_f32_e32 v9, v20, v9
	v_min_f32_e32 v9, 0x7cf0bdc2, v9
	v_mul_f32_e32 v9, v22, v9
	v_rcp_f32_e32 v22, v41
	global_store_dword v[6:7], v9, off
	v_div_scale_f32 v32, vcc, 1.0, v48, 1.0
	v_fma_f32 v6, -v41, v22, 1.0
	v_fmac_f32_e32 v22, v6, v22
	v_div_fixup_f32 v6, v8, v11, 1.0
	v_mul_f32_e32 v6, v20, v6
	v_min_f32_e32 v6, 0x7cf0bdc2, v6
	s_waitcnt vmcnt(8)
	v_mul_f32_e32 v6, v35, v6
	v_mov_b32_e32 v11, v1
	global_store_dword v[4:5], v6, off
	v_lshlrev_b64 v[4:5], 2, v[10:11]
	v_mov_b32_e32 v35, v1
	v_add_co_u32_e64 v6, s[0:1], s10, v4
	v_addc_co_u32_e64 v7, s[0:1], v26, v5, s[0:1]
	global_load_dword v49, v[6:7], off
	v_lshlrev_b64 v[6:7], 2, v[34:35]
	v_mul_f32_e32 v20, v32, v22
	v_add_co_u32_e64 v6, s[0:1], s14, v6
	v_addc_co_u32_e64 v7, s[0:1], v24, v7, s[0:1]
	global_load_dword v40, v[6:7], off
	global_load_dword v36, v[6:7], off
	v_mov_b32_e32 v7, v1
	s_waitcnt vmcnt(7)
	v_mul_f32_e32 v50, v31, v38
	v_div_scale_f32 v51, s[0:1], v50, v50, 1.0
	s_mul_i32 s0, s6, 0xa5
	v_add_u32_e32 v6, s0, v37
	v_lshlrev_b64 v[6:7], 2, v[6:7]
	v_add_co_u32_e64 v8, s[0:1], s10, v6
	v_addc_co_u32_e64 v9, s[0:1], v26, v7, s[0:1]
	global_load_dword v52, v[8:9], off
	s_mul_i32 s0, s6, 0xb2
	v_lshlrev_b64 v[8:9], 2, v[0:1]
	v_add_u32_e32 v0, s0, v0
	s_mul_i32 s1, s6, 0xffffff4f
	v_lshlrev_b64 v[10:11], 2, v[0:1]
	v_add_u32_e32 v0, s1, v0
	v_lshlrev_b64 v[42:43], 2, v[0:1]
	v_add_u32_e32 v0, s0, v0
	s_mul_i32 s0, s6, 0xffffff51
	v_lshlrev_b64 v[44:45], 2, v[0:1]
	v_add_u32_e32 v0, s0, v0
	v_lshlrev_b64 v[34:35], 2, v[0:1]
	v_add_co_u32_e64 v8, s[2:3], s14, v8
	v_add_co_u32_e64 v46, s[0:1], s14, v34
	v_addc_co_u32_e64 v9, s[2:3], v24, v9, s[2:3]
	v_addc_co_u32_e64 v47, s[0:1], v24, v35, s[0:1]
	global_load_dword v37, v[8:9], off
	global_load_dword v53, v[46:47], off
	v_add_co_u32_e64 v34, s[2:3], s10, v10
	v_addc_co_u32_e64 v35, s[2:3], v26, v11, s[2:3]
	global_load_dword v34, v[34:35], off
	v_div_scale_f32 v54, s[0:1], 1.0, v50, 1.0
	v_fma_f32 v35, -v41, v20, v32
	v_fmac_f32_e32 v20, v35, v22
	v_rcp_f32_e32 v35, v51
	v_fma_f32 v32, -v41, v20, v32
	v_div_fmas_f32 v20, v32, v22, v20
	s_mov_b64 vcc, s[0:1]
	v_fma_f32 v22, -v51, v35, 1.0
	v_fmac_f32_e32 v35, v22, v35
	s_mul_i32 s2, s6, 0xffffff5a
	s_mul_i32 s3, s6, 0xa7
	v_mul_f32_e32 v22, v54, v35
	v_fma_f32 v32, -v51, v22, v54
	v_fmac_f32_e32 v22, v32, v35
	v_fma_f32 v32, -v51, v22, v54
	v_div_fmas_f32 v22, v32, v35, v22
	global_load_dword v41, v[2:3], off
	global_load_dword v35, v[2:3], off
	;; [unrolled: 1-line block ×3, first 2 shown]
	s_waitcnt vmcnt(12)
	v_mul_f32_e32 v8, v21, v39
	v_div_scale_f32 v9, s[0:1], v8, v8, 1.0
	v_add_co_u32_e32 v2, vcc, s12, v4
	v_addc_co_u32_e32 v3, vcc, v13, v5, vcc
	v_div_fixup_f32 v4, v20, v48, 1.0
	v_div_scale_f32 v20, vcc, 1.0, v8, 1.0
	v_mul_f32_e32 v5, v21, v25
	v_mul_f32_e32 v4, v5, v4
	v_min_f32_e32 v4, 0x7cf0bdc2, v4
	s_waitcnt vmcnt(9)
	v_mul_f32_e32 v4, v49, v4
	global_store_dword v[2:3], v4, off
	v_add_co_u32_e64 v2, s[0:1], s12, v6
	v_rcp_f32_e32 v5, v9
	v_div_fixup_f32 v4, v22, v50, 1.0
	s_waitcnt vmcnt(9)
	v_mul_f32_e32 v6, v21, v40
	v_mul_f32_e32 v4, v6, v4
	v_min_f32_e32 v22, 0x7cf0bdc2, v4
	v_fma_f32 v4, -v9, v5, 1.0
	v_fmac_f32_e32 v5, v4, v5
	v_mul_f32_e32 v4, v20, v5
	v_fma_f32 v6, -v9, v4, v20
	v_fmac_f32_e32 v4, v6, v5
	v_fma_f32 v6, -v9, v4, v20
	v_div_fmas_f32 v9, v6, v5, v4
	v_add_co_u32_e32 v4, vcc, s14, v42
	v_addc_co_u32_e32 v5, vcc, v24, v43, vcc
	global_load_dword v39, v[4:5], off
	v_add_co_u32_e32 v6, vcc, s10, v44
	v_addc_co_u32_e64 v3, s[0:1], v13, v7, s[0:1]
	v_addc_co_u32_e32 v7, vcc, v26, v45, vcc
	global_load_dword v48, v[6:7], off
	v_mul_f32_e32 v25, v21, v28
	v_div_scale_f32 v6, s[0:1], v25, v25, 1.0
	s_waitcnt vmcnt(9)
	v_mul_f32_e32 v7, v52, v22
	global_store_dword v[2:3], v7, off
	v_div_scale_f32 v7, vcc, 1.0, v25, 1.0
	v_div_fixup_f32 v8, v9, v8, 1.0
	global_load_dword v20, v[46:47], off
	s_waitcnt vmcnt(10)
	v_mul_f32_e32 v9, v31, v37
	s_waitcnt vmcnt(9)
	v_mul_f32_e32 v22, v21, v53
	v_mul_f32_e32 v8, v9, v8
	v_div_scale_f32 v46, s[0:1], v22, v22, 1.0
	v_add_co_u32_e64 v2, s[0:1], s12, v10
	v_rcp_f32_e32 v9, v6
	v_min_f32_e32 v8, 0x7cf0bdc2, v8
	v_addc_co_u32_e64 v3, s[0:1], v13, v11, s[0:1]
	s_waitcnt vmcnt(8)
	v_mul_f32_e32 v8, v34, v8
	global_store_dword v[2:3], v8, off
	v_fma_f32 v2, -v6, v9, 1.0
	v_fmac_f32_e32 v9, v2, v9
	v_mul_f32_e32 v2, v7, v9
	v_fma_f32 v3, -v6, v2, v7
	v_fmac_f32_e32 v2, v3, v9
	s_mul_i32 s0, s6, 0xb0
	v_fma_f32 v3, -v6, v2, v7
	v_add_u32_e32 v0, s0, v0
	v_div_fmas_f32 v47, v3, v9, v2
	v_lshlrev_b64 v[2:3], 2, v[0:1]
	v_add_u32_e32 v0, s4, v0
	s_mul_i32 s0, s6, 0xac
	v_lshlrev_b64 v[6:7], 2, v[0:1]
	v_add_u32_e32 v0, s0, v0
	s_mul_i32 s0, s6, 0xffffff56
	v_lshlrev_b64 v[8:9], 2, v[0:1]
	v_add_u32_e32 v0, s0, v0
	v_lshlrev_b64 v[10:11], 2, v[0:1]
	v_div_scale_f32 v50, vcc, 1.0, v22, 1.0
	v_add_co_u32_e64 v10, s[0:1], s14, v10
	v_addc_co_u32_e64 v11, s[0:1], v24, v11, s[0:1]
	global_load_dword v56, v[10:11], off
	v_add_co_u32_e64 v42, s[0:1], s10, v2
	v_addc_co_u32_e64 v43, s[0:1], v26, v3, s[0:1]
	global_load_dword v42, v[42:43], off
	v_rcp_f32_e32 v34, v46
	v_div_fixup_f32 v25, v47, v25, 1.0
	v_fma_f32 v49, -v46, v34, 1.0
	v_fmac_f32_e32 v34, v49, v34
	v_mul_f32_e32 v43, v50, v34
	v_fma_f32 v49, -v46, v43, v50
	v_fmac_f32_e32 v43, v49, v34
	v_fma_f32 v46, -v46, v43, v50
	v_div_fmas_f32 v46, v46, v34, v43
	v_add_co_u32_e32 v6, vcc, s14, v6
	v_addc_co_u32_e32 v7, vcc, v24, v7, vcc
	global_load_dword v55, v[6:7], off
	global_load_dword v43, v[4:5], off
	;; [unrolled: 1-line block ×3, first 2 shown]
	v_add_co_u32_e32 v6, vcc, s12, v44
	s_waitcnt vmcnt(9)
	v_mul_f32_e32 v4, v31, v39
	v_mul_f32_e32 v4, v25, v4
	v_min_f32_e32 v4, 0x7cf0bdc2, v4
	v_addc_co_u32_e32 v7, vcc, v13, v45, vcc
	v_mul_f32_e32 v49, v21, v27
	v_div_scale_f32 v54, s[0:1], v49, v49, 1.0
	s_waitcnt vmcnt(8)
	v_mul_f32_e32 v4, v48, v4
	global_store_dword v[6:7], v4, off
	v_add_co_u32_e32 v4, vcc, s12, v2
	v_addc_co_u32_e32 v5, vcc, v13, v3, vcc
	v_div_fixup_f32 v2, v46, v22, 1.0
	v_mul_f32_e32 v3, v28, v31
	v_mul_f32_e32 v39, v3, v2
	v_add_co_u32_e64 v2, s[0:1], s10, v8
	v_addc_co_u32_e64 v3, s[0:1], v26, v9, s[0:1]
	s_mul_i32 s0, s6, 0xab
	global_load_dword v57, v[2:3], off
	v_add_u32_e32 v0, s0, v0
	s_mul_i32 s0, s6, 0xffffff65
	v_lshlrev_b64 v[50:51], 2, v[0:1]
	v_add_u32_e32 v0, s0, v0
	v_lshlrev_b64 v[45:46], 2, v[0:1]
	v_add_u32_e32 v0, s6, v0
	v_lshlrev_b64 v[2:3], 2, v[0:1]
	v_div_scale_f32 v47, vcc, 1.0, v49, 1.0
	v_add_co_u32_e64 v52, s[0:1], s14, v2
	v_addc_co_u32_e64 v53, s[0:1], v24, v3, s[0:1]
	s_mul_i32 s0, s6, 0x9b
	v_add_u32_e32 v0, s0, v0
	s_mul_i32 s0, s6, 0xffffff5b
	v_lshlrev_b64 v[2:3], 2, v[0:1]
	v_add_u32_e32 v0, s0, v0
	v_lshlrev_b64 v[6:7], 2, v[0:1]
	global_load_dword v44, v[52:53], off
	v_add_co_u32_e64 v6, s[0:1], s14, v6
	v_addc_co_u32_e64 v7, s[0:1], v24, v7, s[0:1]
	global_load_dword v58, v[6:7], off
	v_rcp_f32_e32 v25, v54
	v_fma_f32 v22, -v54, v25, 1.0
	v_fmac_f32_e32 v25, v22, v25
	global_load_dword v22, v[10:11], off
	v_mul_f32_e32 v6, v47, v25
	v_fma_f32 v7, -v54, v6, v47
	v_fmac_f32_e32 v6, v7, v25
	v_fma_f32 v7, -v54, v6, v47
	s_waitcnt vmcnt(9)
	v_mul_f32_e32 v21, v21, v56
	v_div_fmas_f32 v25, v7, v25, v6
	v_div_scale_f32 v47, s[0:1], v21, v21, 1.0
	v_min_f32_e32 v6, 0x7cf0bdc2, v39
	s_waitcnt vmcnt(8)
	v_mul_f32_e32 v10, v42, v6
	v_add_co_u32_e64 v6, s[0:1], s10, v50
	v_addc_co_u32_e64 v7, s[0:1], v26, v51, s[0:1]
	global_load_dword v59, v[6:7], off
	v_div_scale_f32 v39, vcc, 1.0, v21, 1.0
	global_store_dword v[4:5], v10, off
	v_add_co_u32_e64 v4, s[0:1], s12, v8
	v_addc_co_u32_e64 v5, s[0:1], v13, v9, s[0:1]
	v_div_fixup_f32 v6, v25, v49, 1.0
	v_rcp_f32_e32 v25, v47
	s_waitcnt vmcnt(9)
	v_mul_f32_e32 v7, v31, v55
	v_mul_f32_e32 v6, v6, v7
	s_mul_i32 s0, s6, 0xa6
	v_min_f32_e32 v42, 0x7cf0bdc2, v6
	v_fma_f32 v6, -v47, v25, 1.0
	v_add_u32_e32 v0, s0, v0
	s_mul_i32 s0, s6, 0xffffff4a
	v_fmac_f32_e32 v25, v6, v25
	v_lshlrev_b64 v[6:7], 2, v[0:1]
	v_add_u32_e32 v0, s0, v0
	v_lshlrev_b64 v[8:9], 2, v[0:1]
	v_mul_f32_e32 v48, v39, v25
	v_add_co_u32_e64 v10, s[0:1], s14, v8
	v_addc_co_u32_e64 v11, s[0:1], v24, v9, s[0:1]
	global_load_dword v49, v[10:11], off
	v_add_co_u32_e64 v8, s[0:1], s14, v45
	v_fma_f32 v54, -v47, v48, v39
	v_addc_co_u32_e64 v9, s[0:1], v24, v46, s[0:1]
	v_fmac_f32_e32 v48, v54, v25
	global_load_dword v45, v[8:9], off
	v_fma_f32 v39, -v47, v48, v39
	v_div_fmas_f32 v25, v39, v25, v48
	v_add_co_u32_e32 v46, vcc, s10, v2
	v_addc_co_u32_e32 v47, vcc, v26, v3, vcc
	global_load_dword v48, v[46:47], off
	s_waitcnt vmcnt(8)
	v_mul_f32_e32 v39, v57, v42
	global_store_dword v[4:5], v39, off
	v_add_co_u32_e32 v4, vcc, s10, v6
	v_addc_co_u32_e32 v5, vcc, v26, v7, vcc
	global_load_dword v47, v[4:5], off
	v_add_co_u32_e32 v54, vcc, s12, v50
	v_addc_co_u32_e32 v55, vcc, v13, v51, vcc
	v_div_fixup_f32 v51, v25, v21, 1.0
	global_load_dword v42, v[8:9], off
	global_load_dword v39, v[52:53], off
	;; [unrolled: 1-line block ×4, first 2 shown]
	s_waitcnt vmcnt(13)
	v_div_scale_f32 v52, s[0:1], v44, v44, 1.0
	v_div_scale_f32 v53, vcc, 1.0, v44, 1.0
	s_waitcnt vmcnt(12)
	v_mul_f32_e32 v50, v56, v58
	v_div_scale_f32 v56, s[0:1], v50, v50, 1.0
	s_mul_i32 s0, s6, 0xb7
	v_add_u32_e32 v0, s0, v0
	v_lshlrev_b64 v[4:5], 2, v[0:1]
	v_add_u32_e32 v0, s2, v0
	v_lshlrev_b64 v[8:9], 2, v[0:1]
	v_mul_f32_e32 v31, v27, v31
	v_add_co_u32_e64 v8, s[0:1], s14, v8
	v_addc_co_u32_e64 v9, s[0:1], v24, v9, s[0:1]
	global_load_dword v46, v[8:9], off
	v_mul_f32_e32 v31, v31, v51
	v_rcp_f32_e32 v51, v52
	v_min_f32_e32 v31, 0x7cf0bdc2, v31
	v_div_scale_f32 v57, s[0:1], 1.0, v50, 1.0
	global_load_dword v10, v[10:11], off
	v_add_u32_e32 v0, s3, v0
	v_mul_f32_e32 v38, v38, v44
	s_waitcnt vmcnt(12)
	v_mul_f32_e32 v31, v59, v31
	global_store_dword v[54:55], v31, off
	v_fma_f32 v31, -v52, v51, 1.0
	v_fmac_f32_e32 v51, v31, v51
	v_mul_f32_e32 v31, v53, v51
	v_fma_f32 v54, -v52, v31, v53
	v_fmac_f32_e32 v31, v54, v51
	v_rcp_f32_e32 v54, v56
	v_fma_f32 v52, -v52, v31, v53
	v_div_fmas_f32 v53, v52, v51, v31
	v_add_co_u32_e32 v51, vcc, s10, v4
	v_fma_f32 v31, -v56, v54, 1.0
	v_addc_co_u32_e32 v52, vcc, v26, v5, vcc
	v_fmac_f32_e32 v54, v31, v54
	global_load_dword v31, v[51:52], off
	v_mul_f32_e32 v55, v57, v54
	v_fma_f32 v58, -v56, v55, v57
	v_fmac_f32_e32 v55, v58, v54
	v_fma_f32 v51, -v56, v55, v57
	s_mov_b64 vcc, s[0:1]
	v_div_fmas_f32 v51, v51, v54, v55
	v_add_co_u32_e32 v2, vcc, s12, v2
	v_addc_co_u32_e32 v3, vcc, v13, v3, vcc
	s_waitcnt vmcnt(12)
	v_mul_f32_e32 v11, v44, v49
	v_div_scale_f32 v49, s[0:1], v11, v11, 1.0
	v_div_scale_f32 v55, vcc, 1.0, v11, 1.0
	v_div_fixup_f32 v52, v53, v44, 1.0
	s_waitcnt vmcnt(11)
	v_mul_f32_e32 v53, v37, v45
	v_mul_f32_e32 v54, v16, v53
	;; [unrolled: 1-line block ×3, first 2 shown]
	v_min_f32_e32 v52, 0x7cf0bdc2, v52
	s_waitcnt vmcnt(10)
	v_mul_f32_e32 v48, v48, v52
	global_store_dword v[2:3], v48, off
	v_add_co_u32_e64 v2, s[0:1], s12, v6
	v_addc_co_u32_e64 v3, s[0:1], v13, v7, s[0:1]
	v_rcp_f32_e32 v7, v49
	v_div_fixup_f32 v6, v51, v50, 1.0
	v_mul_f32_e32 v6, v53, v6
	v_min_f32_e32 v6, 0x7cf0bdc2, v6
	s_waitcnt vmcnt(9)
	v_mul_f32_e32 v51, v47, v6
	v_fma_f32 v6, -v49, v7, 1.0
	v_fmac_f32_e32 v7, v6, v7
	v_mul_f32_e32 v6, v55, v7
	v_fma_f32 v47, -v49, v6, v55
	v_fmac_f32_e32 v6, v47, v7
	v_fma_f32 v47, -v49, v6, v55
	v_div_fmas_f32 v52, v47, v7, v6
	v_lshlrev_b64 v[6:7], 2, v[0:1]
	v_add_u32_e32 v0, s6, v0
	s_mul_i32 s0, s6, 0xffffff62
	v_mul_f32_e32 v49, v28, v29
	v_lshlrev_b64 v[28:29], 2, v[0:1]
	v_add_u32_e32 v0, s0, v0
	v_lshlrev_b64 v[47:48], 2, v[0:1]
	s_waitcnt vmcnt(8)
	v_mul_f32_e32 v33, v33, v42
	v_add_co_u32_e32 v47, vcc, s14, v47
	v_addc_co_u32_e32 v48, vcc, v24, v48, vcc
	global_load_dword v53, v[47:48], off
	s_nop 0
	global_load_dword v8, v[8:9], off
	s_waitcnt vmcnt(6)
	v_mul_f32_e32 v9, v49, v46
	v_mul_f32_e32 v9, v16, v9
	v_div_scale_f32 v46, s[0:1], v9, v9, 1.0
	v_add_co_u32_e32 v49, vcc, s10, v6
	v_addc_co_u32_e32 v50, vcc, v26, v7, vcc
	global_store_dword v[2:3], v51, off
	v_add_co_u32_e64 v2, s[0:1], s10, v28
	global_load_dword v54, v[49:50], off
	v_addc_co_u32_e64 v3, s[0:1], v26, v29, s[0:1]
	global_load_dword v51, v[2:3], off
	v_div_scale_f32 v49, vcc, 1.0, v9, 1.0
	v_add_co_u32_e64 v2, s[0:1], s12, v4
	v_addc_co_u32_e64 v3, s[0:1], v13, v5, s[0:1]
	v_div_fixup_f32 v4, v52, v11, 1.0
	v_mul_f32_e32 v11, v30, v45
	v_rcp_f32_e32 v5, v46
	v_mul_f32_e32 v4, v11, v4
	v_min_f32_e32 v4, 0x7cf0bdc2, v4
	s_waitcnt vmcnt(6)
	v_mul_f32_e32 v4, v31, v4
	global_store_dword v[2:3], v4, off
	v_fma_f32 v2, -v46, v5, 1.0
	v_fmac_f32_e32 v5, v2, v5
	v_mul_f32_e32 v21, v12, v21
	v_mul_f32_e32 v2, v49, v5
	v_fma_f32 v3, -v46, v2, v49
	v_fmac_f32_e32 v2, v3, v5
	v_fma_f32 v3, -v46, v2, v49
	v_div_scale_f32 v46, s[0:1], v38, v38, 1.0
	v_div_fmas_f32 v30, v3, v5, v2
	v_div_scale_f32 v52, vcc, 1.0, v38, 1.0
	v_add_co_u32_e64 v2, s[0:1], s12, v6
	v_addc_co_u32_e64 v3, s[0:1], v13, v7, s[0:1]
	s_mul_i32 s0, s6, 0x9f
	v_add_u32_e32 v0, s0, v0
	v_lshlrev_b64 v[4:5], 2, v[0:1]
	v_add_u32_e32 v0, s6, v0
	v_add_co_u32_e64 v6, s[0:1], s10, v4
	v_addc_co_u32_e64 v7, s[0:1], v26, v5, s[0:1]
	global_load_dword v55, v[6:7], off
	v_rcp_f32_e32 v56, v46
	v_div_fixup_f32 v6, v30, v9, 1.0
	v_mul_f32_e32 v6, v11, v6
	v_min_f32_e32 v11, 0x7cf0bdc2, v6
	v_fma_f32 v6, -v46, v56, 1.0
	v_fmac_f32_e32 v56, v6, v56
	v_mul_f32_e32 v9, v52, v56
	v_fma_f32 v6, -v46, v9, v52
	v_fmac_f32_e32 v9, v6, v56
	v_lshlrev_b64 v[6:7], 2, v[0:1]
	v_add_u32_e32 v0, s6, v0
	v_lshlrev_b64 v[30:31], 2, v[0:1]
	v_add_u32_e32 v0, s2, v0
	v_lshlrev_b64 v[49:50], 2, v[0:1]
	v_fma_f32 v46, -v46, v9, v52
	v_add_co_u32_e64 v49, s[0:1], s14, v49
	v_addc_co_u32_e64 v50, s[0:1], v24, v50, s[0:1]
	global_load_dword v24, v[49:50], off
	v_div_fmas_f32 v49, v46, v56, v9
	global_load_dword v9, v[47:48], off
	v_add_u32_e32 v0, s3, v0
	s_waitcnt vmcnt(8)
	v_div_scale_f32 v48, s[0:1], v53, v53, 1.0
	v_add_co_u32_e64 v46, s[0:1], s10, v6
	v_addc_co_u32_e64 v47, s[0:1], v26, v7, s[0:1]
	global_load_dword v46, v[46:47], off
	v_div_scale_f32 v50, vcc, 1.0, v53, 1.0
	s_waitcnt vmcnt(6)
	v_mul_f32_e32 v11, v54, v11
	global_store_dword v[2:3], v11, off
	v_add_co_u32_e64 v2, s[0:1], s12, v28
	v_mul_f32_e32 v11, v40, v45
	v_div_fixup_f32 v28, v49, v38, 1.0
	v_mul_f32_e32 v11, v11, v28
	v_rcp_f32_e32 v28, v48
	v_min_f32_e32 v11, 0x7cf0bdc2, v11
	v_addc_co_u32_e64 v3, s[0:1], v13, v29, s[0:1]
	s_waitcnt vmcnt(6)
	v_mul_f32_e32 v11, v11, v51
	global_store_dword v[2:3], v11, off
	v_fma_f32 v2, -v48, v28, 1.0
	v_fmac_f32_e32 v28, v2, v28
	v_mul_f32_e32 v2, v50, v28
	v_fma_f32 v3, -v48, v2, v50
	v_fmac_f32_e32 v2, v3, v28
	v_fma_f32 v3, -v48, v2, v50
	v_div_fmas_f32 v11, v3, v28, v2
	v_div_scale_f32 v27, s[0:1], v23, v23, 1.0
	v_add_co_u32_e32 v2, vcc, s12, v4
	v_addc_co_u32_e32 v3, vcc, v13, v5, vcc
	v_div_scale_f32 v28, vcc, 1.0, v23, 1.0
	v_mul_f32_e32 v29, v41, v42
	v_div_scale_f32 v38, s[0:1], v29, v29, 1.0
	v_add_co_u32_e64 v4, s[0:1], s10, v30
	v_addc_co_u32_e64 v5, s[0:1], v26, v31, s[0:1]
	global_load_dword v40, v[4:5], off
	v_mul_f32_e32 v5, v37, v44
	v_div_fixup_f32 v4, v11, v53, 1.0
	v_mul_f32_e32 v11, v16, v5
	v_mul_f32_e32 v4, v11, v4
	v_div_scale_f32 v11, s[0:1], 1.0, v29, 1.0
	v_rcp_f32_e32 v41, v27
	v_min_f32_e32 v4, 0x7cf0bdc2, v4
	s_waitcnt vmcnt(6)
	v_mul_f32_e32 v4, v55, v4
	global_store_dword v[2:3], v4, off
	v_fma_f32 v2, -v27, v41, 1.0
	v_fmac_f32_e32 v41, v2, v41
	v_mul_f32_e32 v2, v28, v41
	v_fma_f32 v3, -v27, v2, v28
	v_fmac_f32_e32 v2, v3, v41
	v_rcp_f32_e32 v3, v38
	v_fma_f32 v4, -v27, v2, v28
	v_div_fmas_f32 v4, v4, v41, v2
	s_mov_b64 vcc, s[0:1]
	v_fma_f32 v2, -v38, v3, 1.0
	v_fmac_f32_e32 v3, v2, v3
	v_mul_f32_e32 v2, v11, v3
	v_fma_f32 v27, -v38, v2, v11
	v_fmac_f32_e32 v2, v27, v3
	v_fma_f32 v11, -v38, v2, v11
	v_div_fmas_f32 v11, v11, v3, v2
	v_mul_f32_e32 v2, v32, v19
	s_waitcnt vmcnt(6)
	v_mul_f32_e32 v2, v2, v24
	v_mul_f32_e32 v38, v16, v2
	v_div_scale_f32 v24, s[0:1], v38, v38, 1.0
	v_add_co_u32_e32 v2, vcc, s12, v6
	v_addc_co_u32_e32 v3, vcc, v13, v7, vcc
	v_div_fixup_f32 v4, v4, v23, 1.0
	v_div_scale_f32 v23, vcc, 1.0, v38, 1.0
	v_mul_f32_e32 v4, v4, v5
	v_min_f32_e32 v4, 0x7cf0bdc2, v4
	s_waitcnt vmcnt(4)
	v_mul_f32_e32 v4, v4, v46
	global_store_dword v[2:3], v4, off
	v_div_fixup_f32 v4, v11, v29, 1.0
	v_mul_f32_e32 v5, v37, v39
	v_mul_f32_e32 v4, v5, v4
	v_rcp_f32_e32 v11, v24
	v_min_f32_e32 v27, 0x7cf0bdc2, v4
	v_add_co_u32_e64 v2, s[0:1], s12, v30
	v_fma_f32 v4, -v24, v11, 1.0
	v_fmac_f32_e32 v11, v4, v11
	v_addc_co_u32_e64 v3, s[0:1], v13, v31, s[0:1]
	v_mul_f32_e32 v28, v23, v11
	v_fma_f32 v4, -v24, v28, v23
	v_fmac_f32_e32 v28, v4, v11
	v_lshlrev_b64 v[4:5], 2, v[0:1]
	v_add_u32_e32 v0, s6, v0
	v_add_co_u32_e64 v6, s[0:1], s10, v4
	v_addc_co_u32_e64 v7, s[0:1], v26, v5, s[0:1]
	global_load_dword v31, v[6:7], off
	v_fma_f32 v6, -v24, v28, v23
	v_mul_f32_e32 v51, v36, v17
	v_lshlrev_b64 v[23:24], 2, v[0:1]
	v_div_scale_f32 v29, s[0:1], v51, v51, 1.0
	v_div_fmas_f32 v11, v6, v11, v28
	v_add_co_u32_e64 v6, s[0:1], s10, v23
	v_addc_co_u32_e64 v7, s[0:1], v26, v24, s[0:1]
	global_load_dword v52, v[6:7], off
	v_div_scale_f32 v30, vcc, 1.0, v51, 1.0
	v_add_u32_e32 v0, s6, v0
	v_mul_f32_e32 v54, v15, v42
	v_mul_f32_e32 v10, v10, v9
	s_waitcnt vmcnt(4)
	v_mul_f32_e32 v6, v40, v27
	global_store_dword v[2:3], v6, off
	v_add_co_u32_e64 v27, s[0:1], s12, v4
	v_rcp_f32_e32 v3, v29
	v_div_fixup_f32 v2, v11, v38, 1.0
	v_mul_f32_e32 v11, v43, v39
	v_mul_f32_e32 v2, v11, v2
	v_min_f32_e32 v38, 0x7cf0bdc2, v2
	v_fma_f32 v2, -v29, v3, 1.0
	v_fmac_f32_e32 v3, v2, v3
	v_mul_f32_e32 v2, v30, v3
	v_fma_f32 v4, -v29, v2, v30
	v_fmac_f32_e32 v2, v4, v3
	v_fma_f32 v4, -v29, v2, v30
	v_lshlrev_b64 v[29:30], 2, v[0:1]
	v_div_fmas_f32 v53, v4, v3, v2
	v_add_co_u32_e32 v2, vcc, s10, v29
	v_addc_co_u32_e32 v3, vcc, v26, v30, vcc
	global_load_dword v56, v[2:3], off
	v_add_u32_e32 v0, s6, v0
	v_lshlrev_b64 v[36:37], 2, v[0:1]
	v_add_u32_e32 v0, s6, v0
	v_add_co_u32_e32 v2, vcc, s10, v36
	v_addc_co_u32_e32 v3, vcc, v26, v37, vcc
	global_load_dword v57, v[2:3], off
	v_lshlrev_b64 v[40:41], 2, v[0:1]
	v_add_u32_e32 v0, s6, v0
	v_add_co_u32_e32 v6, vcc, s10, v40
	v_lshlrev_b64 v[43:44], 2, v[0:1]
	v_addc_co_u32_e32 v7, vcc, v26, v41, vcc
	v_add_u32_e32 v0, s6, v0
	v_addc_co_u32_e64 v28, s[0:1], v13, v5, s[0:1]
	v_div_scale_f32 v55, s[0:1], v54, v54, 1.0
	v_add_co_u32_e32 v45, vcc, s10, v43
	v_lshlrev_b64 v[4:5], 2, v[0:1]
	v_addc_co_u32_e32 v46, vcc, v26, v44, vcc
	v_add_u32_e32 v0, s6, v0
	v_add_co_u32_e32 v47, vcc, s10, v4
	v_lshlrev_b64 v[2:3], 2, v[0:1]
	v_addc_co_u32_e32 v48, vcc, v26, v5, vcc
	v_add_co_u32_e32 v49, vcc, s10, v2
	v_addc_co_u32_e32 v50, vcc, v26, v3, vcc
	global_load_dword v58, v[6:7], off
	s_nop 0
	global_load_dword v45, v[45:46], off
	s_nop 0
	global_load_dword v7, v[47:48], off
	global_load_dword v6, v[49:50], off
	v_rcp_f32_e32 v46, v55
	v_add_co_u32_e64 v23, s[0:1], s12, v23
	v_addc_co_u32_e64 v24, s[0:1], v13, v24, s[0:1]
	s_waitcnt vmcnt(8)
	v_mul_f32_e32 v31, v31, v38
	global_store_dword v[27:28], v31, off
	v_div_scale_f32 v27, vcc, 1.0, v54, 1.0
	v_div_fixup_f32 v28, v53, v51, 1.0
	v_mul_f32_e32 v28, v11, v28
	v_min_f32_e32 v28, 0x7cf0bdc2, v28
	v_mul_f32_e32 v31, v20, v42
	v_div_scale_f32 v38, s[0:1], v31, v31, 1.0
	v_div_scale_f32 v47, s[2:3], v33, v33, 1.0
	s_waitcnt vmcnt(8)
	v_mul_f32_e32 v28, v52, v28
	global_store_dword v[23:24], v28, off
	v_fma_f32 v23, -v55, v46, 1.0
	v_fmac_f32_e32 v46, v23, v46
	v_div_scale_f32 v28, s[0:1], 1.0, v31, 1.0
	v_mul_f32_e32 v23, v27, v46
	v_fma_f32 v24, -v55, v23, v27
	v_fmac_f32_e32 v23, v24, v46
	v_fma_f32 v24, -v55, v23, v27
	v_div_fmas_f32 v27, v24, v46, v23
	v_add_co_u32_e32 v23, vcc, s12, v29
	v_addc_co_u32_e32 v24, vcc, v13, v30, vcc
	v_div_scale_f32 v30, s[2:3], 1.0, v33, 1.0
	v_rcp_f32_e32 v46, v38
	s_mov_b64 vcc, s[0:1]
	v_add_u32_e32 v0, s6, v0
	v_fma_f32 v29, -v38, v46, 1.0
	v_fmac_f32_e32 v46, v29, v46
	v_mul_f32_e32 v29, v28, v46
	v_fma_f32 v48, -v38, v29, v28
	v_fmac_f32_e32 v29, v48, v46
	v_div_fixup_f32 v27, v27, v54, 1.0
	v_mul_f32_e32 v11, v11, v27
	v_rcp_f32_e32 v27, v47
	v_min_f32_e32 v11, 0x7cf0bdc2, v11
	s_waitcnt vmcnt(7)
	v_mul_f32_e32 v11, v56, v11
	global_store_dword v[23:24], v11, off
	v_fma_f32 v11, -v47, v27, 1.0
	v_fmac_f32_e32 v27, v11, v27
	v_fma_f32 v28, -v38, v29, v28
	v_mul_f32_e32 v11, v30, v27
	v_div_fmas_f32 v28, v28, v46, v29
	v_fma_f32 v23, -v47, v11, v30
	v_fmac_f32_e32 v11, v23, v27
	v_fma_f32 v23, -v47, v11, v30
	s_mov_b64 vcc, s[2:3]
	v_div_fmas_f32 v11, v23, v27, v11
	v_mul_f32_e32 v27, v22, v42
	v_div_scale_f32 v29, s[0:1], v27, v27, 1.0
	v_add_co_u32_e32 v23, vcc, s12, v36
	v_addc_co_u32_e32 v24, vcc, v13, v37, vcc
	v_div_scale_f32 v30, vcc, 1.0, v27, 1.0
	v_div_fixup_f32 v28, v28, v31, 1.0
	v_mul_f32_e32 v31, v15, v39
	v_mul_f32_e32 v28, v31, v28
	v_min_f32_e32 v28, 0x7cf0bdc2, v28
	s_waitcnt vmcnt(7)
	v_mul_f32_e32 v28, v57, v28
	global_store_dword v[23:24], v28, off
	v_div_fixup_f32 v11, v11, v33, 1.0
	v_rcp_f32_e32 v28, v29
	v_mul_f32_e32 v31, v14, v39
	v_mul_f32_e32 v11, v31, v11
	v_add_co_u32_e64 v23, s[0:1], s12, v40
	v_fma_f32 v31, -v29, v28, 1.0
	v_fmac_f32_e32 v28, v31, v28
	v_mul_f32_e32 v31, v30, v28
	v_fma_f32 v33, -v29, v31, v30
	v_fmac_f32_e32 v31, v33, v28
	v_fma_f32 v29, -v29, v31, v30
	v_div_fmas_f32 v28, v29, v28, v31
	v_mul_f32_e32 v29, v19, v17
	v_addc_co_u32_e64 v24, s[0:1], v13, v41, s[0:1]
	v_div_scale_f32 v30, s[0:1], v29, v29, 1.0
	v_min_f32_e32 v11, 0x7cf0bdc2, v11
	s_waitcnt vmcnt(7)
	v_mul_f32_e32 v11, v58, v11
	global_store_dword v[23:24], v11, off
	v_div_scale_f32 v11, vcc, 1.0, v29, 1.0
	v_mul_f32_e32 v31, v35, v25
	v_mul_f32_e32 v19, v19, v39
	v_div_scale_f32 v33, s[0:1], v31, v31, 1.0
	v_add_co_u32_e64 v23, s[0:1], s12, v43
	v_div_fixup_f32 v27, v28, v27, 1.0
	v_mul_f32_e32 v19, v19, v27
	v_min_f32_e32 v19, 0x7cf0bdc2, v19
	v_rcp_f32_e32 v28, v30
	v_addc_co_u32_e64 v24, s[0:1], v13, v44, s[0:1]
	s_waitcnt vmcnt(7)
	v_mul_f32_e32 v19, v45, v19
	global_store_dword v[23:24], v19, off
	v_fma_f32 v19, -v30, v28, 1.0
	v_fmac_f32_e32 v28, v19, v28
	v_mul_f32_e32 v19, v11, v28
	v_fma_f32 v23, -v30, v19, v11
	v_fmac_f32_e32 v19, v23, v28
	v_fma_f32 v11, -v30, v19, v11
	v_div_fmas_f32 v11, v11, v28, v19
	v_div_scale_f32 v27, s[0:1], 1.0, v31, 1.0
	v_rcp_f32_e32 v23, v33
	v_mul_f32_e32 v30, v18, v17
	v_div_scale_f32 v28, s[2:3], v30, v30, 1.0
	v_fma_f32 v19, -v33, v23, 1.0
	v_fmac_f32_e32 v23, v19, v23
	s_mov_b64 vcc, s[0:1]
	v_add_co_u32_e64 v4, s[0:1], s12, v4
	v_addc_co_u32_e64 v5, s[0:1], v13, v5, s[0:1]
	v_mul_f32_e32 v35, v20, v25
	v_mul_f32_e32 v39, v14, v25
	v_div_fixup_f32 v11, v11, v29, 1.0
	v_mul_f32_e32 v29, v32, v9
	v_mul_f32_e32 v19, v27, v23
	;; [unrolled: 1-line block ×3, first 2 shown]
	v_fma_f32 v24, -v33, v19, v27
	v_min_f32_e32 v11, 0x7cf0bdc2, v11
	v_fmac_f32_e32 v19, v24, v23
	s_waitcnt vmcnt(7)
	v_mul_f32_e32 v7, v7, v11
	v_fma_f32 v24, -v33, v19, v27
	global_store_dword v[4:5], v7, off
	v_lshlrev_b64 v[4:5], 2, v[0:1]
	v_div_fmas_f32 v19, v24, v23, v19
	v_add_co_u32_e64 v23, s[0:1], s10, v4
	v_div_scale_f32 v27, vcc, 1.0, v30, 1.0
	v_addc_co_u32_e64 v24, s[0:1], v26, v5, s[0:1]
	global_load_dword v33, v[23:24], off
	v_rcp_f32_e32 v7, v28
	v_add_u32_e32 v0, s6, v0
	v_add_co_u32_e64 v2, s[0:1], s12, v2
	v_addc_co_u32_e64 v3, s[0:1], v13, v3, s[0:1]
	v_mul_f32_e32 v18, v15, v18
	v_mul_f32_e32 v18, v18, v17
	v_div_fixup_f32 v11, v19, v31, 1.0
	v_fma_f32 v19, -v28, v7, 1.0
	v_fmac_f32_e32 v7, v19, v7
	v_mul_f32_e32 v19, v27, v7
	v_fma_f32 v23, -v28, v19, v27
	v_fmac_f32_e32 v19, v23, v7
	v_fma_f32 v23, -v28, v19, v27
	v_mul_f32_e32 v11, v29, v11
	v_div_fmas_f32 v7, v23, v7, v19
	v_min_f32_e32 v11, 0x7cf0bdc2, v11
	v_lshlrev_b64 v[23:24], 2, v[0:1]
	s_waitcnt vmcnt(8)
	v_mul_f32_e32 v6, v6, v11
	global_store_dword v[2:3], v6, off
	v_add_co_u32_e32 v2, vcc, s10, v23
	v_addc_co_u32_e32 v3, vcc, v26, v24, vcc
	global_load_dword v11, v[2:3], off
	v_add_u32_e32 v0, s6, v0
	v_add_co_u32_e32 v27, vcc, s12, v4
	v_addc_co_u32_e32 v28, vcc, v13, v5, vcc
	v_div_scale_f32 v31, s[0:1], v35, v35, 1.0
	v_div_fixup_f32 v2, v7, v30, 1.0
	v_lshlrev_b64 v[6:7], 2, v[0:1]
	v_mul_f32_e32 v3, v34, v9
	v_add_co_u32_e32 v29, vcc, s10, v6
	v_addc_co_u32_e32 v30, vcc, v26, v7, vcc
	global_load_dword v36, v[29:30], off
	v_div_scale_f32 v32, vcc, 1.0, v35, 1.0
	v_add_u32_e32 v0, s6, v0
	v_mul_f32_e32 v34, v3, v2
	v_lshlrev_b64 v[2:3], 2, v[0:1]
	v_add_u32_e32 v0, s6, v0
	v_rcp_f32_e32 v37, v31
	v_add_co_u32_e64 v19, s[0:1], s10, v2
	v_lshlrev_b64 v[4:5], 2, v[0:1]
	v_addc_co_u32_e64 v20, s[0:1], v26, v3, s[0:1]
	global_load_dword v19, v[19:20], off
	v_add_co_u32_e64 v29, s[0:1], s10, v4
	v_addc_co_u32_e64 v30, s[0:1], v26, v5, s[0:1]
	v_fma_f32 v20, -v31, v37, 1.0
	v_div_scale_f32 v40, s[0:1], v39, v39, 1.0
	v_fmac_f32_e32 v37, v20, v37
	v_mul_f32_e32 v20, v32, v37
	v_fma_f32 v38, -v31, v20, v32
	v_fmac_f32_e32 v20, v38, v37
	v_fma_f32 v31, -v31, v20, v32
	v_add_u32_e32 v0, s6, v0
	v_div_fmas_f32 v20, v31, v37, v20
	v_div_scale_f32 v37, vcc, 1.0, v39, 1.0
	v_lshlrev_b64 v[0:1], 2, v[0:1]
	v_mul_f32_e32 v16, v16, v18
	v_add_co_u32_e64 v31, s[0:1], s10, v0
	v_addc_co_u32_e64 v32, s[0:1], v26, v1, s[0:1]
	global_load_dword v26, v[29:30], off
	s_nop 0
	global_load_dword v29, v[31:32], off
	v_min_f32_e32 v30, 0x7cf0bdc2, v34
	v_add_co_u32_e64 v23, s[0:1], s12, v23
	s_waitcnt vmcnt(6)
	v_mul_f32_e32 v30, v33, v30
	global_store_dword v[27:28], v30, off
	v_rcp_f32_e32 v27, v40
	v_addc_co_u32_e64 v24, s[0:1], v13, v24, s[0:1]
	v_div_scale_f32 v18, s[0:1], v16, v16, 1.0
	v_fma_f32 v28, -v40, v27, 1.0
	v_fmac_f32_e32 v27, v28, v27
	v_mul_f32_e32 v28, v37, v27
	v_fma_f32 v30, -v40, v28, v37
	v_fmac_f32_e32 v28, v30, v27
	v_fma_f32 v30, -v40, v28, v37
	v_div_fmas_f32 v27, v30, v27, v28
	v_div_fixup_f32 v20, v20, v35, 1.0
	v_mul_f32_e32 v15, v15, v9
	v_mul_f32_e32 v15, v15, v20
	v_div_scale_f32 v20, vcc, 1.0, v16, 1.0
	v_min_f32_e32 v15, 0x7cf0bdc2, v15
	v_mul_f32_e32 v14, v14, v9
	s_waitcnt vmcnt(5)
	v_mul_f32_e32 v11, v11, v15
	global_store_dword v[23:24], v11, off
	v_mul_f32_e32 v11, v22, v25
	v_rcp_f32_e32 v22, v18
	v_div_scale_f32 v15, s[0:1], v11, v11, 1.0
	v_div_fixup_f32 v23, v27, v39, 1.0
	v_mul_f32_e32 v10, v10, v23
	v_fma_f32 v23, -v18, v22, 1.0
	v_add_co_u32_e64 v6, s[0:1], s12, v6
	v_fmac_f32_e32 v22, v23, v22
	v_addc_co_u32_e64 v7, s[0:1], v13, v7, s[0:1]
	v_mul_f32_e32 v23, v20, v22
	v_fma_f32 v24, -v18, v23, v20
	v_div_scale_f32 v25, s[0:1], 1.0, v11, 1.0
	v_fmac_f32_e32 v23, v24, v22
	v_fma_f32 v18, -v18, v23, v20
	v_div_fmas_f32 v18, v18, v22, v23
	v_div_scale_f32 v22, s[2:3], v21, v21, 1.0
	v_min_f32_e32 v10, 0x7cf0bdc2, v10
	s_waitcnt vmcnt(5)
	v_mul_f32_e32 v10, v36, v10
	global_store_dword v[6:7], v10, off
	v_div_scale_f32 v7, s[2:3], 1.0, v21, 1.0
	v_rcp_f32_e32 v20, v15
	s_mov_b64 vcc, s[0:1]
	v_fma_f32 v6, -v15, v20, 1.0
	v_fmac_f32_e32 v20, v6, v20
	v_mul_f32_e32 v6, v25, v20
	v_fma_f32 v10, -v15, v6, v25
	v_fmac_f32_e32 v6, v10, v20
	v_fma_f32 v10, -v15, v6, v25
	v_rcp_f32_e32 v15, v22
	v_div_fmas_f32 v6, v10, v20, v6
	v_div_fixup_f32 v10, v18, v16, 1.0
	v_mul_f32_e32 v10, v14, v10
	v_fma_f32 v14, -v22, v15, 1.0
	v_fmac_f32_e32 v15, v14, v15
	v_mul_f32_e32 v14, v7, v15
	v_fma_f32 v16, -v22, v14, v7
	v_fmac_f32_e32 v14, v16, v15
	v_fma_f32 v7, -v22, v14, v7
	s_mov_b64 vcc, s[2:3]
	v_div_fmas_f32 v7, v7, v15, v14
	v_min_f32_e32 v10, 0x7cf0bdc2, v10
	v_add_co_u32_e32 v2, vcc, s12, v2
	s_waitcnt vmcnt(5)
	v_mul_f32_e32 v10, v19, v10
	v_addc_co_u32_e32 v3, vcc, v13, v3, vcc
	global_store_dword v[2:3], v10, off
	v_mul_f32_e32 v2, v12, v9
	v_div_fixup_f32 v3, v6, v11, 1.0
	v_mul_f32_e32 v2, v2, v3
	v_min_f32_e32 v2, 0x7cf0bdc2, v2
	s_waitcnt vmcnt(5)
	v_mul_f32_e32 v6, v26, v2
	v_add_co_u32_e32 v2, vcc, s12, v4
	v_addc_co_u32_e32 v3, vcc, v13, v5, vcc
	global_store_dword v[2:3], v6, off
	v_mul_f32_e32 v2, v8, v17
	v_div_fixup_f32 v3, v7, v21, 1.0
	v_mul_f32_e32 v2, v2, v3
	v_min_f32_e32 v2, 0x7cf0bdc2, v2
	v_add_co_u32_e32 v0, vcc, s12, v0
	s_waitcnt vmcnt(5)
	v_mul_f32_e32 v2, v29, v2
	v_addc_co_u32_e32 v1, vcc, v13, v1, vcc
	global_store_dword v[0:1], v2, off
	s_endpgm
	.section	.rodata,"a",@progbits
	.p2align	6, 0x0
	.amdhsa_kernel _Z12ratt9_kernelIfEvPKT_S2_PS0_S2_S0_
		.amdhsa_group_segment_fixed_size 0
		.amdhsa_private_segment_fixed_size 0
		.amdhsa_kernarg_size 296
		.amdhsa_user_sgpr_count 6
		.amdhsa_user_sgpr_private_segment_buffer 1
		.amdhsa_user_sgpr_dispatch_ptr 0
		.amdhsa_user_sgpr_queue_ptr 0
		.amdhsa_user_sgpr_kernarg_segment_ptr 1
		.amdhsa_user_sgpr_dispatch_id 0
		.amdhsa_user_sgpr_flat_scratch_init 0
		.amdhsa_user_sgpr_private_segment_size 0
		.amdhsa_uses_dynamic_stack 0
		.amdhsa_system_sgpr_private_segment_wavefront_offset 0
		.amdhsa_system_sgpr_workgroup_id_x 1
		.amdhsa_system_sgpr_workgroup_id_y 0
		.amdhsa_system_sgpr_workgroup_id_z 0
		.amdhsa_system_sgpr_workgroup_info 0
		.amdhsa_system_vgpr_workitem_id 0
		.amdhsa_next_free_vgpr 60
		.amdhsa_next_free_sgpr 16
		.amdhsa_reserve_vcc 1
		.amdhsa_reserve_flat_scratch 0
		.amdhsa_float_round_mode_32 0
		.amdhsa_float_round_mode_16_64 0
		.amdhsa_float_denorm_mode_32 3
		.amdhsa_float_denorm_mode_16_64 3
		.amdhsa_dx10_clamp 1
		.amdhsa_ieee_mode 1
		.amdhsa_fp16_overflow 0
		.amdhsa_exception_fp_ieee_invalid_op 0
		.amdhsa_exception_fp_denorm_src 0
		.amdhsa_exception_fp_ieee_div_zero 0
		.amdhsa_exception_fp_ieee_overflow 0
		.amdhsa_exception_fp_ieee_underflow 0
		.amdhsa_exception_fp_ieee_inexact 0
		.amdhsa_exception_int_div_zero 0
	.end_amdhsa_kernel
	.section	.text._Z12ratt9_kernelIfEvPKT_S2_PS0_S2_S0_,"axG",@progbits,_Z12ratt9_kernelIfEvPKT_S2_PS0_S2_S0_,comdat
.Lfunc_end10:
	.size	_Z12ratt9_kernelIfEvPKT_S2_PS0_S2_S0_, .Lfunc_end10-_Z12ratt9_kernelIfEvPKT_S2_PS0_S2_S0_
                                        ; -- End function
	.set _Z12ratt9_kernelIfEvPKT_S2_PS0_S2_S0_.num_vgpr, 60
	.set _Z12ratt9_kernelIfEvPKT_S2_PS0_S2_S0_.num_agpr, 0
	.set _Z12ratt9_kernelIfEvPKT_S2_PS0_S2_S0_.numbered_sgpr, 16
	.set _Z12ratt9_kernelIfEvPKT_S2_PS0_S2_S0_.num_named_barrier, 0
	.set _Z12ratt9_kernelIfEvPKT_S2_PS0_S2_S0_.private_seg_size, 0
	.set _Z12ratt9_kernelIfEvPKT_S2_PS0_S2_S0_.uses_vcc, 1
	.set _Z12ratt9_kernelIfEvPKT_S2_PS0_S2_S0_.uses_flat_scratch, 0
	.set _Z12ratt9_kernelIfEvPKT_S2_PS0_S2_S0_.has_dyn_sized_stack, 0
	.set _Z12ratt9_kernelIfEvPKT_S2_PS0_S2_S0_.has_recursion, 0
	.set _Z12ratt9_kernelIfEvPKT_S2_PS0_S2_S0_.has_indirect_call, 0
	.section	.AMDGPU.csdata,"",@progbits
; Kernel info:
; codeLenInByte = 6260
; TotalNumSgprs: 20
; NumVgprs: 60
; ScratchSize: 0
; MemoryBound: 0
; FloatMode: 240
; IeeeMode: 1
; LDSByteSize: 0 bytes/workgroup (compile time only)
; SGPRBlocks: 2
; VGPRBlocks: 14
; NumSGPRsForWavesPerEU: 20
; NumVGPRsForWavesPerEU: 60
; Occupancy: 4
; WaveLimiterHint : 0
; COMPUTE_PGM_RSRC2:SCRATCH_EN: 0
; COMPUTE_PGM_RSRC2:USER_SGPR: 6
; COMPUTE_PGM_RSRC2:TRAP_HANDLER: 0
; COMPUTE_PGM_RSRC2:TGID_X_EN: 1
; COMPUTE_PGM_RSRC2:TGID_Y_EN: 0
; COMPUTE_PGM_RSRC2:TGID_Z_EN: 0
; COMPUTE_PGM_RSRC2:TIDIG_COMP_CNT: 0
	.section	.text._Z13ratt10_kernelIfEvPKT_PS0_S0_,"axG",@progbits,_Z13ratt10_kernelIfEvPKT_PS0_S0_,comdat
	.protected	_Z13ratt10_kernelIfEvPKT_PS0_S0_ ; -- Begin function _Z13ratt10_kernelIfEvPKT_PS0_S0_
	.globl	_Z13ratt10_kernelIfEvPKT_PS0_S0_
	.p2align	8
	.type	_Z13ratt10_kernelIfEvPKT_PS0_S0_,@function
_Z13ratt10_kernelIfEvPKT_PS0_S0_:       ; @_Z13ratt10_kernelIfEvPKT_PS0_S0_
; %bb.0:
	s_load_dword s7, s[4:5], 0x24
	s_load_dwordx4 s[0:3], s[4:5], 0x0
	s_load_dword s8, s[4:5], 0x10
	s_load_dword s9, s[4:5], 0x18
	v_mov_b32_e32 v1, 0
	s_waitcnt lgkmcnt(0)
	s_and_b32 s7, s7, 0xffff
	s_mul_i32 s6, s6, s7
	v_add_u32_e32 v0, s6, v0
	v_lshlrev_b64 v[2:3], 2, v[0:1]
	v_mov_b32_e32 v5, s1
	v_add_co_u32_e32 v4, vcc, s0, v2
	v_addc_co_u32_e32 v5, vcc, v5, v3, vcc
	global_load_dword v4, v[4:5], off
	v_mov_b32_e32 v5, s3
	s_mul_i32 s3, s9, s7
	v_add_u32_e32 v0, s3, v0
	v_lshlrev_b64 v[11:12], 2, v[0:1]
	s_mov_b32 s10, 0x800000
	v_add_u32_e32 v0, s3, v0
	s_mov_b32 s11, 0x3f317217
	s_mov_b32 s12, 0x7f800000
	v_mov_b32_e32 v9, 0x41b17218
	v_mov_b32_e32 v7, 0x42291e26
	s_mov_b32 s5, 0x3fb8aa3b
	s_mov_b32 s4, 0xc2ce8ed0
	v_mov_b32_e32 v6, 0x427f2c2c
	s_mov_b32 s6, 0x42b17218
	v_mov_b32_e32 v8, 0x4282ec81
	v_mov_b32_e32 v10, 0x425e3fa3
	s_waitcnt vmcnt(0)
	v_mul_f32_e32 v17, s8, v4
	v_div_scale_f32 v15, s[0:1], v17, v17, 1.0
	v_div_scale_f32 v16, vcc, 1.0, v17, 1.0
	v_add_co_u32_e64 v13, s[0:1], s2, v2
	v_addc_co_u32_e64 v14, s[0:1], v5, v3, s[0:1]
	v_add_co_u32_e64 v11, s[0:1], s2, v11
	v_addc_co_u32_e64 v12, s[0:1], v5, v12, s[0:1]
	v_cmp_gt_f32_e64 s[0:1], s10, v17
	v_mov_b32_e32 v4, 0x7f800000
	v_rcp_f32_e32 v18, v15
	v_fma_f32 v2, -v15, v18, 1.0
	v_fmac_f32_e32 v18, v2, v18
	v_mul_f32_e32 v19, v16, v18
	v_fma_f32 v2, -v15, v19, v16
	v_fmac_f32_e32 v19, v2, v18
	v_fma_f32 v15, -v15, v19, v16
	v_div_fmas_f32 v18, v15, v18, v19
	v_cndmask_b32_e64 v16, 0, 32, s[0:1]
	v_ldexp_f32 v16, v17, v16
	v_log_f32_e32 v20, v16
	v_lshlrev_b64 v[2:3], 2, v[0:1]
	v_add_u32_e32 v0, s3, v0
	v_add_co_u32_e32 v15, vcc, s2, v2
	v_addc_co_u32_e32 v16, vcc, v5, v3, vcc
	v_mul_f32_e32 v3, 0x3f317217, v20
	v_fma_f32 v3, v20, s11, -v3
	v_fmac_f32_e32 v3, 0x3377d1cf, v20
	v_fmac_f32_e32 v3, 0x3f317217, v20
	v_cmp_lt_f32_e64 vcc, |v20|, s12
	v_cndmask_b32_e64 v2, 0, v9, s[0:1]
	v_cndmask_b32_e32 v3, v20, v3, vcc
	v_sub_f32_e32 v2, v3, v2
	v_fmac_f32_e32 v7, 0xbf666666, v2
	v_div_fixup_f32 v3, v18, v17, 1.0
	v_fmac_f32_e32 v7, 0x4455ddf9, v3
	v_mul_f32_e32 v9, 0x3fb8aa3b, v7
	v_fma_f32 v17, v7, s5, -v9
	v_rndne_f32_e32 v18, v9
	v_fmac_f32_e32 v17, 0x32a5705f, v7
	v_sub_f32_e32 v9, v9, v18
	v_add_f32_e32 v9, v9, v17
	v_cvt_i32_f32_e32 v18, v18
	v_exp_f32_e32 v9, v9
	v_fmac_f32_e32 v6, 0xc05ae148, v2
	v_cmp_ngt_f32_e32 vcc, s4, v7
	v_fmac_f32_e32 v6, 0xc725ce53, v3
	v_ldexp_f32 v9, v9, v18
	v_cndmask_b32_e32 v9, 0, v9, vcc
	v_cmp_nlt_f32_e32 vcc, s6, v7
	v_mul_f32_e32 v17, 0x3fb8aa3b, v6
	v_cndmask_b32_e32 v9, v4, v9, vcc
	v_fma_f32 v7, v6, s5, -v17
	global_store_dword v[13:14], v9, off
	v_rndne_f32_e32 v9, v17
	v_fmac_f32_e32 v8, 0xc06f5c29, v2
	v_fmac_f32_e32 v7, 0x32a5705f, v6
	v_sub_f32_e32 v17, v17, v9
	v_fmac_f32_e32 v8, 0xc4738e8f, v3
	v_add_f32_e32 v7, v17, v7
	v_mul_f32_e32 v19, 0x3fb8aa3b, v8
	v_cvt_i32_f32_e32 v9, v9
	v_exp_f32_e32 v7, v7
	v_fma_f32 v13, v8, s5, -v19
	v_rndne_f32_e32 v14, v19
	v_fmac_f32_e32 v10, 0xc0247ae1, v2
	v_fmac_f32_e32 v13, 0x32a5705f, v8
	v_sub_f32_e32 v19, v19, v14
	v_fmac_f32_e32 v10, 0xc433455c, v3
	v_add_f32_e32 v13, v19, v13
	v_mul_f32_e32 v18, 0x3fb8aa3b, v10
	v_ldexp_f32 v7, v7, v9
	v_cvt_i32_f32_e32 v9, v14
	v_exp_f32_e32 v13, v13
	v_fma_f32 v17, v10, s5, -v18
	v_rndne_f32_e32 v19, v18
	v_fmac_f32_e32 v17, 0x32a5705f, v10
	v_sub_f32_e32 v18, v18, v19
	v_add_f32_e32 v17, v18, v17
	v_ldexp_f32 v9, v13, v9
	v_cvt_i32_f32_e32 v13, v19
	v_exp_f32_e32 v14, v17
	v_mov_b32_e32 v18, 0x427d54f0
	v_fmac_f32_e32 v18, 0xc048f5c3, v2
	v_fmac_f32_e32 v18, 0xc41abd37, v3
	v_cmp_ngt_f32_e32 vcc, s4, v6
	v_mul_f32_e32 v20, 0x3fb8aa3b, v18
	v_ldexp_f32 v13, v14, v13
	v_cndmask_b32_e32 v14, 0, v7, vcc
	v_cmp_nlt_f32_e32 vcc, s6, v6
	v_cmp_ngt_f32_e64 s[0:1], s4, v8
	v_fma_f32 v21, v18, s5, -v20
	v_rndne_f32_e32 v22, v20
	v_lshlrev_b64 v[6:7], 2, v[0:1]
	v_cndmask_b32_e64 v9, 0, v9, s[0:1]
	v_cmp_ngt_f32_e64 s[0:1], s4, v10
	v_cndmask_b32_e32 v14, v4, v14, vcc
	v_cmp_nlt_f32_e32 vcc, s6, v8
	v_fmac_f32_e32 v21, 0x32a5705f, v18
	v_sub_f32_e32 v20, v20, v22
	v_cndmask_b32_e64 v13, 0, v13, s[0:1]
	v_cndmask_b32_e32 v8, v4, v9, vcc
	v_cmp_nlt_f32_e32 vcc, s6, v10
	v_add_f32_e32 v20, v20, v21
	v_cndmask_b32_e32 v9, v4, v13, vcc
	v_add_co_u32_e32 v6, vcc, s2, v6
	global_store_dword v[11:12], v14, off
	global_store_dword v[15:16], v8, off
	v_exp_f32_e32 v8, v20
	v_cvt_i32_f32_e32 v10, v22
	v_addc_co_u32_e32 v7, vcc, v5, v7, vcc
	global_store_dword v[6:7], v9, off
	v_mov_b32_e32 v9, 0x4299f31f
	v_fmac_f32_e32 v9, 0xc0a3851f, v2
	v_fmac_f32_e32 v9, 0xc55f2528, v3
	v_ldexp_f32 v6, v8, v10
	v_mul_f32_e32 v10, 0x3fb8aa3b, v9
	v_fma_f32 v11, v9, s5, -v10
	v_rndne_f32_e32 v12, v10
	v_cmp_ngt_f32_e32 vcc, s4, v18
	v_fmac_f32_e32 v11, 0x32a5705f, v9
	v_sub_f32_e32 v10, v10, v12
	v_cndmask_b32_e32 v6, 0, v6, vcc
	v_cmp_nlt_f32_e32 vcc, s6, v18
	v_add_u32_e32 v0, s3, v0
	v_add_f32_e32 v10, v10, v11
	v_cndmask_b32_e32 v8, v4, v6, vcc
	v_lshlrev_b64 v[6:7], 2, v[0:1]
	v_exp_f32_e32 v10, v10
	v_cvt_i32_f32_e32 v11, v12
	v_add_co_u32_e32 v6, vcc, s2, v6
	v_addc_co_u32_e32 v7, vcc, v5, v7, vcc
	global_store_dword v[6:7], v8, off
	v_ldexp_f32 v6, v10, v11
	v_cmp_ngt_f32_e32 vcc, s4, v9
	v_cndmask_b32_e32 v6, 0, v6, vcc
	v_cmp_nlt_f32_e32 vcc, s6, v9
	v_mov_b32_e32 v9, 0x428bbb66
	v_fmac_f32_e32 v9, 0xc099999a, v2
	v_fmac_f32_e32 v9, 0xc52ede28, v3
	v_mul_f32_e32 v10, 0x3fb8aa3b, v9
	v_fma_f32 v11, v9, s5, -v10
	v_rndne_f32_e32 v12, v10
	v_fmac_f32_e32 v11, 0x32a5705f, v9
	v_sub_f32_e32 v10, v10, v12
	v_add_u32_e32 v0, s3, v0
	v_add_f32_e32 v10, v10, v11
	v_cndmask_b32_e32 v8, v4, v6, vcc
	v_lshlrev_b64 v[6:7], 2, v[0:1]
	v_exp_f32_e32 v10, v10
	v_cvt_i32_f32_e32 v11, v12
	v_add_co_u32_e32 v6, vcc, s2, v6
	v_addc_co_u32_e32 v7, vcc, v5, v7, vcc
	global_store_dword v[6:7], v8, off
	v_ldexp_f32 v6, v10, v11
	v_cmp_ngt_f32_e32 vcc, s4, v9
	v_cndmask_b32_e32 v6, 0, v6, vcc
	v_cmp_nlt_f32_e32 vcc, s6, v9
	v_mov_b32_e32 v9, 0x4299c8e3
	v_fmac_f32_e32 v9, 0xc09851ec, v2
	v_fmac_f32_e32 v9, 0xc4997b28, v3
	v_mul_f32_e32 v10, 0x3fb8aa3b, v9
	v_fma_f32 v11, v9, s5, -v10
	v_rndne_f32_e32 v12, v10
	v_fmac_f32_e32 v11, 0x32a5705f, v9
	v_sub_f32_e32 v10, v10, v12
	;; [unrolled: 21-line block ×15, first 2 shown]
	v_add_u32_e32 v0, s3, v0
	v_add_f32_e32 v2, v2, v3
	v_cndmask_b32_e32 v8, v4, v6, vcc
	v_lshlrev_b64 v[6:7], 2, v[0:1]
	v_exp_f32_e32 v11, v2
	v_cvt_i32_f32_e32 v10, v10
	v_add_co_u32_e32 v2, vcc, s2, v6
	v_addc_co_u32_e32 v3, vcc, v5, v7, vcc
	v_add_u32_e32 v0, s3, v0
	global_store_dword v[2:3], v8, off
	v_ldexp_f32 v2, v11, v10
	v_cmp_ngt_f32_e32 vcc, s4, v9
	v_lshlrev_b64 v[0:1], 2, v[0:1]
	v_cndmask_b32_e32 v2, 0, v2, vcc
	v_cmp_nlt_f32_e32 vcc, s6, v9
	v_cndmask_b32_e32 v2, v4, v2, vcc
	v_add_co_u32_e32 v0, vcc, s2, v0
	v_addc_co_u32_e32 v1, vcc, v5, v1, vcc
	global_store_dword v[0:1], v2, off
	s_endpgm
	.section	.rodata,"a",@progbits
	.p2align	6, 0x0
	.amdhsa_kernel _Z13ratt10_kernelIfEvPKT_PS0_S0_
		.amdhsa_group_segment_fixed_size 0
		.amdhsa_private_segment_fixed_size 0
		.amdhsa_kernarg_size 280
		.amdhsa_user_sgpr_count 6
		.amdhsa_user_sgpr_private_segment_buffer 1
		.amdhsa_user_sgpr_dispatch_ptr 0
		.amdhsa_user_sgpr_queue_ptr 0
		.amdhsa_user_sgpr_kernarg_segment_ptr 1
		.amdhsa_user_sgpr_dispatch_id 0
		.amdhsa_user_sgpr_flat_scratch_init 0
		.amdhsa_user_sgpr_private_segment_size 0
		.amdhsa_uses_dynamic_stack 0
		.amdhsa_system_sgpr_private_segment_wavefront_offset 0
		.amdhsa_system_sgpr_workgroup_id_x 1
		.amdhsa_system_sgpr_workgroup_id_y 0
		.amdhsa_system_sgpr_workgroup_id_z 0
		.amdhsa_system_sgpr_workgroup_info 0
		.amdhsa_system_vgpr_workitem_id 0
		.amdhsa_next_free_vgpr 23
		.amdhsa_next_free_sgpr 13
		.amdhsa_reserve_vcc 1
		.amdhsa_reserve_flat_scratch 0
		.amdhsa_float_round_mode_32 0
		.amdhsa_float_round_mode_16_64 0
		.amdhsa_float_denorm_mode_32 3
		.amdhsa_float_denorm_mode_16_64 3
		.amdhsa_dx10_clamp 1
		.amdhsa_ieee_mode 1
		.amdhsa_fp16_overflow 0
		.amdhsa_exception_fp_ieee_invalid_op 0
		.amdhsa_exception_fp_denorm_src 0
		.amdhsa_exception_fp_ieee_div_zero 0
		.amdhsa_exception_fp_ieee_overflow 0
		.amdhsa_exception_fp_ieee_underflow 0
		.amdhsa_exception_fp_ieee_inexact 0
		.amdhsa_exception_int_div_zero 0
	.end_amdhsa_kernel
	.section	.text._Z13ratt10_kernelIfEvPKT_PS0_S0_,"axG",@progbits,_Z13ratt10_kernelIfEvPKT_PS0_S0_,comdat
.Lfunc_end11:
	.size	_Z13ratt10_kernelIfEvPKT_PS0_S0_, .Lfunc_end11-_Z13ratt10_kernelIfEvPKT_PS0_S0_
                                        ; -- End function
	.set _Z13ratt10_kernelIfEvPKT_PS0_S0_.num_vgpr, 23
	.set _Z13ratt10_kernelIfEvPKT_PS0_S0_.num_agpr, 0
	.set _Z13ratt10_kernelIfEvPKT_PS0_S0_.numbered_sgpr, 13
	.set _Z13ratt10_kernelIfEvPKT_PS0_S0_.num_named_barrier, 0
	.set _Z13ratt10_kernelIfEvPKT_PS0_S0_.private_seg_size, 0
	.set _Z13ratt10_kernelIfEvPKT_PS0_S0_.uses_vcc, 1
	.set _Z13ratt10_kernelIfEvPKT_PS0_S0_.uses_flat_scratch, 0
	.set _Z13ratt10_kernelIfEvPKT_PS0_S0_.has_dyn_sized_stack, 0
	.set _Z13ratt10_kernelIfEvPKT_PS0_S0_.has_recursion, 0
	.set _Z13ratt10_kernelIfEvPKT_PS0_S0_.has_indirect_call, 0
	.section	.AMDGPU.csdata,"",@progbits
; Kernel info:
; codeLenInByte = 2864
; TotalNumSgprs: 17
; NumVgprs: 23
; ScratchSize: 0
; MemoryBound: 0
; FloatMode: 240
; IeeeMode: 1
; LDSByteSize: 0 bytes/workgroup (compile time only)
; SGPRBlocks: 2
; VGPRBlocks: 5
; NumSGPRsForWavesPerEU: 17
; NumVGPRsForWavesPerEU: 23
; Occupancy: 10
; WaveLimiterHint : 0
; COMPUTE_PGM_RSRC2:SCRATCH_EN: 0
; COMPUTE_PGM_RSRC2:USER_SGPR: 6
; COMPUTE_PGM_RSRC2:TRAP_HANDLER: 0
; COMPUTE_PGM_RSRC2:TGID_X_EN: 1
; COMPUTE_PGM_RSRC2:TGID_Y_EN: 0
; COMPUTE_PGM_RSRC2:TGID_Z_EN: 0
; COMPUTE_PGM_RSRC2:TIDIG_COMP_CNT: 0
	.section	.text._Z11ratx_kernelIfEvPKT_S2_PS0_S3_S2_S0_,"axG",@progbits,_Z11ratx_kernelIfEvPKT_S2_PS0_S3_S2_S0_,comdat
	.protected	_Z11ratx_kernelIfEvPKT_S2_PS0_S3_S2_S0_ ; -- Begin function _Z11ratx_kernelIfEvPKT_S2_PS0_S3_S2_S0_
	.globl	_Z11ratx_kernelIfEvPKT_S2_PS0_S3_S2_S0_
	.p2align	8
	.type	_Z11ratx_kernelIfEvPKT_S2_PS0_S3_S2_S0_,@function
_Z11ratx_kernelIfEvPKT_S2_PS0_S3_S2_S0_: ; @_Z11ratx_kernelIfEvPKT_S2_PS0_S3_S2_S0_
; %bb.0:
	s_load_dwordx8 s[8:15], s[4:5], 0x0
	s_load_dwordx2 s[2:3], s[4:5], 0x20
	s_load_dword s0, s[4:5], 0x28
	s_load_dword s1, s[4:5], 0x30
	;; [unrolled: 1-line block ×3, first 2 shown]
	v_mov_b32_e32 v1, 0
	s_waitcnt lgkmcnt(0)
	v_mov_b32_e32 v3, s9
	v_mov_b32_e32 v24, s11
	s_mov_b32 s5, 0x7f800000
	s_and_b32 s4, s7, 0xffff
	s_mul_i32 s6, s6, s4
	v_add_u32_e32 v0, s6, v0
	v_lshlrev_b64 v[20:21], 2, v[0:1]
	s_mul_i32 s4, s1, s4
	v_add_co_u32_e32 v2, vcc, s8, v20
	v_addc_co_u32_e32 v3, vcc, v3, v21, vcc
	v_add_u32_e32 v0, s4, v0
	global_load_dword v22, v[2:3], off
	v_add_co_u32_e32 v2, vcc, s10, v20
	v_lshlrev_b64 v[16:17], 2, v[0:1]
	v_addc_co_u32_e32 v3, vcc, v24, v21, vcc
	global_load_dword v23, v[2:3], off
	v_add_co_u32_e32 v2, vcc, s10, v16
	v_addc_co_u32_e32 v3, vcc, v24, v17, vcc
	global_load_dword v2, v[2:3], off
	v_add_u32_e32 v0, s4, v0
	s_mov_b32 s6, 0x800000
	s_mov_b32 s9, 0x3fb8aa3b
	;; [unrolled: 1-line block ×5, first 2 shown]
	s_waitcnt vmcnt(2)
	v_mul_f32_e32 v22, s0, v22
	s_waitcnt vmcnt(1)
	v_add_f32_e32 v4, 0, v23
	s_waitcnt vmcnt(0)
	v_add_f32_e32 v4, v4, v2
	v_lshlrev_b64 v[2:3], 2, v[0:1]
	v_add_u32_e32 v0, s4, v0
	v_add_co_u32_e32 v2, vcc, s10, v2
	v_addc_co_u32_e32 v3, vcc, v24, v3, vcc
	global_load_dword v2, v[2:3], off
	v_lshlrev_b64 v[14:15], 2, v[0:1]
	v_add_u32_e32 v0, s4, v0
	s_waitcnt vmcnt(0)
	v_add_f32_e32 v4, v4, v2
	v_add_co_u32_e32 v2, vcc, s10, v14
	v_addc_co_u32_e32 v3, vcc, v24, v15, vcc
	global_load_dword v2, v[2:3], off
	s_waitcnt vmcnt(0)
	v_add_f32_e32 v4, v4, v2
	v_lshlrev_b64 v[2:3], 2, v[0:1]
	v_add_u32_e32 v0, s4, v0
	v_add_co_u32_e32 v2, vcc, s10, v2
	v_addc_co_u32_e32 v3, vcc, v24, v3, vcc
	global_load_dword v2, v[2:3], off
	v_lshlrev_b64 v[12:13], 2, v[0:1]
	v_add_u32_e32 v0, s4, v0
	v_lshlrev_b64 v[10:11], 2, v[0:1]
	v_add_u32_e32 v0, s4, v0
	;; [unrolled: 2-line block ×3, first 2 shown]
	s_waitcnt vmcnt(0)
	v_add_f32_e32 v4, v4, v2
	v_add_co_u32_e32 v2, vcc, s10, v12
	v_addc_co_u32_e32 v3, vcc, v24, v13, vcc
	global_load_dword v25, v[2:3], off
	v_add_co_u32_e32 v2, vcc, s10, v10
	v_addc_co_u32_e32 v3, vcc, v24, v11, vcc
	global_load_dword v2, v[2:3], off
	s_waitcnt vmcnt(1)
	v_add_f32_e32 v4, v4, v25
	s_waitcnt vmcnt(0)
	v_add_f32_e32 v4, v4, v2
	v_add_co_u32_e32 v2, vcc, s10, v8
	v_addc_co_u32_e32 v3, vcc, v24, v9, vcc
	global_load_dword v2, v[2:3], off
	s_waitcnt vmcnt(0)
	v_add_f32_e32 v4, v4, v2
	v_lshlrev_b64 v[2:3], 2, v[0:1]
	v_add_u32_e32 v0, s4, v0
	v_add_co_u32_e32 v2, vcc, s10, v2
	v_addc_co_u32_e32 v3, vcc, v24, v3, vcc
	global_load_dword v2, v[2:3], off
	v_lshlrev_b64 v[6:7], 2, v[0:1]
	v_add_u32_e32 v0, s4, v0
	s_waitcnt vmcnt(0)
	v_add_f32_e32 v4, v4, v2
	v_add_co_u32_e32 v2, vcc, s10, v6
	v_addc_co_u32_e32 v3, vcc, v24, v7, vcc
	global_load_dword v26, v[2:3], off
	s_waitcnt vmcnt(0)
	v_add_f32_e32 v18, v4, v26
	v_lshlrev_b64 v[4:5], 2, v[0:1]
	v_add_u32_e32 v0, s4, v0
	v_add_co_u32_e32 v2, vcc, s10, v4
	v_addc_co_u32_e32 v3, vcc, v24, v5, vcc
	global_load_dword v27, v[2:3], off
	v_lshlrev_b64 v[2:3], 2, v[0:1]
	v_add_u32_e32 v0, s4, v0
	s_waitcnt vmcnt(0)
	v_add_f32_e32 v29, v18, v27
	v_add_co_u32_e32 v18, vcc, s10, v2
	v_addc_co_u32_e32 v19, vcc, v24, v3, vcc
	global_load_dword v28, v[18:19], off
	v_lshlrev_b64 v[18:19], 2, v[0:1]
	v_add_u32_e32 v0, s4, v0
	v_add_co_u32_e32 v18, vcc, s10, v18
	v_addc_co_u32_e32 v19, vcc, v24, v19, vcc
	global_load_dword v18, v[18:19], off
	s_waitcnt vmcnt(1)
	v_add_f32_e32 v29, v29, v28
	s_waitcnt vmcnt(0)
	v_add_f32_e32 v30, v29, v18
	v_lshlrev_b64 v[18:19], 2, v[0:1]
	v_add_u32_e32 v0, s4, v0
	v_add_co_u32_e32 v18, vcc, s10, v18
	v_addc_co_u32_e32 v19, vcc, v24, v19, vcc
	global_load_dword v29, v[18:19], off
	v_lshlrev_b64 v[18:19], 2, v[0:1]
	v_add_u32_e32 v0, s4, v0
	v_add_co_u32_e32 v18, vcc, s10, v18
	v_addc_co_u32_e32 v19, vcc, v24, v19, vcc
	s_waitcnt vmcnt(0)
	v_add_f32_e32 v31, v30, v29
	global_load_dword v30, v[18:19], off
	v_lshlrev_b64 v[18:19], 2, v[0:1]
	v_add_u32_e32 v0, s4, v0
	s_waitcnt vmcnt(0)
	v_add_f32_e32 v33, v31, v30
	v_add_co_u32_e32 v31, vcc, s10, v18
	v_addc_co_u32_e32 v32, vcc, v24, v19, vcc
	global_load_dword v34, v[31:32], off
	v_lshlrev_b64 v[31:32], 2, v[0:1]
	v_add_u32_e32 v0, s4, v0
	v_add_co_u32_e32 v31, vcc, s10, v31
	v_addc_co_u32_e32 v32, vcc, v24, v32, vcc
	global_load_dword v31, v[31:32], off
	s_waitcnt vmcnt(1)
	v_add_f32_e32 v33, v33, v34
	s_waitcnt vmcnt(0)
	v_add_f32_e32 v33, v33, v31
	v_lshlrev_b64 v[31:32], 2, v[0:1]
	v_add_u32_e32 v0, s4, v0
	v_add_co_u32_e32 v31, vcc, s10, v31
	v_addc_co_u32_e32 v32, vcc, v24, v32, vcc
	global_load_dword v31, v[31:32], off
	s_waitcnt vmcnt(0)
	v_add_f32_e32 v33, v33, v31
	v_lshlrev_b64 v[31:32], 2, v[0:1]
	v_add_u32_e32 v0, s4, v0
	v_add_co_u32_e32 v31, vcc, s10, v31
	v_addc_co_u32_e32 v32, vcc, v24, v32, vcc
	global_load_dword v31, v[31:32], off
	;; [unrolled: 7-line block ×4, first 2 shown]
	s_waitcnt vmcnt(0)
	v_add_f32_e32 v33, v33, v31
	v_lshlrev_b64 v[31:32], 2, v[0:1]
	v_add_co_u32_e32 v31, vcc, s10, v31
	v_addc_co_u32_e32 v32, vcc, v24, v32, vcc
	global_load_dword v24, v[31:32], off
	v_add_co_u32_e32 v20, vcc, s2, v20
	s_mov_b32 s10, 0x40549a78
	s_waitcnt vmcnt(0)
	v_add_f32_e32 v24, v33, v24
	v_add_f32_e32 v23, v24, v23
	v_fmac_f32_e32 v23, 0x40a00000, v25
	v_add_f32_e32 v23, v26, v23
	v_fmac_f32_e32 v23, 0.5, v27
	v_add_f32_e32 v28, v28, v23
	v_fmac_f32_e32 v28, 2.0, v34
	v_fma_f32 v24, 2.0, v29, v28
	v_fmac_f32_e32 v28, 0x3fc00000, v29
	v_fmac_f32_e32 v24, 2.0, v30
	v_fmac_f32_e32 v28, 0x3fc00000, v30
	v_mov_b32_e32 v30, s3
	v_addc_co_u32_e32 v21, vcc, v30, v21, vcc
	global_load_dword v23, v[20:21], off
	v_add_co_u32_e32 v20, vcc, s12, v18
	v_mov_b32_e32 v26, s13
	v_addc_co_u32_e32 v21, vcc, v26, v19, vcc
	global_load_dword v33, v[20:21], off
	s_mov_b32 s3, 0x3e9a209a
	s_mov_b32 s13, 0x421a209b
	s_waitcnt vmcnt(0)
	v_div_scale_f32 v25, s[0:1], v33, v33, 1.0
	v_rcp_f32_e32 v27, v25
	v_fma_f32 v29, -v25, v27, 1.0
	v_fmac_f32_e32 v27, v29, v27
	v_div_scale_f32 v29, vcc, 1.0, v33, 1.0
	v_mul_f32_e32 v31, v29, v27
	v_fma_f32 v32, -v25, v31, v29
	v_fmac_f32_e32 v31, v32, v27
	v_fma_f32 v25, -v25, v31, v29
	v_div_fmas_f32 v25, v25, v27, v31
	v_div_fixup_f32 v25, v25, v33, 1.0
	v_mul_f32_e32 v25, v24, v25
	v_mul_f32_e32 v27, v23, v25
	v_fma_f32 v23, v23, v25, 1.0
	v_div_scale_f32 v25, s[0:1], v23, v23, 1.0
	v_rcp_f32_e32 v29, v25
	v_fma_f32 v31, -v25, v29, 1.0
	v_fmac_f32_e32 v29, v31, v29
	v_div_scale_f32 v31, vcc, 1.0, v23, 1.0
	v_mul_f32_e32 v32, v31, v29
	v_fma_f32 v34, -v25, v32, v31
	v_fmac_f32_e32 v32, v34, v29
	v_fma_f32 v25, -v25, v32, v31
	v_div_fmas_f32 v25, v25, v29, v32
	v_div_fixup_f32 v23, v25, v23, 1.0
	v_mul_f32_e32 v34, v27, v23
	v_max_f32_e32 v23, 0x800000, v27
	v_cmp_gt_f32_e32 vcc, s6, v23
	v_cndmask_b32_e64 v25, 0, 32, vcc
	v_ldexp_f32 v23, v23, v25
	v_log_f32_e32 v23, v23
	v_mul_f32_e32 v25, 0x3e9a209a, v23
	v_fma_f32 v25, v23, s3, -v25
	v_fmac_f32_e32 v25, 0x3284fbcf, v23
	v_fmac_f32_e32 v25, 0x3e9a209a, v23
	v_cmp_lt_f32_e64 s[0:1], |v23|, s5
	v_cndmask_b32_e64 v23, v23, v25, s[0:1]
	v_mov_b32_e32 v25, 0x411a209b
	v_cndmask_b32_e32 v27, 0, v25, vcc
	v_sub_f32_e32 v35, v23, v27
	v_mul_f32_e32 v23, 0xbc2e4c41, v22
	v_mul_f32_e32 v27, 0x3fb8aa3b, v23
	v_fma_f32 v29, v23, s9, -v27
	v_rndne_f32_e32 v31, v27
	v_fmac_f32_e32 v29, 0x32a5705f, v23
	v_sub_f32_e32 v27, v27, v31
	v_add_f32_e32 v27, v27, v29
	v_exp_f32_e32 v27, v27
	v_cvt_i32_f32_e32 v29, v31
	v_cmp_ngt_f32_e32 vcc, s8, v23
	v_ldexp_f32 v27, v27, v29
	v_cndmask_b32_e32 v27, 0, v27, vcc
	v_cmp_nlt_f32_e32 vcc, s7, v23
	v_mov_b32_e32 v23, 0x7f800000
	v_cndmask_b32_e32 v32, v23, v27, vcc
	v_mul_f32_e32 v27, 0xba1548e5, v22
	v_mul_f32_e32 v29, 0x3fb8aa3b, v27
	v_fma_f32 v31, v27, s9, -v29
	v_rndne_f32_e32 v36, v29
	v_fmac_f32_e32 v31, 0x32a5705f, v27
	v_sub_f32_e32 v29, v29, v36
	v_add_f32_e32 v29, v29, v31
	v_exp_f32_e32 v29, v29
	v_cvt_i32_f32_e32 v31, v36
	v_cmp_ngt_f32_e32 vcc, s8, v27
	v_ldexp_f32 v29, v29, v31
	v_cndmask_b32_e32 v29, 0, v29, vcc
	v_cmp_nlt_f32_e32 vcc, s7, v27
	v_cndmask_b32_e32 v27, v23, v29, vcc
	v_div_scale_f32 v29, s[0:1], v22, v22, 1.0
	v_mul_f32_e32 v27, 0x3f3c0ebf, v27
	v_fmac_f32_e32 v27, 0x3e87e282, v32
	v_rcp_f32_e32 v31, v29
	v_fma_f32 v36, -v29, v31, 1.0
	v_fmac_f32_e32 v31, v36, v31
	v_div_scale_f32 v36, vcc, 1.0, v22, 1.0
	v_mul_f32_e32 v37, v36, v31
	v_fma_f32 v38, -v29, v37, v36
	v_fmac_f32_e32 v37, v38, v31
	v_fma_f32 v29, -v29, v37, v36
	v_div_fmas_f32 v29, v29, v31, v37
	v_div_fixup_f32 v31, v29, v22, 1.0
	v_mul_f32_e32 v29, 0xc5a1f000, v31
	v_mul_f32_e32 v36, 0x3fb8aa3b, v29
	v_fma_f32 v37, v29, s9, -v36
	v_rndne_f32_e32 v38, v36
	v_fmac_f32_e32 v37, 0x32a5705f, v29
	v_sub_f32_e32 v36, v36, v38
	v_add_f32_e32 v36, v36, v37
	v_exp_f32_e32 v36, v36
	v_cvt_i32_f32_e32 v37, v38
	v_cmp_ngt_f32_e32 vcc, s8, v29
	v_mov_b32_e32 v38, 0x3ecccccd
	v_ldexp_f32 v36, v36, v37
	v_cndmask_b32_e32 v36, 0, v36, vcc
	v_cmp_nlt_f32_e32 vcc, s7, v29
	v_cndmask_b32_e32 v29, v23, v36, vcc
	v_add_f32_e32 v27, v29, v27
	v_max_f32_e32 v27, 0x800000, v27
	v_cmp_gt_f32_e32 vcc, s6, v27
	v_cndmask_b32_e64 v29, 0, 32, vcc
	v_ldexp_f32 v27, v27, v29
	v_log_f32_e32 v27, v27
	v_mov_b32_e32 v37, 0x3f400000
	v_mul_f32_e32 v29, 0x3e9a209a, v27
	v_fma_f32 v29, v27, s3, -v29
	v_fmac_f32_e32 v29, 0x3284fbcf, v27
	v_fmac_f32_e32 v29, 0x3e9a209a, v27
	v_cmp_lt_f32_e64 s[0:1], |v27|, s5
	v_cndmask_b32_e64 v27, v27, v29, s[0:1]
	v_cndmask_b32_e32 v29, 0, v25, vcc
	v_sub_f32_e32 v36, v27, v29
	v_fmac_f32_e32 v38, 0x3f2b851f, v36
	v_fmac_f32_e32 v37, 0xbfa28f5c, v36
	v_sub_f32_e32 v35, v35, v38
	v_fmac_f32_e32 v37, 0xbe0f5c29, v35
	v_div_scale_f32 v38, s[0:1], v37, v37, 1.0
	v_mov_b32_e32 v29, 0x3ecccccd
	v_mov_b32_e32 v27, 0x3f400000
	v_rcp_f32_e32 v39, v38
	v_fma_f32 v40, -v38, v39, 1.0
	v_fmac_f32_e32 v39, v40, v39
	v_div_scale_f32 v40, vcc, 1.0, v37, 1.0
	v_mul_f32_e32 v41, v40, v39
	v_fma_f32 v42, -v38, v41, v40
	v_fmac_f32_e32 v41, v42, v39
	v_fma_f32 v38, -v38, v41, v40
	v_div_fmas_f32 v38, v38, v39, v41
	v_div_fixup_f32 v37, v38, v37, 1.0
	v_mul_f32_e32 v35, v35, v37
	v_fma_f32 v35, v35, v35, 1.0
	v_div_scale_f32 v37, s[0:1], v35, v35, 1.0
	v_rcp_f32_e32 v38, v37
	v_fma_f32 v39, -v37, v38, 1.0
	v_fmac_f32_e32 v38, v39, v38
	v_div_scale_f32 v39, vcc, 1.0, v35, 1.0
	v_mul_f32_e32 v40, v39, v38
	v_fma_f32 v41, -v37, v40, v39
	v_fmac_f32_e32 v40, v41, v38
	v_fma_f32 v37, -v37, v40, v39
	v_div_fmas_f32 v37, v37, v38, v40
	v_div_fixup_f32 v35, v37, v35, 1.0
	v_mul_f32_e32 v35, v36, v35
	v_mul_f32_e32 v36, 0x40549a78, v35
	v_fma_f32 v37, v35, s10, -v36
	v_rndne_f32_e32 v38, v36
	v_fmac_f32_e32 v37, 0x33979a37, v35
	v_sub_f32_e32 v36, v36, v38
	v_add_f32_e32 v36, v36, v37
	v_exp_f32_e32 v36, v36
	v_cvt_i32_f32_e32 v37, v38
	v_cmp_ngt_f32_e32 vcc, s11, v35
	v_ldexp_f32 v36, v36, v37
	v_cndmask_b32_e32 v36, 0, v36, vcc
	v_cmp_nlt_f32_e32 vcc, s13, v35
	v_cndmask_b32_e32 v35, v23, v36, vcc
	v_mul_f32_e32 v34, v34, v35
	v_mul_f32_e32 v33, v33, v34
	global_store_dword v[20:21], v33, off
	v_add_co_u32_e32 v18, vcc, s14, v18
	v_mov_b32_e32 v21, s15
	v_addc_co_u32_e32 v19, vcc, v21, v19, vcc
	global_load_dword v20, v[18:19], off
	v_add_co_u32_e32 v16, vcc, s2, v16
	v_addc_co_u32_e32 v17, vcc, v30, v17, vcc
	global_load_dword v33, v[16:17], off
	v_mad_u64_u32 v[16:17], s[0:1], s4, 9, v[0:1]
	v_mov_b32_e32 v17, v1
	s_waitcnt vmcnt(1)
	v_mul_f32_e32 v20, v20, v34
	global_store_dword v[18:19], v20, off
	v_lshlrev_b64 v[17:18], 2, v[16:17]
	v_add_co_u32_e32 v19, vcc, s12, v17
	v_addc_co_u32_e32 v20, vcc, v26, v18, vcc
	global_load_dword v0, v[19:20], off
	s_waitcnt vmcnt(0)
	v_div_scale_f32 v34, s[0:1], v0, v0, 1.0
	v_rcp_f32_e32 v35, v34
	v_fma_f32 v36, -v34, v35, 1.0
	v_fmac_f32_e32 v35, v36, v35
	v_div_scale_f32 v36, vcc, 1.0, v0, 1.0
	v_mul_f32_e32 v37, v36, v35
	v_fma_f32 v38, -v34, v37, v36
	v_fmac_f32_e32 v37, v38, v35
	v_fma_f32 v34, -v34, v37, v36
	v_div_fmas_f32 v34, v34, v35, v37
	v_div_fixup_f32 v34, v34, v0, 1.0
	v_mul_f32_e32 v34, v24, v34
	v_mul_f32_e32 v35, v33, v34
	v_fma_f32 v33, v33, v34, 1.0
	v_div_scale_f32 v34, s[0:1], v33, v33, 1.0
	v_rcp_f32_e32 v36, v34
	v_fma_f32 v37, -v34, v36, 1.0
	v_fmac_f32_e32 v36, v37, v36
	v_div_scale_f32 v37, vcc, 1.0, v33, 1.0
	v_mul_f32_e32 v38, v37, v36
	v_fma_f32 v39, -v34, v38, v37
	v_fmac_f32_e32 v38, v39, v36
	v_fma_f32 v34, -v34, v38, v37
	v_div_fmas_f32 v34, v34, v36, v38
	v_div_fixup_f32 v33, v34, v33, 1.0
	v_max_f32_e32 v34, 0x800000, v35
	v_cmp_gt_f32_e32 vcc, s6, v34
	v_mul_f32_e32 v33, v35, v33
	v_cndmask_b32_e64 v35, 0, 32, vcc
	v_ldexp_f32 v34, v34, v35
	v_log_f32_e32 v34, v34
	v_mul_f32_e32 v35, 0x3e9a209a, v34
	v_fma_f32 v35, v34, s3, -v35
	v_fmac_f32_e32 v35, 0x3284fbcf, v34
	v_fmac_f32_e32 v35, 0x3e9a209a, v34
	v_cmp_lt_f32_e64 s[0:1], |v34|, s5
	v_cndmask_b32_e64 v34, v34, v35, s[0:1]
	v_cndmask_b32_e32 v35, 0, v25, vcc
	v_sub_f32_e32 v34, v34, v35
	v_mul_f32_e32 v35, 0xbba655c4, v22
	v_mul_f32_e32 v36, 0x3fb8aa3b, v35
	v_fma_f32 v37, v35, s9, -v36
	v_rndne_f32_e32 v38, v36
	v_fmac_f32_e32 v37, 0x32a5705f, v35
	v_sub_f32_e32 v36, v36, v38
	v_add_f32_e32 v36, v36, v37
	v_exp_f32_e32 v36, v36
	v_cvt_i32_f32_e32 v37, v38
	v_cmp_ngt_f32_e32 vcc, s8, v35
	v_ldexp_f32 v36, v36, v37
	v_cndmask_b32_e32 v36, 0, v36, vcc
	v_cmp_nlt_f32_e32 vcc, s7, v35
	v_cndmask_b32_e32 v35, v23, v36, vcc
	v_mul_f32_e32 v36, 0xba2a392f, v22
	v_mul_f32_e32 v37, 0x3fb8aa3b, v36
	v_fma_f32 v38, v36, s9, -v37
	v_rndne_f32_e32 v39, v37
	v_fmac_f32_e32 v38, 0x32a5705f, v36
	v_sub_f32_e32 v37, v37, v39
	v_add_f32_e32 v37, v37, v38
	v_exp_f32_e32 v37, v37
	v_cvt_i32_f32_e32 v38, v39
	v_cmp_ngt_f32_e32 vcc, s8, v36
	v_ldexp_f32 v37, v37, v38
	v_cndmask_b32_e32 v37, 0, v37, vcc
	v_cmp_nlt_f32_e32 vcc, s7, v36
	v_cndmask_b32_e32 v36, v23, v37, vcc
	v_mul_f32_e32 v36, 0x3f6e978d, v36
	v_fmac_f32_e32 v36, 0x3d8b4396, v35
	v_mul_f32_e32 v35, 0xc620f000, v31
	v_mul_f32_e32 v37, 0x3fb8aa3b, v35
	v_fma_f32 v38, v35, s9, -v37
	v_rndne_f32_e32 v39, v37
	v_fmac_f32_e32 v38, 0x32a5705f, v35
	v_sub_f32_e32 v37, v37, v39
	v_add_f32_e32 v37, v37, v38
	v_exp_f32_e32 v37, v37
	v_cvt_i32_f32_e32 v38, v39
	v_cmp_ngt_f32_e32 vcc, s8, v35
	v_ldexp_f32 v37, v37, v38
	v_cndmask_b32_e32 v37, 0, v37, vcc
	v_cmp_nlt_f32_e32 vcc, s7, v35
	v_cndmask_b32_e32 v35, v23, v37, vcc
	v_add_f32_e32 v35, v35, v36
	v_max_f32_e32 v35, 0x800000, v35
	v_cmp_gt_f32_e32 vcc, s6, v35
	v_cndmask_b32_e64 v36, 0, 32, vcc
	v_ldexp_f32 v35, v35, v36
	v_log_f32_e32 v35, v35
	v_mov_b32_e32 v37, 0x3ecccccd
	v_mul_f32_e32 v36, 0x3e9a209a, v35
	v_fma_f32 v36, v35, s3, -v36
	v_fmac_f32_e32 v36, 0x3284fbcf, v35
	v_fmac_f32_e32 v36, 0x3e9a209a, v35
	v_cmp_lt_f32_e64 s[0:1], |v35|, s5
	v_cndmask_b32_e64 v35, v35, v36, s[0:1]
	v_cndmask_b32_e32 v36, 0, v25, vcc
	v_sub_f32_e32 v35, v35, v36
	v_mov_b32_e32 v36, 0x3f400000
	v_fmac_f32_e32 v37, 0x3f2b851f, v35
	v_fmac_f32_e32 v36, 0xbfa28f5c, v35
	v_sub_f32_e32 v34, v34, v37
	v_fmac_f32_e32 v36, 0xbe0f5c29, v34
	v_div_scale_f32 v37, s[0:1], v36, v36, 1.0
	v_rcp_f32_e32 v38, v37
	v_fma_f32 v39, -v37, v38, 1.0
	v_fmac_f32_e32 v38, v39, v38
	v_div_scale_f32 v39, vcc, 1.0, v36, 1.0
	v_mul_f32_e32 v40, v39, v38
	v_fma_f32 v41, -v37, v40, v39
	v_fmac_f32_e32 v40, v41, v38
	v_fma_f32 v37, -v37, v40, v39
	v_div_fmas_f32 v37, v37, v38, v40
	v_div_fixup_f32 v36, v37, v36, 1.0
	v_mul_f32_e32 v34, v34, v36
	v_fma_f32 v34, v34, v34, 1.0
	v_div_scale_f32 v36, s[0:1], v34, v34, 1.0
	s_mul_i32 s0, s4, 0xffffffe4
	v_rcp_f32_e32 v37, v36
	v_fma_f32 v38, -v36, v37, 1.0
	v_fmac_f32_e32 v37, v38, v37
	v_div_scale_f32 v38, vcc, 1.0, v34, 1.0
	v_mul_f32_e32 v39, v38, v37
	v_fma_f32 v40, -v36, v39, v38
	v_fmac_f32_e32 v39, v40, v37
	v_fma_f32 v36, -v36, v39, v38
	v_div_fmas_f32 v36, v36, v37, v39
	v_div_fixup_f32 v34, v36, v34, 1.0
	v_mul_f32_e32 v34, v35, v34
	v_mul_f32_e32 v35, 0x40549a78, v34
	v_fma_f32 v36, v34, s10, -v35
	v_rndne_f32_e32 v37, v35
	v_fmac_f32_e32 v36, 0x33979a37, v34
	v_sub_f32_e32 v35, v35, v37
	v_add_f32_e32 v35, v35, v36
	v_exp_f32_e32 v35, v35
	v_cvt_i32_f32_e32 v36, v37
	v_cmp_ngt_f32_e32 vcc, s11, v34
	v_ldexp_f32 v35, v35, v36
	v_cndmask_b32_e32 v35, 0, v35, vcc
	v_cmp_nlt_f32_e32 vcc, s13, v34
	v_cndmask_b32_e32 v34, v23, v35, vcc
	v_mul_f32_e32 v33, v33, v34
	v_add_co_u32_e32 v17, vcc, s14, v17
	v_mul_f32_e32 v0, v0, v33
	v_addc_co_u32_e32 v18, vcc, v21, v18, vcc
	global_store_dword v[19:20], v0, off
	global_load_dword v0, v[17:18], off
	s_waitcnt vmcnt(0)
	v_mul_f32_e32 v0, v0, v33
	global_store_dword v[17:18], v0, off
	v_add_u32_e32 v0, s0, v16
	v_lshlrev_b64 v[16:17], 2, v[0:1]
	v_add_co_u32_e32 v16, vcc, s2, v16
	v_addc_co_u32_e32 v17, vcc, v30, v17, vcc
	global_load_dword v33, v[16:17], off
	v_mad_u64_u32 v[16:17], s[0:1], s4, 36, v[0:1]
	v_mov_b32_e32 v17, v1
	v_lshlrev_b64 v[17:18], 2, v[16:17]
	v_add_co_u32_e32 v19, vcc, s12, v17
	v_addc_co_u32_e32 v20, vcc, v26, v18, vcc
	global_load_dword v0, v[19:20], off
	s_waitcnt vmcnt(0)
	v_div_scale_f32 v34, s[0:1], v0, v0, 1.0
	v_rcp_f32_e32 v35, v34
	v_fma_f32 v36, -v34, v35, 1.0
	v_fmac_f32_e32 v35, v36, v35
	v_div_scale_f32 v36, vcc, 1.0, v0, 1.0
	v_mul_f32_e32 v37, v36, v35
	v_fma_f32 v38, -v34, v37, v36
	v_fmac_f32_e32 v37, v38, v35
	v_fma_f32 v34, -v34, v37, v36
	v_div_fmas_f32 v34, v34, v35, v37
	v_div_fixup_f32 v34, v34, v0, 1.0
	v_mul_f32_e32 v34, v24, v34
	v_mul_f32_e32 v35, v33, v34
	v_fma_f32 v33, v33, v34, 1.0
	v_div_scale_f32 v34, s[0:1], v33, v33, 1.0
	v_rcp_f32_e32 v36, v34
	v_fma_f32 v37, -v34, v36, 1.0
	v_fmac_f32_e32 v36, v37, v36
	v_div_scale_f32 v37, vcc, 1.0, v33, 1.0
	v_mul_f32_e32 v38, v37, v36
	v_fma_f32 v39, -v34, v38, v37
	v_fmac_f32_e32 v38, v39, v36
	v_fma_f32 v34, -v34, v38, v37
	v_div_fmas_f32 v34, v34, v36, v38
	v_div_fixup_f32 v33, v34, v33, 1.0
	v_max_f32_e32 v34, 0x800000, v35
	v_cmp_gt_f32_e32 vcc, s6, v34
	v_mul_f32_e32 v33, v35, v33
	v_cndmask_b32_e64 v35, 0, 32, vcc
	v_ldexp_f32 v34, v34, v35
	v_log_f32_e32 v34, v34
	v_mul_f32_e32 v35, 0x3e9a209a, v34
	v_fma_f32 v35, v34, s3, -v35
	v_fmac_f32_e32 v35, 0x3284fbcf, v34
	v_fmac_f32_e32 v35, 0x3e9a209a, v34
	v_cmp_lt_f32_e64 s[0:1], |v34|, s5
	v_cndmask_b32_e64 v34, v34, v35, s[0:1]
	v_cndmask_b32_e32 v35, 0, v25, vcc
	v_sub_f32_e32 v34, v34, v35
	v_mul_f32_e32 v35, 0xbb8a42f8, v22
	v_mul_f32_e32 v36, 0x3fb8aa3b, v35
	v_fma_f32 v37, v35, s9, -v36
	v_rndne_f32_e32 v38, v36
	v_fmac_f32_e32 v37, 0x32a5705f, v35
	v_sub_f32_e32 v36, v36, v38
	v_add_f32_e32 v36, v36, v37
	v_exp_f32_e32 v36, v36
	v_cvt_i32_f32_e32 v37, v38
	v_cmp_ngt_f32_e32 vcc, s8, v35
	v_ldexp_f32 v36, v36, v37
	v_cndmask_b32_e32 v36, 0, v36, vcc
	v_cmp_nlt_f32_e32 vcc, s7, v35
	v_cndmask_b32_e32 v35, v23, v36, vcc
	v_mul_f32_e32 v36, 0xba1eaecd, v22
	v_mul_f32_e32 v37, 0x3fb8aa3b, v36
	v_fma_f32 v38, v36, s9, -v37
	v_rndne_f32_e32 v39, v37
	v_fmac_f32_e32 v38, 0x32a5705f, v36
	v_sub_f32_e32 v37, v37, v39
	v_add_f32_e32 v37, v37, v38
	v_exp_f32_e32 v37, v37
	v_cvt_i32_f32_e32 v38, v39
	v_cmp_ngt_f32_e32 vcc, s8, v36
	v_ldexp_f32 v37, v37, v38
	v_cndmask_b32_e32 v37, 0, v37, vcc
	v_cmp_nlt_f32_e32 vcc, s7, v36
	v_cndmask_b32_e32 v36, v23, v37, vcc
	v_mul_f32_e32 v36, 0x3f136113, v36
	v_fmac_f32_e32 v36, 0x3ed93dd9, v35
	v_mul_f32_e32 v35, 0xc59e6800, v31
	v_mul_f32_e32 v37, 0x3fb8aa3b, v35
	v_fma_f32 v38, v35, s9, -v37
	v_rndne_f32_e32 v39, v37
	v_fmac_f32_e32 v38, 0x32a5705f, v35
	v_sub_f32_e32 v37, v37, v39
	v_add_f32_e32 v37, v37, v38
	v_exp_f32_e32 v37, v37
	v_cvt_i32_f32_e32 v38, v39
	v_cmp_ngt_f32_e32 vcc, s8, v35
	v_ldexp_f32 v37, v37, v38
	v_cndmask_b32_e32 v37, 0, v37, vcc
	v_cmp_nlt_f32_e32 vcc, s7, v35
	v_cndmask_b32_e32 v35, v23, v37, vcc
	v_add_f32_e32 v35, v35, v36
	v_max_f32_e32 v35, 0x800000, v35
	v_cmp_gt_f32_e32 vcc, s6, v35
	v_cndmask_b32_e64 v36, 0, 32, vcc
	v_ldexp_f32 v35, v35, v36
	v_log_f32_e32 v35, v35
	v_mov_b32_e32 v37, 0x3ecccccd
	v_mul_f32_e32 v36, 0x3e9a209a, v35
	v_fma_f32 v36, v35, s3, -v36
	v_fmac_f32_e32 v36, 0x3284fbcf, v35
	v_fmac_f32_e32 v36, 0x3e9a209a, v35
	v_cmp_lt_f32_e64 s[0:1], |v35|, s5
	v_cndmask_b32_e64 v35, v35, v36, s[0:1]
	v_cndmask_b32_e32 v36, 0, v25, vcc
	v_sub_f32_e32 v35, v35, v36
	v_mov_b32_e32 v36, 0x3f400000
	v_fmac_f32_e32 v37, 0x3f2b851f, v35
	v_fmac_f32_e32 v36, 0xbfa28f5c, v35
	v_sub_f32_e32 v34, v34, v37
	v_fmac_f32_e32 v36, 0xbe0f5c29, v34
	v_div_scale_f32 v37, s[0:1], v36, v36, 1.0
	v_rcp_f32_e32 v38, v37
	v_fma_f32 v39, -v37, v38, 1.0
	v_fmac_f32_e32 v38, v39, v38
	v_div_scale_f32 v39, vcc, 1.0, v36, 1.0
	v_mul_f32_e32 v40, v39, v38
	v_fma_f32 v41, -v37, v40, v39
	v_fmac_f32_e32 v40, v41, v38
	v_fma_f32 v37, -v37, v40, v39
	v_div_fmas_f32 v37, v37, v38, v40
	v_div_fixup_f32 v36, v37, v36, 1.0
	v_mul_f32_e32 v34, v34, v36
	v_fma_f32 v34, v34, v34, 1.0
	v_div_scale_f32 v36, s[0:1], v34, v34, 1.0
	v_rcp_f32_e32 v37, v36
	v_fma_f32 v38, -v36, v37, 1.0
	v_fmac_f32_e32 v37, v38, v37
	v_div_scale_f32 v38, vcc, 1.0, v34, 1.0
	v_mul_f32_e32 v39, v38, v37
	v_fma_f32 v40, -v36, v39, v38
	v_fmac_f32_e32 v39, v40, v37
	v_fma_f32 v36, -v36, v39, v38
	v_div_fmas_f32 v36, v36, v37, v39
	v_div_fixup_f32 v34, v36, v34, 1.0
	v_mul_f32_e32 v34, v35, v34
	v_mul_f32_e32 v35, 0x40549a78, v34
	v_fma_f32 v36, v34, s10, -v35
	v_rndne_f32_e32 v37, v35
	v_fmac_f32_e32 v36, 0x33979a37, v34
	v_sub_f32_e32 v35, v35, v37
	v_add_f32_e32 v35, v35, v36
	v_exp_f32_e32 v35, v35
	v_cvt_i32_f32_e32 v36, v37
	v_cmp_ngt_f32_e32 vcc, s11, v34
	v_ldexp_f32 v35, v35, v36
	v_cndmask_b32_e32 v35, 0, v35, vcc
	v_cmp_nlt_f32_e32 vcc, s13, v34
	v_cndmask_b32_e32 v34, v23, v35, vcc
	v_mul_f32_e32 v33, v33, v34
	v_add_co_u32_e32 v17, vcc, s14, v17
	v_mul_f32_e32 v0, v0, v33
	v_addc_co_u32_e32 v18, vcc, v21, v18, vcc
	global_store_dword v[19:20], v0, off
	global_load_dword v0, v[17:18], off
	v_add_co_u32_e32 v14, vcc, s2, v14
	v_addc_co_u32_e32 v15, vcc, v30, v15, vcc
	global_load_dword v19, v[14:15], off
	s_waitcnt vmcnt(1)
	v_mul_f32_e32 v0, v0, v33
	global_store_dword v[17:18], v0, off
	v_lshl_add_u32 v0, s4, 1, v16
	v_lshlrev_b64 v[14:15], 2, v[0:1]
	v_add_co_u32_e32 v16, vcc, s12, v14
	v_addc_co_u32_e32 v17, vcc, v26, v15, vcc
	global_load_dword v18, v[16:17], off
	s_waitcnt vmcnt(0)
	v_div_scale_f32 v20, s[0:1], v18, v18, 1.0
	v_rcp_f32_e32 v33, v20
	v_fma_f32 v34, -v20, v33, 1.0
	v_fmac_f32_e32 v33, v34, v33
	v_div_scale_f32 v34, vcc, 1.0, v18, 1.0
	v_mul_f32_e32 v35, v34, v33
	v_fma_f32 v36, -v20, v35, v34
	v_fmac_f32_e32 v35, v36, v33
	v_fma_f32 v20, -v20, v35, v34
	v_div_fmas_f32 v20, v20, v33, v35
	v_div_fixup_f32 v20, v20, v18, 1.0
	v_mul_f32_e32 v20, v24, v20
	v_mul_f32_e32 v33, v19, v20
	v_fma_f32 v19, v19, v20, 1.0
	v_div_scale_f32 v20, s[0:1], v19, v19, 1.0
	v_rcp_f32_e32 v34, v20
	v_fma_f32 v35, -v20, v34, 1.0
	v_fmac_f32_e32 v34, v35, v34
	v_div_scale_f32 v35, vcc, 1.0, v19, 1.0
	v_mul_f32_e32 v36, v35, v34
	v_fma_f32 v37, -v20, v36, v35
	v_fmac_f32_e32 v36, v37, v34
	v_fma_f32 v20, -v20, v36, v35
	v_div_fmas_f32 v20, v20, v34, v36
	v_div_fixup_f32 v19, v20, v19, 1.0
	v_max_f32_e32 v20, 0x800000, v33
	v_cmp_gt_f32_e32 vcc, s6, v20
	v_mul_f32_e32 v19, v33, v19
	v_cndmask_b32_e64 v33, 0, 32, vcc
	v_ldexp_f32 v20, v20, v33
	v_log_f32_e32 v20, v20
	v_mul_f32_e32 v33, 0x3e9a209a, v20
	v_fma_f32 v33, v20, s3, -v33
	v_fmac_f32_e32 v33, 0x3284fbcf, v20
	v_fmac_f32_e32 v33, 0x3e9a209a, v20
	v_cmp_lt_f32_e64 s[0:1], |v20|, s5
	v_cndmask_b32_e64 v20, v20, v33, s[0:1]
	v_cndmask_b32_e32 v33, 0, v25, vcc
	v_sub_f32_e32 v20, v20, v33
	v_mul_f32_e32 v33, 0xbb71d48c, v22
	v_mul_f32_e32 v34, 0x3fb8aa3b, v33
	v_fma_f32 v35, v33, s9, -v34
	v_rndne_f32_e32 v36, v34
	v_fmac_f32_e32 v35, 0x32a5705f, v33
	v_sub_f32_e32 v34, v34, v36
	v_add_f32_e32 v34, v34, v35
	v_exp_f32_e32 v34, v34
	v_cvt_i32_f32_e32 v35, v36
	v_cmp_ngt_f32_e32 vcc, s8, v33
	v_ldexp_f32 v34, v34, v35
	v_cndmask_b32_e32 v34, 0, v34, vcc
	v_cmp_nlt_f32_e32 vcc, s7, v33
	v_cndmask_b32_e32 v33, v23, v34, vcc
	v_mul_f32_e32 v34, 0xb9be4dde, v22
	v_mul_f32_e32 v35, 0x3fb8aa3b, v34
	v_fma_f32 v36, v34, s9, -v35
	v_rndne_f32_e32 v37, v35
	v_fmac_f32_e32 v36, 0x32a5705f, v34
	v_sub_f32_e32 v35, v35, v37
	v_add_f32_e32 v35, v35, v36
	v_exp_f32_e32 v35, v35
	v_cvt_i32_f32_e32 v36, v37
	v_cmp_ngt_f32_e32 vcc, s8, v34
	v_ldexp_f32 v35, v35, v36
	v_cndmask_b32_e32 v35, 0, v35, vcc
	v_cmp_nlt_f32_e32 vcc, s7, v34
	v_cndmask_b32_e32 v34, v23, v35, vcc
	v_mul_f32_e32 v34, 0x3f484b5e, v34
	v_fmac_f32_e32 v34, 0x3e5ed289, v33
	v_mul_f32_e32 v33, 0xc5cd5000, v31
	v_mul_f32_e32 v35, 0x3fb8aa3b, v33
	v_fma_f32 v36, v33, s9, -v35
	v_rndne_f32_e32 v37, v35
	v_fmac_f32_e32 v36, 0x32a5705f, v33
	v_sub_f32_e32 v35, v35, v37
	v_add_f32_e32 v35, v35, v36
	v_exp_f32_e32 v35, v35
	v_cvt_i32_f32_e32 v36, v37
	v_cmp_ngt_f32_e32 vcc, s8, v33
	v_ldexp_f32 v35, v35, v36
	v_cndmask_b32_e32 v35, 0, v35, vcc
	v_cmp_nlt_f32_e32 vcc, s7, v33
	v_cndmask_b32_e32 v33, v23, v35, vcc
	v_add_f32_e32 v33, v33, v34
	v_max_f32_e32 v33, 0x800000, v33
	v_cmp_gt_f32_e32 vcc, s6, v33
	v_cndmask_b32_e64 v34, 0, 32, vcc
	v_ldexp_f32 v33, v33, v34
	v_log_f32_e32 v33, v33
	v_mov_b32_e32 v35, 0x3ecccccd
	v_mul_f32_e32 v34, 0x3e9a209a, v33
	v_fma_f32 v34, v33, s3, -v34
	v_fmac_f32_e32 v34, 0x3284fbcf, v33
	v_fmac_f32_e32 v34, 0x3e9a209a, v33
	v_cmp_lt_f32_e64 s[0:1], |v33|, s5
	v_cndmask_b32_e64 v33, v33, v34, s[0:1]
	v_cndmask_b32_e32 v34, 0, v25, vcc
	v_sub_f32_e32 v33, v33, v34
	v_mov_b32_e32 v34, 0x3f400000
	v_fmac_f32_e32 v35, 0x3f2b851f, v33
	v_fmac_f32_e32 v34, 0xbfa28f5c, v33
	v_sub_f32_e32 v20, v20, v35
	v_fmac_f32_e32 v34, 0xbe0f5c29, v20
	v_div_scale_f32 v35, s[0:1], v34, v34, 1.0
	v_rcp_f32_e32 v36, v35
	v_fma_f32 v37, -v35, v36, 1.0
	v_fmac_f32_e32 v36, v37, v36
	v_div_scale_f32 v37, vcc, 1.0, v34, 1.0
	v_mul_f32_e32 v38, v37, v36
	v_fma_f32 v39, -v35, v38, v37
	v_fmac_f32_e32 v38, v39, v36
	v_fma_f32 v35, -v35, v38, v37
	v_div_fmas_f32 v35, v35, v36, v38
	v_div_fixup_f32 v34, v35, v34, 1.0
	v_mul_f32_e32 v20, v20, v34
	v_fma_f32 v20, v20, v20, 1.0
	v_div_scale_f32 v34, s[0:1], v20, v20, 1.0
	s_mul_i32 s0, s4, 0xffffffdc
	v_add_u32_e32 v0, s0, v0
	v_rcp_f32_e32 v35, v34
	v_fma_f32 v36, -v34, v35, 1.0
	v_fmac_f32_e32 v35, v36, v35
	v_div_scale_f32 v36, vcc, 1.0, v20, 1.0
	v_mul_f32_e32 v37, v36, v35
	v_fma_f32 v38, -v34, v37, v36
	v_fmac_f32_e32 v37, v38, v35
	v_fma_f32 v34, -v34, v37, v36
	v_div_fmas_f32 v34, v34, v35, v37
	v_div_fixup_f32 v20, v34, v20, 1.0
	v_mul_f32_e32 v20, v33, v20
	v_mul_f32_e32 v33, 0x40549a78, v20
	v_fma_f32 v34, v20, s10, -v33
	v_rndne_f32_e32 v35, v33
	v_fmac_f32_e32 v34, 0x33979a37, v20
	v_sub_f32_e32 v33, v33, v35
	v_add_f32_e32 v33, v33, v34
	v_exp_f32_e32 v33, v33
	v_cvt_i32_f32_e32 v34, v35
	v_cmp_ngt_f32_e32 vcc, s11, v20
	v_ldexp_f32 v33, v33, v34
	v_cndmask_b32_e32 v33, 0, v33, vcc
	v_cmp_nlt_f32_e32 vcc, s13, v20
	v_cndmask_b32_e32 v20, v23, v33, vcc
	v_mul_f32_e32 v19, v19, v20
	v_add_co_u32_e32 v14, vcc, s14, v14
	v_mul_f32_e32 v18, v18, v19
	v_addc_co_u32_e32 v15, vcc, v21, v15, vcc
	global_store_dword v[16:17], v18, off
	global_load_dword v16, v[14:15], off
	s_waitcnt vmcnt(0)
	v_mul_f32_e32 v16, v16, v19
	global_store_dword v[14:15], v16, off
	v_lshlrev_b64 v[14:15], 2, v[0:1]
	v_add_co_u32_e32 v14, vcc, s2, v14
	v_addc_co_u32_e32 v15, vcc, v30, v15, vcc
	global_load_dword v19, v[14:15], off
	v_mad_u64_u32 v[14:15], s[0:1], s4, 43, v[0:1]
	v_mov_b32_e32 v15, v1
	v_lshlrev_b64 v[15:16], 2, v[14:15]
	v_add_co_u32_e32 v17, vcc, s12, v15
	v_addc_co_u32_e32 v18, vcc, v26, v16, vcc
	global_load_dword v0, v[17:18], off
	s_waitcnt vmcnt(0)
	v_div_scale_f32 v20, s[0:1], v0, v0, 1.0
	v_rcp_f32_e32 v33, v20
	v_fma_f32 v34, -v20, v33, 1.0
	v_fmac_f32_e32 v33, v34, v33
	v_div_scale_f32 v34, vcc, 1.0, v0, 1.0
	v_mul_f32_e32 v35, v34, v33
	v_fma_f32 v36, -v20, v35, v34
	v_fmac_f32_e32 v35, v36, v33
	v_fma_f32 v20, -v20, v35, v34
	v_div_fmas_f32 v20, v20, v33, v35
	v_div_fixup_f32 v20, v20, v0, 1.0
	v_mul_f32_e32 v20, v24, v20
	v_mul_f32_e32 v33, v19, v20
	v_fma_f32 v19, v19, v20, 1.0
	v_div_scale_f32 v20, s[0:1], v19, v19, 1.0
	v_rcp_f32_e32 v34, v20
	v_fma_f32 v35, -v20, v34, 1.0
	v_fmac_f32_e32 v34, v35, v34
	v_div_scale_f32 v35, vcc, 1.0, v19, 1.0
	v_mul_f32_e32 v36, v35, v34
	v_fma_f32 v37, -v20, v36, v35
	v_fmac_f32_e32 v36, v37, v34
	v_fma_f32 v20, -v20, v36, v35
	v_div_fmas_f32 v20, v20, v34, v36
	v_div_fixup_f32 v19, v20, v19, 1.0
	v_max_f32_e32 v20, 0x800000, v33
	v_cmp_gt_f32_e32 vcc, s6, v20
	v_mul_f32_e32 v19, v33, v19
	v_cndmask_b32_e64 v33, 0, 32, vcc
	v_ldexp_f32 v20, v20, v33
	v_log_f32_e32 v20, v20
	v_mul_f32_e32 v33, 0x3e9a209a, v20
	v_fma_f32 v33, v20, s3, -v33
	v_fmac_f32_e32 v33, 0x3284fbcf, v20
	v_fmac_f32_e32 v33, 0x3e9a209a, v20
	v_cmp_lt_f32_e64 s[0:1], |v20|, s5
	v_cndmask_b32_e64 v20, v20, v33, s[0:1]
	v_cndmask_b32_e32 v33, 0, v25, vcc
	v_sub_f32_e32 v20, v20, v33
	v_mul_f32_e32 v33, 0xbc520d21, v22
	v_mul_f32_e32 v34, 0x3fb8aa3b, v33
	v_fma_f32 v35, v33, s9, -v34
	v_rndne_f32_e32 v36, v34
	v_fmac_f32_e32 v35, 0x32a5705f, v33
	v_sub_f32_e32 v34, v34, v36
	v_add_f32_e32 v34, v34, v35
	v_exp_f32_e32 v34, v34
	v_cvt_i32_f32_e32 v35, v36
	v_cmp_ngt_f32_e32 vcc, s8, v33
	v_ldexp_f32 v34, v34, v35
	v_cndmask_b32_e32 v34, 0, v34, vcc
	v_cmp_nlt_f32_e32 vcc, s7, v33
	v_cndmask_b32_e32 v33, v23, v34, vcc
	v_mul_f32_e32 v34, 0xba036687, v22
	v_mul_f32_e32 v35, 0x3fb8aa3b, v34
	v_fma_f32 v36, v34, s9, -v35
	v_rndne_f32_e32 v37, v35
	v_fmac_f32_e32 v36, 0x32a5705f, v34
	v_sub_f32_e32 v35, v35, v37
	v_add_f32_e32 v35, v35, v36
	v_exp_f32_e32 v35, v35
	v_cvt_i32_f32_e32 v36, v37
	v_cmp_ngt_f32_e32 vcc, s8, v34
	v_ldexp_f32 v35, v35, v36
	v_cndmask_b32_e32 v35, 0, v35, vcc
	v_cmp_nlt_f32_e32 vcc, s7, v34
	v_cndmask_b32_e32 v34, v23, v35, vcc
	v_mul_f32_e32 v34, 0x3f2e147b, v34
	v_fmac_f32_e32 v34, 0x3ea3d70a, v33
	v_mul_f32_e32 v33, 0xc5aeb000, v31
	v_mul_f32_e32 v35, 0x3fb8aa3b, v33
	v_fma_f32 v36, v33, s9, -v35
	v_rndne_f32_e32 v37, v35
	v_fmac_f32_e32 v36, 0x32a5705f, v33
	v_sub_f32_e32 v35, v35, v37
	v_add_f32_e32 v35, v35, v36
	v_exp_f32_e32 v35, v35
	v_cvt_i32_f32_e32 v36, v37
	v_cmp_ngt_f32_e32 vcc, s8, v33
	v_ldexp_f32 v35, v35, v36
	v_cndmask_b32_e32 v35, 0, v35, vcc
	v_cmp_nlt_f32_e32 vcc, s7, v33
	v_cndmask_b32_e32 v33, v23, v35, vcc
	v_add_f32_e32 v33, v33, v34
	v_max_f32_e32 v33, 0x800000, v33
	v_cmp_gt_f32_e32 vcc, s6, v33
	v_cndmask_b32_e64 v34, 0, 32, vcc
	v_ldexp_f32 v33, v33, v34
	v_log_f32_e32 v33, v33
	v_mov_b32_e32 v35, 0x3ecccccd
	v_mul_f32_e32 v34, 0x3e9a209a, v33
	v_fma_f32 v34, v33, s3, -v34
	v_fmac_f32_e32 v34, 0x3284fbcf, v33
	v_fmac_f32_e32 v34, 0x3e9a209a, v33
	v_cmp_lt_f32_e64 s[0:1], |v33|, s5
	v_cndmask_b32_e64 v33, v33, v34, s[0:1]
	v_cndmask_b32_e32 v34, 0, v25, vcc
	v_sub_f32_e32 v33, v33, v34
	v_mov_b32_e32 v34, 0x3f400000
	v_fmac_f32_e32 v35, 0x3f2b851f, v33
	v_fmac_f32_e32 v34, 0xbfa28f5c, v33
	v_sub_f32_e32 v20, v20, v35
	v_fmac_f32_e32 v34, 0xbe0f5c29, v20
	v_div_scale_f32 v35, s[0:1], v34, v34, 1.0
	v_rcp_f32_e32 v36, v35
	v_fma_f32 v37, -v35, v36, 1.0
	v_fmac_f32_e32 v36, v37, v36
	v_div_scale_f32 v37, vcc, 1.0, v34, 1.0
	v_mul_f32_e32 v38, v37, v36
	v_fma_f32 v39, -v35, v38, v37
	v_fmac_f32_e32 v38, v39, v36
	v_fma_f32 v35, -v35, v38, v37
	v_div_fmas_f32 v35, v35, v36, v38
	v_div_fixup_f32 v34, v35, v34, 1.0
	v_mul_f32_e32 v20, v20, v34
	v_fma_f32 v20, v20, v20, 1.0
	v_div_scale_f32 v34, s[0:1], v20, v20, 1.0
	v_rcp_f32_e32 v35, v34
	v_fma_f32 v36, -v34, v35, 1.0
	v_fmac_f32_e32 v35, v36, v35
	v_div_scale_f32 v36, vcc, 1.0, v20, 1.0
	v_mul_f32_e32 v37, v36, v35
	v_fma_f32 v38, -v34, v37, v36
	v_fmac_f32_e32 v37, v38, v35
	v_fma_f32 v34, -v34, v37, v36
	v_div_fmas_f32 v34, v34, v35, v37
	v_div_fixup_f32 v20, v34, v20, 1.0
	v_mul_f32_e32 v20, v33, v20
	v_mul_f32_e32 v33, 0x40549a78, v20
	v_fma_f32 v34, v20, s10, -v33
	v_rndne_f32_e32 v35, v33
	v_fmac_f32_e32 v34, 0x33979a37, v20
	v_sub_f32_e32 v33, v33, v35
	v_add_f32_e32 v33, v33, v34
	v_exp_f32_e32 v33, v33
	v_cvt_i32_f32_e32 v34, v35
	v_cmp_ngt_f32_e32 vcc, s11, v20
	v_ldexp_f32 v33, v33, v34
	v_cndmask_b32_e32 v33, 0, v33, vcc
	v_cmp_nlt_f32_e32 vcc, s13, v20
	v_cndmask_b32_e32 v20, v23, v33, vcc
	v_mul_f32_e32 v19, v19, v20
	v_add_co_u32_e32 v15, vcc, s14, v15
	v_mul_f32_e32 v0, v0, v19
	v_addc_co_u32_e32 v16, vcc, v21, v16, vcc
	global_store_dword v[17:18], v0, off
	global_load_dword v0, v[15:16], off
	v_add_co_u32_e32 v12, vcc, s2, v12
	v_addc_co_u32_e32 v13, vcc, v30, v13, vcc
	global_load_dword v17, v[12:13], off
	s_waitcnt vmcnt(1)
	v_mul_f32_e32 v0, v0, v19
	global_store_dword v[15:16], v0, off
	v_lshl_add_u32 v0, s4, 3, v14
	v_lshlrev_b64 v[12:13], 2, v[0:1]
	v_add_co_u32_e32 v14, vcc, s12, v12
	v_addc_co_u32_e32 v15, vcc, v26, v13, vcc
	global_load_dword v16, v[14:15], off
	s_waitcnt vmcnt(0)
	v_div_scale_f32 v18, s[0:1], v16, v16, 1.0
	v_rcp_f32_e32 v19, v18
	v_fma_f32 v20, -v18, v19, 1.0
	v_fmac_f32_e32 v19, v20, v19
	v_div_scale_f32 v20, vcc, 1.0, v16, 1.0
	v_mul_f32_e32 v33, v20, v19
	v_fma_f32 v34, -v18, v33, v20
	v_fmac_f32_e32 v33, v34, v19
	v_fma_f32 v18, -v18, v33, v20
	v_div_fmas_f32 v18, v18, v19, v33
	v_div_fixup_f32 v18, v18, v16, 1.0
	v_mul_f32_e32 v18, v24, v18
	v_mul_f32_e32 v19, v17, v18
	v_fma_f32 v17, v17, v18, 1.0
	v_div_scale_f32 v18, s[0:1], v17, v17, 1.0
	v_rcp_f32_e32 v20, v18
	v_fma_f32 v33, -v18, v20, 1.0
	v_fmac_f32_e32 v20, v33, v20
	v_div_scale_f32 v33, vcc, 1.0, v17, 1.0
	v_mul_f32_e32 v34, v33, v20
	v_fma_f32 v35, -v18, v34, v33
	v_fmac_f32_e32 v34, v35, v20
	v_fma_f32 v18, -v18, v34, v33
	v_div_fmas_f32 v18, v18, v20, v34
	v_div_fixup_f32 v17, v18, v17, 1.0
	v_max_f32_e32 v18, 0x800000, v19
	v_cmp_gt_f32_e32 vcc, s6, v18
	v_mul_f32_e32 v17, v19, v17
	v_cndmask_b32_e64 v19, 0, 32, vcc
	v_ldexp_f32 v18, v18, v19
	v_log_f32_e32 v18, v18
	v_mul_f32_e32 v19, 0x3e9a209a, v18
	v_fma_f32 v19, v18, s3, -v19
	v_fmac_f32_e32 v19, 0x3284fbcf, v18
	v_fmac_f32_e32 v19, 0x3e9a209a, v18
	v_cmp_lt_f32_e64 s[0:1], |v18|, s5
	v_cndmask_b32_e64 v18, v18, v19, s[0:1]
	v_cndmask_b32_e32 v19, 0, v25, vcc
	v_sub_f32_e32 v18, v18, v19
	v_mul_f32_e32 v19, 0xbb6e500f, v22
	v_mul_f32_e32 v20, 0x3fb8aa3b, v19
	v_fma_f32 v33, v19, s9, -v20
	v_rndne_f32_e32 v34, v20
	v_fmac_f32_e32 v33, 0x32a5705f, v19
	v_sub_f32_e32 v20, v20, v34
	v_add_f32_e32 v20, v20, v33
	v_exp_f32_e32 v20, v20
	v_cvt_i32_f32_e32 v33, v34
	v_cmp_ngt_f32_e32 vcc, s8, v19
	v_ldexp_f32 v20, v20, v33
	v_cndmask_b32_e32 v20, 0, v20, vcc
	v_cmp_nlt_f32_e32 vcc, s7, v19
	v_cndmask_b32_e32 v19, v23, v20, vcc
	v_mul_f32_e32 v20, 0xba55d210, v22
	v_mul_f32_e32 v33, 0x3fb8aa3b, v20
	v_fma_f32 v34, v20, s9, -v33
	v_rndne_f32_e32 v35, v33
	v_fmac_f32_e32 v34, 0x32a5705f, v20
	v_sub_f32_e32 v33, v33, v35
	v_add_f32_e32 v33, v33, v34
	v_exp_f32_e32 v33, v33
	v_cvt_i32_f32_e32 v34, v35
	v_cmp_ngt_f32_e32 vcc, s8, v20
	v_ldexp_f32 v33, v33, v34
	v_cndmask_b32_e32 v33, 0, v33, vcc
	v_cmp_nlt_f32_e32 vcc, s7, v20
	v_cndmask_b32_e32 v20, v23, v33, vcc
	v_mul_f32_e32 v20, 0x3f17381d, v20
	v_fmac_f32_e32 v20, 0x3ed18fc5, v19
	v_mul_f32_e32 v19, 0xc5a20800, v31
	v_mul_f32_e32 v33, 0x3fb8aa3b, v19
	v_fma_f32 v34, v19, s9, -v33
	v_rndne_f32_e32 v35, v33
	v_fmac_f32_e32 v34, 0x32a5705f, v19
	v_sub_f32_e32 v33, v33, v35
	v_add_f32_e32 v33, v33, v34
	v_exp_f32_e32 v33, v33
	v_cvt_i32_f32_e32 v34, v35
	v_cmp_ngt_f32_e32 vcc, s8, v19
	v_ldexp_f32 v33, v33, v34
	v_cndmask_b32_e32 v33, 0, v33, vcc
	v_cmp_nlt_f32_e32 vcc, s7, v19
	v_cndmask_b32_e32 v19, v23, v33, vcc
	v_add_f32_e32 v19, v19, v20
	v_max_f32_e32 v19, 0x800000, v19
	v_cmp_gt_f32_e32 vcc, s6, v19
	v_cndmask_b32_e64 v20, 0, 32, vcc
	v_ldexp_f32 v19, v19, v20
	v_log_f32_e32 v19, v19
	v_mov_b32_e32 v33, 0x3ecccccd
	v_mul_f32_e32 v20, 0x3e9a209a, v19
	v_fma_f32 v20, v19, s3, -v20
	v_fmac_f32_e32 v20, 0x3284fbcf, v19
	v_fmac_f32_e32 v20, 0x3e9a209a, v19
	v_cmp_lt_f32_e64 s[0:1], |v19|, s5
	v_cndmask_b32_e64 v19, v19, v20, s[0:1]
	v_cndmask_b32_e32 v20, 0, v25, vcc
	v_sub_f32_e32 v19, v19, v20
	v_mov_b32_e32 v20, 0x3f400000
	v_fmac_f32_e32 v33, 0x3f2b851f, v19
	v_fmac_f32_e32 v20, 0xbfa28f5c, v19
	v_sub_f32_e32 v18, v18, v33
	v_fmac_f32_e32 v20, 0xbe0f5c29, v18
	v_div_scale_f32 v33, s[0:1], v20, v20, 1.0
	v_rcp_f32_e32 v34, v33
	v_fma_f32 v35, -v33, v34, 1.0
	v_fmac_f32_e32 v34, v35, v34
	v_div_scale_f32 v35, vcc, 1.0, v20, 1.0
	v_mul_f32_e32 v36, v35, v34
	v_fma_f32 v37, -v33, v36, v35
	v_fmac_f32_e32 v36, v37, v34
	v_fma_f32 v33, -v33, v36, v35
	v_div_fmas_f32 v33, v33, v34, v36
	v_div_fixup_f32 v20, v33, v20, 1.0
	v_mul_f32_e32 v18, v18, v20
	v_fma_f32 v18, v18, v18, 1.0
	v_div_scale_f32 v20, s[0:1], v18, v18, 1.0
	v_rcp_f32_e32 v33, v20
	v_fma_f32 v34, -v20, v33, 1.0
	v_fmac_f32_e32 v33, v34, v33
	v_div_scale_f32 v34, vcc, 1.0, v18, 1.0
	v_mul_f32_e32 v35, v34, v33
	v_fma_f32 v36, -v20, v35, v34
	v_fmac_f32_e32 v35, v36, v33
	v_fma_f32 v20, -v20, v35, v34
	v_div_fmas_f32 v20, v20, v33, v35
	v_div_fixup_f32 v18, v20, v18, 1.0
	v_mul_f32_e32 v18, v19, v18
	v_mul_f32_e32 v19, 0x40549a78, v18
	v_fma_f32 v20, v18, s10, -v19
	v_rndne_f32_e32 v33, v19
	v_fmac_f32_e32 v20, 0x33979a37, v18
	v_sub_f32_e32 v19, v19, v33
	v_add_f32_e32 v19, v19, v20
	v_exp_f32_e32 v19, v19
	v_cvt_i32_f32_e32 v20, v33
	v_cmp_ngt_f32_e32 vcc, s11, v18
	v_ldexp_f32 v19, v19, v20
	v_cndmask_b32_e32 v19, 0, v19, vcc
	v_cmp_nlt_f32_e32 vcc, s13, v18
	v_cndmask_b32_e32 v18, v23, v19, vcc
	v_mul_f32_e32 v17, v17, v18
	v_add_co_u32_e32 v12, vcc, s14, v12
	v_mul_f32_e32 v16, v16, v17
	v_addc_co_u32_e32 v13, vcc, v21, v13, vcc
	global_store_dword v[14:15], v16, off
	global_load_dword v14, v[12:13], off
	v_add_co_u32_e32 v10, vcc, s2, v10
	v_addc_co_u32_e32 v11, vcc, v30, v11, vcc
	global_load_dword v16, v[10:11], off
	v_mad_u64_u32 v[10:11], s[0:1], s4, 15, v[0:1]
	v_mov_b32_e32 v11, v1
	s_waitcnt vmcnt(1)
	v_mul_f32_e32 v14, v14, v17
	global_store_dword v[12:13], v14, off
	v_lshlrev_b64 v[12:13], 2, v[10:11]
	v_add_co_u32_e32 v14, vcc, s12, v12
	v_addc_co_u32_e32 v15, vcc, v26, v13, vcc
	global_load_dword v0, v[14:15], off
	s_waitcnt vmcnt(0)
	v_div_scale_f32 v17, s[0:1], v0, v0, 1.0
	v_rcp_f32_e32 v18, v17
	v_fma_f32 v19, -v17, v18, 1.0
	v_fmac_f32_e32 v18, v19, v18
	v_div_scale_f32 v19, vcc, 1.0, v0, 1.0
	v_mul_f32_e32 v20, v19, v18
	v_fma_f32 v33, -v17, v20, v19
	v_fmac_f32_e32 v20, v33, v18
	v_fma_f32 v17, -v17, v20, v19
	v_div_fmas_f32 v17, v17, v18, v20
	v_div_fixup_f32 v17, v17, v0, 1.0
	v_mul_f32_e32 v17, v24, v17
	v_mul_f32_e32 v18, v16, v17
	v_fma_f32 v16, v16, v17, 1.0
	v_div_scale_f32 v17, s[0:1], v16, v16, 1.0
	v_rcp_f32_e32 v19, v17
	v_fma_f32 v20, -v17, v19, 1.0
	v_fmac_f32_e32 v19, v20, v19
	v_div_scale_f32 v20, vcc, 1.0, v16, 1.0
	v_mul_f32_e32 v33, v20, v19
	v_fma_f32 v34, -v17, v33, v20
	v_fmac_f32_e32 v33, v34, v19
	v_fma_f32 v17, -v17, v33, v20
	v_div_fmas_f32 v17, v17, v19, v33
	v_div_fixup_f32 v16, v17, v16, 1.0
	v_max_f32_e32 v17, 0x800000, v18
	v_cmp_gt_f32_e32 vcc, s6, v17
	v_mul_f32_e32 v16, v18, v16
	v_cndmask_b32_e64 v18, 0, 32, vcc
	v_ldexp_f32 v17, v17, v18
	v_log_f32_e32 v17, v17
	v_mul_f32_e32 v18, 0x3e9a209a, v17
	v_fma_f32 v18, v17, s3, -v18
	v_fmac_f32_e32 v18, 0x3284fbcf, v17
	v_fmac_f32_e32 v18, 0x3e9a209a, v17
	v_cmp_lt_f32_e64 s[0:1], |v17|, s5
	v_cndmask_b32_e64 v17, v17, v18, s[0:1]
	v_cndmask_b32_e32 v18, 0, v25, vcc
	v_sub_f32_e32 v17, v17, v18
	v_mul_f32_e32 v18, 0xba2894d3, v22
	v_mul_f32_e32 v19, 0x3fb8aa3b, v18
	v_fma_f32 v20, v18, s9, -v19
	v_rndne_f32_e32 v33, v19
	v_fmac_f32_e32 v20, 0x32a5705f, v18
	v_sub_f32_e32 v19, v19, v33
	v_add_f32_e32 v19, v19, v20
	v_exp_f32_e32 v19, v19
	v_cvt_i32_f32_e32 v20, v33
	v_cmp_ngt_f32_e32 vcc, s8, v18
	v_ldexp_f32 v19, v19, v20
	v_cndmask_b32_e32 v19, 0, v19, vcc
	v_cmp_nlt_f32_e32 vcc, s7, v18
	v_cndmask_b32_e32 v18, v23, v19, vcc
	v_mul_f32_e32 v19, 0xc5834000, v31
	v_mul_f32_e32 v18, 0x3f420c4a, v18
	;; [unrolled: 1-line block ×3, first 2 shown]
	v_fmac_f32_e32 v18, 0x3e77ced9, v32
	v_fma_f32 v32, v19, s9, -v20
	v_rndne_f32_e32 v33, v20
	v_fmac_f32_e32 v32, 0x32a5705f, v19
	v_sub_f32_e32 v20, v20, v33
	v_add_f32_e32 v20, v20, v32
	v_exp_f32_e32 v20, v20
	v_cvt_i32_f32_e32 v32, v33
	v_cmp_ngt_f32_e32 vcc, s8, v19
	v_ldexp_f32 v20, v20, v32
	v_cndmask_b32_e32 v20, 0, v20, vcc
	v_cmp_nlt_f32_e32 vcc, s7, v19
	v_cndmask_b32_e32 v19, v23, v20, vcc
	v_add_f32_e32 v18, v19, v18
	v_max_f32_e32 v18, 0x800000, v18
	v_cmp_gt_f32_e32 vcc, s6, v18
	v_cndmask_b32_e64 v19, 0, 32, vcc
	v_ldexp_f32 v18, v18, v19
	v_log_f32_e32 v18, v18
	v_mov_b32_e32 v20, 0x3ecccccd
	v_mul_f32_e32 v19, 0x3e9a209a, v18
	v_fma_f32 v19, v18, s3, -v19
	v_fmac_f32_e32 v19, 0x3284fbcf, v18
	v_fmac_f32_e32 v19, 0x3e9a209a, v18
	v_cmp_lt_f32_e64 s[0:1], |v18|, s5
	v_cndmask_b32_e64 v18, v18, v19, s[0:1]
	v_cndmask_b32_e32 v19, 0, v25, vcc
	v_sub_f32_e32 v18, v18, v19
	v_mov_b32_e32 v19, 0x3f400000
	v_fmac_f32_e32 v20, 0x3f2b851f, v18
	v_fmac_f32_e32 v19, 0xbfa28f5c, v18
	v_sub_f32_e32 v17, v17, v20
	v_fmac_f32_e32 v19, 0xbe0f5c29, v17
	v_div_scale_f32 v20, s[0:1], v19, v19, 1.0
	v_rcp_f32_e32 v32, v20
	v_fma_f32 v33, -v20, v32, 1.0
	v_fmac_f32_e32 v32, v33, v32
	v_div_scale_f32 v33, vcc, 1.0, v19, 1.0
	v_mul_f32_e32 v34, v33, v32
	v_fma_f32 v35, -v20, v34, v33
	v_fmac_f32_e32 v34, v35, v32
	v_fma_f32 v20, -v20, v34, v33
	v_div_fmas_f32 v20, v20, v32, v34
	v_div_fixup_f32 v19, v20, v19, 1.0
	v_mul_f32_e32 v17, v17, v19
	v_fma_f32 v17, v17, v17, 1.0
	v_div_scale_f32 v19, s[0:1], v17, v17, 1.0
	v_rcp_f32_e32 v20, v19
	v_fma_f32 v32, -v19, v20, 1.0
	v_fmac_f32_e32 v20, v32, v20
	v_div_scale_f32 v32, vcc, 1.0, v17, 1.0
	v_mul_f32_e32 v33, v32, v20
	v_fma_f32 v34, -v19, v33, v32
	v_fmac_f32_e32 v33, v34, v20
	v_fma_f32 v19, -v19, v33, v32
	v_div_fmas_f32 v19, v19, v20, v33
	v_div_fixup_f32 v17, v19, v17, 1.0
	v_mul_f32_e32 v17, v18, v17
	v_mul_f32_e32 v18, 0x40549a78, v17
	v_fma_f32 v19, v17, s10, -v18
	v_rndne_f32_e32 v20, v18
	v_fmac_f32_e32 v19, 0x33979a37, v17
	v_sub_f32_e32 v18, v18, v20
	v_add_f32_e32 v18, v18, v19
	v_exp_f32_e32 v18, v18
	v_cvt_i32_f32_e32 v19, v20
	v_cmp_ngt_f32_e32 vcc, s11, v17
	v_ldexp_f32 v18, v18, v19
	v_cndmask_b32_e32 v18, 0, v18, vcc
	v_cmp_nlt_f32_e32 vcc, s13, v17
	v_cndmask_b32_e32 v17, v23, v18, vcc
	v_mul_f32_e32 v16, v16, v17
	v_add_co_u32_e32 v12, vcc, s14, v12
	v_mul_f32_e32 v0, v0, v16
	v_addc_co_u32_e32 v13, vcc, v21, v13, vcc
	global_store_dword v[14:15], v0, off
	global_load_dword v0, v[12:13], off
	v_add_co_u32_e32 v8, vcc, s2, v8
	v_addc_co_u32_e32 v9, vcc, v30, v9, vcc
	s_waitcnt vmcnt(0)
	v_mul_f32_e32 v0, v0, v16
	global_store_dword v[12:13], v0, off
	global_load_dword v13, v[8:9], off
	v_mad_u64_u32 v[8:9], s[0:1], s4, 7, v[10:11]
	v_mov_b32_e32 v9, v1
	v_lshlrev_b64 v[9:10], 2, v[8:9]
	v_add_co_u32_e32 v11, vcc, s12, v9
	v_addc_co_u32_e32 v12, vcc, v26, v10, vcc
	global_load_dword v0, v[11:12], off
	s_waitcnt vmcnt(0)
	v_div_scale_f32 v14, s[0:1], v0, v0, 1.0
	v_rcp_f32_e32 v15, v14
	v_fma_f32 v16, -v14, v15, 1.0
	v_fmac_f32_e32 v15, v16, v15
	v_div_scale_f32 v16, vcc, 1.0, v0, 1.0
	v_mul_f32_e32 v17, v16, v15
	v_fma_f32 v18, -v14, v17, v16
	v_fmac_f32_e32 v17, v18, v15
	v_fma_f32 v14, -v14, v17, v16
	v_div_fmas_f32 v14, v14, v15, v17
	v_div_fixup_f32 v14, v14, v0, 1.0
	v_mul_f32_e32 v14, v24, v14
	v_mul_f32_e32 v15, v13, v14
	v_fma_f32 v13, v13, v14, 1.0
	v_div_scale_f32 v14, s[0:1], v13, v13, 1.0
	v_rcp_f32_e32 v16, v14
	v_fma_f32 v17, -v14, v16, 1.0
	v_fmac_f32_e32 v16, v17, v16
	v_div_scale_f32 v17, vcc, 1.0, v13, 1.0
	v_mul_f32_e32 v18, v17, v16
	v_fma_f32 v19, -v14, v18, v17
	v_fmac_f32_e32 v18, v19, v16
	v_fma_f32 v14, -v14, v18, v17
	v_div_fmas_f32 v14, v14, v16, v18
	v_div_fixup_f32 v13, v14, v13, 1.0
	v_max_f32_e32 v14, 0x800000, v15
	v_cmp_gt_f32_e32 vcc, s6, v14
	v_mul_f32_e32 v13, v15, v13
	v_cndmask_b32_e64 v15, 0, 32, vcc
	v_ldexp_f32 v14, v14, v15
	v_log_f32_e32 v14, v14
	v_mul_f32_e32 v15, 0x3e9a209a, v14
	v_fma_f32 v15, v14, s3, -v15
	v_fmac_f32_e32 v15, 0x3284fbcf, v14
	v_fmac_f32_e32 v15, 0x3e9a209a, v14
	v_cmp_lt_f32_e64 s[0:1], |v14|, s5
	v_cndmask_b32_e64 v14, v14, v15, s[0:1]
	v_cndmask_b32_e32 v15, 0, v25, vcc
	v_sub_f32_e32 v14, v14, v15
	v_mul_f32_e32 v15, 0xbc5d67c9, v22
	v_mul_f32_e32 v16, 0x3fb8aa3b, v15
	v_fma_f32 v17, v15, s9, -v16
	v_rndne_f32_e32 v18, v16
	v_fmac_f32_e32 v17, 0x32a5705f, v15
	v_sub_f32_e32 v16, v16, v18
	v_add_f32_e32 v16, v16, v17
	v_exp_f32_e32 v16, v16
	v_cvt_i32_f32_e32 v17, v18
	v_cmp_ngt_f32_e32 vcc, s8, v15
	v_ldexp_f32 v16, v16, v17
	v_cndmask_b32_e32 v16, 0, v16, vcc
	v_cmp_nlt_f32_e32 vcc, s7, v15
	v_cndmask_b32_e32 v15, v23, v16, vcc
	v_mul_f32_e32 v16, 0xb9b244c4, v22
	v_mul_f32_e32 v17, 0x3fb8aa3b, v16
	v_fma_f32 v18, v16, s9, -v17
	v_rndne_f32_e32 v19, v17
	v_fmac_f32_e32 v18, 0x32a5705f, v16
	v_sub_f32_e32 v17, v17, v19
	v_add_f32_e32 v17, v17, v18
	v_exp_f32_e32 v17, v17
	v_cvt_i32_f32_e32 v18, v19
	v_cmp_ngt_f32_e32 vcc, s8, v16
	v_ldexp_f32 v17, v17, v18
	v_cndmask_b32_e32 v17, 0, v17, vcc
	v_cmp_nlt_f32_e32 vcc, s7, v16
	v_cndmask_b32_e32 v16, v23, v17, vcc
	v_mul_f32_e32 v16, 0x3f4872b0, v16
	v_fmac_f32_e32 v16, 0x3e5e353f, v15
	v_mul_f32_e32 v15, 0xc5d9a000, v31
	v_mul_f32_e32 v17, 0x3fb8aa3b, v15
	v_fma_f32 v18, v15, s9, -v17
	v_rndne_f32_e32 v19, v17
	v_fmac_f32_e32 v18, 0x32a5705f, v15
	v_sub_f32_e32 v17, v17, v19
	v_add_f32_e32 v17, v17, v18
	v_exp_f32_e32 v17, v17
	v_cvt_i32_f32_e32 v18, v19
	v_cmp_ngt_f32_e32 vcc, s8, v15
	v_ldexp_f32 v17, v17, v18
	v_cndmask_b32_e32 v17, 0, v17, vcc
	v_cmp_nlt_f32_e32 vcc, s7, v15
	v_cndmask_b32_e32 v15, v23, v17, vcc
	v_add_f32_e32 v15, v15, v16
	v_max_f32_e32 v15, 0x800000, v15
	v_cmp_gt_f32_e32 vcc, s6, v15
	v_cndmask_b32_e64 v16, 0, 32, vcc
	v_ldexp_f32 v15, v15, v16
	v_log_f32_e32 v15, v15
	v_mov_b32_e32 v17, 0x3ecccccd
	v_mul_f32_e32 v16, 0x3e9a209a, v15
	v_fma_f32 v16, v15, s3, -v16
	v_fmac_f32_e32 v16, 0x3284fbcf, v15
	v_fmac_f32_e32 v16, 0x3e9a209a, v15
	v_cmp_lt_f32_e64 s[0:1], |v15|, s5
	v_cndmask_b32_e64 v15, v15, v16, s[0:1]
	v_cndmask_b32_e32 v16, 0, v25, vcc
	v_sub_f32_e32 v15, v15, v16
	v_mov_b32_e32 v16, 0x3f400000
	v_fmac_f32_e32 v17, 0x3f2b851f, v15
	v_fmac_f32_e32 v16, 0xbfa28f5c, v15
	v_sub_f32_e32 v14, v14, v17
	v_fmac_f32_e32 v16, 0xbe0f5c29, v14
	v_div_scale_f32 v17, s[0:1], v16, v16, 1.0
	v_rcp_f32_e32 v18, v17
	v_fma_f32 v19, -v17, v18, 1.0
	v_fmac_f32_e32 v18, v19, v18
	v_div_scale_f32 v19, vcc, 1.0, v16, 1.0
	v_mul_f32_e32 v20, v19, v18
	v_fma_f32 v32, -v17, v20, v19
	v_fmac_f32_e32 v20, v32, v18
	v_fma_f32 v17, -v17, v20, v19
	v_div_fmas_f32 v17, v17, v18, v20
	v_div_fixup_f32 v16, v17, v16, 1.0
	v_mul_f32_e32 v14, v14, v16
	v_fma_f32 v14, v14, v14, 1.0
	v_div_scale_f32 v16, s[0:1], v14, v14, 1.0
	s_mul_i32 s0, s4, 0xffffffbb
	v_rcp_f32_e32 v17, v16
	v_fma_f32 v18, -v16, v17, 1.0
	v_fmac_f32_e32 v17, v18, v17
	v_div_scale_f32 v18, vcc, 1.0, v14, 1.0
	v_mul_f32_e32 v19, v18, v17
	v_fma_f32 v20, -v16, v19, v18
	v_fmac_f32_e32 v19, v20, v17
	v_fma_f32 v16, -v16, v19, v18
	v_div_fmas_f32 v16, v16, v17, v19
	v_div_fixup_f32 v14, v16, v14, 1.0
	v_mul_f32_e32 v14, v15, v14
	v_mul_f32_e32 v15, 0x40549a78, v14
	v_fma_f32 v16, v14, s10, -v15
	v_rndne_f32_e32 v17, v15
	v_fmac_f32_e32 v16, 0x33979a37, v14
	v_sub_f32_e32 v15, v15, v17
	v_add_f32_e32 v15, v15, v16
	v_exp_f32_e32 v15, v15
	v_cvt_i32_f32_e32 v16, v17
	v_cmp_ngt_f32_e32 vcc, s11, v14
	v_ldexp_f32 v15, v15, v16
	v_cndmask_b32_e32 v15, 0, v15, vcc
	v_cmp_nlt_f32_e32 vcc, s13, v14
	v_cndmask_b32_e32 v14, v23, v15, vcc
	v_mul_f32_e32 v13, v13, v14
	v_add_co_u32_e32 v9, vcc, s14, v9
	v_mul_f32_e32 v0, v0, v13
	v_addc_co_u32_e32 v10, vcc, v21, v10, vcc
	global_store_dword v[11:12], v0, off
	global_load_dword v0, v[9:10], off
	s_waitcnt vmcnt(0)
	v_mul_f32_e32 v0, v0, v13
	global_store_dword v[9:10], v0, off
	v_add_u32_e32 v0, s0, v8
	v_lshlrev_b64 v[8:9], 2, v[0:1]
	s_mul_i32 s0, s4, 0x50
	v_add_co_u32_e32 v8, vcc, s2, v8
	v_addc_co_u32_e32 v9, vcc, v30, v9, vcc
	v_add_u32_e32 v0, s0, v0
	global_load_dword v13, v[8:9], off
	v_lshlrev_b64 v[8:9], 2, v[0:1]
	v_lshl_add_u32 v0, s4, 2, v0
	v_add_co_u32_e32 v10, vcc, s12, v8
	v_addc_co_u32_e32 v11, vcc, v26, v9, vcc
	global_load_dword v12, v[10:11], off
	s_waitcnt vmcnt(0)
	v_div_scale_f32 v14, s[0:1], v12, v12, 1.0
	v_rcp_f32_e32 v15, v14
	v_fma_f32 v16, -v14, v15, 1.0
	v_fmac_f32_e32 v15, v16, v15
	v_div_scale_f32 v16, vcc, 1.0, v12, 1.0
	v_mul_f32_e32 v17, v16, v15
	v_fma_f32 v18, -v14, v17, v16
	v_fmac_f32_e32 v17, v18, v15
	v_fma_f32 v14, -v14, v17, v16
	v_div_fmas_f32 v14, v14, v15, v17
	v_div_fixup_f32 v14, v14, v12, 1.0
	v_mul_f32_e32 v14, v24, v14
	v_mul_f32_e32 v15, v13, v14
	v_fma_f32 v13, v13, v14, 1.0
	v_div_scale_f32 v14, s[0:1], v13, v13, 1.0
	v_rcp_f32_e32 v16, v14
	v_fma_f32 v17, -v14, v16, 1.0
	v_fmac_f32_e32 v16, v17, v16
	v_div_scale_f32 v17, vcc, 1.0, v13, 1.0
	v_mul_f32_e32 v18, v17, v16
	v_fma_f32 v19, -v14, v18, v17
	v_fmac_f32_e32 v18, v19, v16
	v_fma_f32 v14, -v14, v18, v17
	v_div_fmas_f32 v14, v14, v16, v18
	v_div_fixup_f32 v13, v14, v13, 1.0
	v_max_f32_e32 v14, 0x800000, v15
	v_cmp_gt_f32_e32 vcc, s6, v14
	v_mul_f32_e32 v13, v15, v13
	v_cndmask_b32_e64 v15, 0, 32, vcc
	v_ldexp_f32 v14, v14, v15
	v_log_f32_e32 v14, v14
	v_mul_f32_e32 v15, 0x3e9a209a, v14
	v_fma_f32 v15, v14, s3, -v15
	v_fmac_f32_e32 v15, 0x3284fbcf, v14
	v_fmac_f32_e32 v15, 0x3e9a209a, v14
	v_cmp_lt_f32_e64 s[0:1], |v14|, s5
	v_cndmask_b32_e64 v14, v14, v15, s[0:1]
	v_cndmask_b32_e32 v15, 0, v25, vcc
	v_sub_f32_e32 v14, v14, v15
	v_mul_f32_e32 v15, 0xbd9c9f71, v22
	v_mul_f32_e32 v16, 0x3fb8aa3b, v15
	v_fma_f32 v17, v15, s9, -v16
	v_rndne_f32_e32 v18, v16
	v_fmac_f32_e32 v17, 0x32a5705f, v15
	v_sub_f32_e32 v16, v16, v18
	v_add_f32_e32 v16, v16, v17
	v_exp_f32_e32 v16, v16
	v_cvt_i32_f32_e32 v17, v18
	v_cmp_ngt_f32_e32 vcc, s8, v15
	v_ldexp_f32 v16, v16, v17
	v_cndmask_b32_e32 v16, 0, v16, vcc
	v_cmp_nlt_f32_e32 vcc, s7, v15
	v_cndmask_b32_e32 v15, v23, v16, vcc
	v_mul_f32_e32 v16, 0xb9fc4ddc, v22
	v_mul_f32_e32 v17, 0x3fb8aa3b, v16
	v_fma_f32 v18, v16, s9, -v17
	v_rndne_f32_e32 v19, v17
	v_fmac_f32_e32 v18, 0x32a5705f, v16
	v_sub_f32_e32 v17, v17, v19
	v_add_f32_e32 v17, v17, v18
	v_exp_f32_e32 v17, v17
	v_cvt_i32_f32_e32 v18, v19
	v_cmp_ngt_f32_e32 vcc, s8, v16
	v_ldexp_f32 v17, v17, v18
	v_cndmask_b32_e32 v17, 0, v17, vcc
	v_cmp_nlt_f32_e32 vcc, s7, v16
	v_cndmask_b32_e32 v16, v23, v17, vcc
	v_mul_f32_e32 v16, 0x3f1e075f, v16
	v_fmac_f32_e32 v16, 0x3ec3f141, v15
	v_mul_f32_e32 v15, 0xc59f2800, v31
	v_mul_f32_e32 v17, 0x3fb8aa3b, v15
	v_fma_f32 v18, v15, s9, -v17
	v_rndne_f32_e32 v19, v17
	v_fmac_f32_e32 v18, 0x32a5705f, v15
	v_sub_f32_e32 v17, v17, v19
	v_add_f32_e32 v17, v17, v18
	v_exp_f32_e32 v17, v17
	v_cvt_i32_f32_e32 v18, v19
	v_cmp_ngt_f32_e32 vcc, s8, v15
	v_ldexp_f32 v17, v17, v18
	v_cndmask_b32_e32 v17, 0, v17, vcc
	v_cmp_nlt_f32_e32 vcc, s7, v15
	v_cndmask_b32_e32 v15, v23, v17, vcc
	v_add_f32_e32 v15, v15, v16
	v_max_f32_e32 v15, 0x800000, v15
	v_cmp_gt_f32_e32 vcc, s6, v15
	v_cndmask_b32_e64 v16, 0, 32, vcc
	v_ldexp_f32 v15, v15, v16
	v_log_f32_e32 v15, v15
	v_mov_b32_e32 v17, 0x3ecccccd
	v_mul_f32_e32 v16, 0x3e9a209a, v15
	v_fma_f32 v16, v15, s3, -v16
	v_fmac_f32_e32 v16, 0x3284fbcf, v15
	v_fmac_f32_e32 v16, 0x3e9a209a, v15
	v_cmp_lt_f32_e64 s[0:1], |v15|, s5
	v_cndmask_b32_e64 v15, v15, v16, s[0:1]
	v_cndmask_b32_e32 v16, 0, v25, vcc
	v_sub_f32_e32 v15, v15, v16
	v_mov_b32_e32 v16, 0x3f400000
	v_fmac_f32_e32 v17, 0x3f2b851f, v15
	v_fmac_f32_e32 v16, 0xbfa28f5c, v15
	v_sub_f32_e32 v14, v14, v17
	v_fmac_f32_e32 v16, 0xbe0f5c29, v14
	v_div_scale_f32 v17, s[0:1], v16, v16, 1.0
	v_rcp_f32_e32 v18, v17
	v_fma_f32 v19, -v17, v18, 1.0
	v_fmac_f32_e32 v18, v19, v18
	v_div_scale_f32 v19, vcc, 1.0, v16, 1.0
	v_mul_f32_e32 v20, v19, v18
	v_fma_f32 v32, -v17, v20, v19
	v_fmac_f32_e32 v20, v32, v18
	v_fma_f32 v17, -v17, v20, v19
	v_div_fmas_f32 v17, v17, v18, v20
	v_div_fixup_f32 v16, v17, v16, 1.0
	v_mul_f32_e32 v14, v14, v16
	v_fma_f32 v14, v14, v14, 1.0
	v_div_scale_f32 v16, s[0:1], v14, v14, 1.0
	v_rcp_f32_e32 v17, v16
	v_fma_f32 v18, -v16, v17, 1.0
	v_fmac_f32_e32 v17, v18, v17
	v_div_scale_f32 v18, vcc, 1.0, v14, 1.0
	v_mul_f32_e32 v19, v18, v17
	v_fma_f32 v20, -v16, v19, v18
	v_fmac_f32_e32 v19, v20, v17
	v_fma_f32 v16, -v16, v19, v18
	v_div_fmas_f32 v16, v16, v17, v19
	v_div_fixup_f32 v14, v16, v14, 1.0
	v_mul_f32_e32 v14, v15, v14
	v_mul_f32_e32 v15, 0x40549a78, v14
	v_fma_f32 v16, v14, s10, -v15
	v_rndne_f32_e32 v17, v15
	v_fmac_f32_e32 v16, 0x33979a37, v14
	v_sub_f32_e32 v15, v15, v17
	v_add_f32_e32 v15, v15, v16
	v_exp_f32_e32 v15, v15
	v_cvt_i32_f32_e32 v16, v17
	v_cmp_ngt_f32_e32 vcc, s11, v14
	v_ldexp_f32 v15, v15, v16
	v_cndmask_b32_e32 v15, 0, v15, vcc
	v_cmp_nlt_f32_e32 vcc, s13, v14
	v_cndmask_b32_e32 v14, v23, v15, vcc
	v_mul_f32_e32 v13, v13, v14
	v_add_co_u32_e32 v8, vcc, s14, v8
	v_mul_f32_e32 v12, v12, v13
	v_addc_co_u32_e32 v9, vcc, v21, v9, vcc
	global_store_dword v[10:11], v12, off
	global_load_dword v10, v[8:9], off
	v_add_co_u32_e32 v6, vcc, s2, v6
	v_addc_co_u32_e32 v7, vcc, v30, v7, vcc
	global_load_dword v11, v[6:7], off
	v_lshlrev_b64 v[6:7], 2, v[0:1]
	s_waitcnt vmcnt(1)
	v_mul_f32_e32 v10, v10, v13
	global_store_dword v[8:9], v10, off
	v_add_co_u32_e32 v8, vcc, s12, v6
	v_addc_co_u32_e32 v9, vcc, v26, v7, vcc
	global_load_dword v10, v[8:9], off
	s_waitcnt vmcnt(0)
	v_div_scale_f32 v12, s[0:1], v10, v10, 1.0
	v_rcp_f32_e32 v13, v12
	v_fma_f32 v14, -v12, v13, 1.0
	v_fmac_f32_e32 v13, v14, v13
	v_div_scale_f32 v14, vcc, 1.0, v10, 1.0
	v_mul_f32_e32 v15, v14, v13
	v_fma_f32 v16, -v12, v15, v14
	v_fmac_f32_e32 v15, v16, v13
	v_fma_f32 v12, -v12, v15, v14
	v_div_fmas_f32 v12, v12, v13, v15
	v_div_fixup_f32 v12, v12, v10, 1.0
	v_mul_f32_e32 v12, v24, v12
	v_mul_f32_e32 v13, v11, v12
	v_fma_f32 v11, v11, v12, 1.0
	v_div_scale_f32 v12, s[0:1], v11, v11, 1.0
	v_rcp_f32_e32 v14, v12
	v_fma_f32 v15, -v12, v14, 1.0
	v_fmac_f32_e32 v14, v15, v14
	v_div_scale_f32 v15, vcc, 1.0, v11, 1.0
	v_mul_f32_e32 v16, v15, v14
	v_fma_f32 v17, -v12, v16, v15
	v_fmac_f32_e32 v16, v17, v14
	v_fma_f32 v12, -v12, v16, v15
	v_div_fmas_f32 v12, v12, v14, v16
	v_div_fixup_f32 v11, v12, v11, 1.0
	v_max_f32_e32 v12, 0x800000, v13
	v_cmp_gt_f32_e32 vcc, s6, v12
	v_mul_f32_e32 v11, v13, v11
	v_cndmask_b32_e64 v13, 0, 32, vcc
	v_ldexp_f32 v12, v12, v13
	v_log_f32_e32 v12, v12
	v_mul_f32_e32 v13, 0x3e9a209a, v12
	v_fma_f32 v13, v12, s3, -v13
	v_fmac_f32_e32 v13, 0x3284fbcf, v12
	v_fmac_f32_e32 v13, 0x3e9a209a, v12
	v_cmp_lt_f32_e64 s[0:1], |v12|, s5
	v_cndmask_b32_e64 v12, v12, v13, s[0:1]
	v_cndmask_b32_e32 v13, 0, v25, vcc
	v_sub_f32_e32 v12, v12, v13
	v_mul_f32_e32 v13, 0xbbd901b2, v22
	v_mul_f32_e32 v14, 0x3fb8aa3b, v13
	v_fma_f32 v15, v13, s9, -v14
	v_rndne_f32_e32 v16, v14
	v_fmac_f32_e32 v15, 0x32a5705f, v13
	v_sub_f32_e32 v14, v14, v16
	v_add_f32_e32 v14, v14, v15
	v_exp_f32_e32 v14, v14
	v_cvt_i32_f32_e32 v15, v16
	v_cmp_ngt_f32_e32 vcc, s8, v13
	v_ldexp_f32 v14, v14, v15
	v_cndmask_b32_e32 v14, 0, v14, vcc
	v_cmp_nlt_f32_e32 vcc, s7, v13
	v_cndmask_b32_e32 v13, v23, v14, vcc
	v_mul_f32_e32 v14, 0xba7c8c16, v22
	v_mul_f32_e32 v15, 0x3fb8aa3b, v14
	v_fma_f32 v16, v14, s9, -v15
	v_rndne_f32_e32 v17, v15
	v_fmac_f32_e32 v16, 0x32a5705f, v14
	v_sub_f32_e32 v15, v15, v17
	v_add_f32_e32 v15, v15, v16
	v_exp_f32_e32 v15, v15
	v_cvt_i32_f32_e32 v16, v17
	v_cmp_ngt_f32_e32 vcc, s8, v14
	v_ldexp_f32 v15, v15, v16
	v_cndmask_b32_e32 v15, 0, v15, vcc
	v_cmp_nlt_f32_e32 vcc, s7, v14
	v_cndmask_b32_e32 v14, v23, v15, vcc
	v_mul_f32_e32 v14, 0x3f0851ec, v14
	v_fmac_f32_e32 v14, 0x3eef5c29, v13
	v_mul_f32_e32 v13, 0xc59b5000, v31
	v_mul_f32_e32 v15, 0x3fb8aa3b, v13
	v_fma_f32 v16, v13, s9, -v15
	v_rndne_f32_e32 v17, v15
	v_fmac_f32_e32 v16, 0x32a5705f, v13
	v_sub_f32_e32 v15, v15, v17
	v_add_f32_e32 v15, v15, v16
	v_exp_f32_e32 v15, v15
	v_cvt_i32_f32_e32 v16, v17
	v_cmp_ngt_f32_e32 vcc, s8, v13
	v_ldexp_f32 v15, v15, v16
	v_cndmask_b32_e32 v15, 0, v15, vcc
	v_cmp_nlt_f32_e32 vcc, s7, v13
	v_cndmask_b32_e32 v13, v23, v15, vcc
	v_add_f32_e32 v13, v13, v14
	v_max_f32_e32 v13, 0x800000, v13
	v_cmp_gt_f32_e32 vcc, s6, v13
	v_cndmask_b32_e64 v14, 0, 32, vcc
	v_ldexp_f32 v13, v13, v14
	v_log_f32_e32 v13, v13
	v_mov_b32_e32 v15, 0x3ecccccd
	v_mul_f32_e32 v14, 0x3e9a209a, v13
	v_fma_f32 v14, v13, s3, -v14
	v_fmac_f32_e32 v14, 0x3284fbcf, v13
	v_fmac_f32_e32 v14, 0x3e9a209a, v13
	v_cmp_lt_f32_e64 s[0:1], |v13|, s5
	v_cndmask_b32_e64 v13, v13, v14, s[0:1]
	v_cndmask_b32_e32 v14, 0, v25, vcc
	v_sub_f32_e32 v13, v13, v14
	v_mov_b32_e32 v14, 0x3f400000
	v_fmac_f32_e32 v15, 0x3f2b851f, v13
	v_fmac_f32_e32 v14, 0xbfa28f5c, v13
	v_sub_f32_e32 v12, v12, v15
	v_fmac_f32_e32 v14, 0xbe0f5c29, v12
	v_div_scale_f32 v15, s[0:1], v14, v14, 1.0
	v_rcp_f32_e32 v16, v15
	v_fma_f32 v17, -v15, v16, 1.0
	v_fmac_f32_e32 v16, v17, v16
	v_div_scale_f32 v17, vcc, 1.0, v14, 1.0
	v_mul_f32_e32 v18, v17, v16
	v_fma_f32 v19, -v15, v18, v17
	v_fmac_f32_e32 v18, v19, v16
	v_fma_f32 v15, -v15, v18, v17
	v_div_fmas_f32 v15, v15, v16, v18
	v_div_fixup_f32 v14, v15, v14, 1.0
	v_mul_f32_e32 v12, v12, v14
	v_fma_f32 v12, v12, v12, 1.0
	v_div_scale_f32 v14, s[0:1], v12, v12, 1.0
	v_rcp_f32_e32 v15, v14
	v_fma_f32 v16, -v14, v15, 1.0
	v_fmac_f32_e32 v15, v16, v15
	v_div_scale_f32 v16, vcc, 1.0, v12, 1.0
	v_mul_f32_e32 v17, v16, v15
	v_fma_f32 v18, -v14, v17, v16
	v_fmac_f32_e32 v17, v18, v15
	v_fma_f32 v14, -v14, v17, v16
	v_div_fmas_f32 v14, v14, v15, v17
	v_div_fixup_f32 v12, v14, v12, 1.0
	v_mul_f32_e32 v12, v13, v12
	v_mul_f32_e32 v13, 0x40549a78, v12
	v_fma_f32 v14, v12, s10, -v13
	v_rndne_f32_e32 v15, v13
	v_fmac_f32_e32 v14, 0x33979a37, v12
	v_sub_f32_e32 v13, v13, v15
	v_add_f32_e32 v13, v13, v14
	v_exp_f32_e32 v13, v13
	v_cvt_i32_f32_e32 v14, v15
	v_cmp_ngt_f32_e32 vcc, s11, v12
	v_ldexp_f32 v13, v13, v14
	v_cndmask_b32_e32 v13, 0, v13, vcc
	v_cmp_nlt_f32_e32 vcc, s13, v12
	v_cndmask_b32_e32 v12, v23, v13, vcc
	v_mul_f32_e32 v11, v11, v12
	v_add_co_u32_e32 v6, vcc, s14, v6
	v_mul_f32_e32 v10, v10, v11
	v_addc_co_u32_e32 v7, vcc, v21, v7, vcc
	global_store_dword v[8:9], v10, off
	global_load_dword v8, v[6:7], off
	v_add_co_u32_e32 v4, vcc, s2, v4
	v_addc_co_u32_e32 v5, vcc, v30, v5, vcc
	s_waitcnt vmcnt(0)
	v_mul_f32_e32 v8, v8, v11
	global_store_dword v[6:7], v8, off
	global_load_dword v6, v[4:5], off
	v_mad_u64_u32 v[4:5], s[0:1], s4, 21, v[0:1]
	v_mov_b32_e32 v5, v1
	v_lshlrev_b64 v[7:8], 2, v[4:5]
	v_add_co_u32_e32 v9, vcc, s12, v7
	v_addc_co_u32_e32 v10, vcc, v26, v8, vcc
	global_load_dword v0, v[9:10], off
	s_waitcnt vmcnt(0)
	v_div_scale_f32 v5, s[0:1], v0, v0, 1.0
	v_rcp_f32_e32 v11, v5
	v_fma_f32 v12, -v5, v11, 1.0
	v_fmac_f32_e32 v11, v12, v11
	v_div_scale_f32 v12, vcc, 1.0, v0, 1.0
	v_mul_f32_e32 v13, v12, v11
	v_fma_f32 v14, -v5, v13, v12
	v_fmac_f32_e32 v13, v14, v11
	v_fma_f32 v5, -v5, v13, v12
	v_div_fmas_f32 v5, v5, v11, v13
	v_div_fixup_f32 v5, v5, v0, 1.0
	v_mul_f32_e32 v5, v28, v5
	v_mul_f32_e32 v11, v6, v5
	v_fma_f32 v5, v6, v5, 1.0
	v_div_scale_f32 v6, s[0:1], v5, v5, 1.0
	v_rcp_f32_e32 v12, v6
	v_fma_f32 v13, -v6, v12, 1.0
	v_fmac_f32_e32 v12, v13, v12
	v_div_scale_f32 v13, vcc, 1.0, v5, 1.0
	v_mul_f32_e32 v14, v13, v12
	v_fma_f32 v15, -v6, v14, v13
	v_fmac_f32_e32 v14, v15, v12
	v_fma_f32 v6, -v6, v14, v13
	v_div_fmas_f32 v6, v6, v12, v14
	v_div_fixup_f32 v5, v6, v5, 1.0
	v_mul_f32_e32 v11, v11, v5
	v_add_co_u32_e32 v5, vcc, s14, v7
	v_mul_f32_e32 v0, v0, v11
	v_addc_co_u32_e32 v6, vcc, v21, v8, vcc
	global_store_dword v[9:10], v0, off
	global_load_dword v0, v[5:6], off
	v_add_co_u32_e32 v2, vcc, s2, v2
	v_addc_co_u32_e32 v3, vcc, v30, v3, vcc
	s_waitcnt vmcnt(0)
	v_mul_f32_e32 v0, v0, v11
	global_store_dword v[5:6], v0, off
	v_add_u32_e32 v0, s4, v4
	v_lshlrev_b64 v[0:1], 2, v[0:1]
	global_load_dword v6, v[2:3], off
	v_add_co_u32_e32 v2, vcc, s12, v0
	v_addc_co_u32_e32 v3, vcc, v26, v1, vcc
	global_load_dword v5, v[2:3], off
	s_waitcnt vmcnt(0)
	v_div_scale_f32 v4, s[0:1], v5, v5, 1.0
	v_rcp_f32_e32 v7, v4
	v_fma_f32 v8, -v4, v7, 1.0
	v_fmac_f32_e32 v7, v8, v7
	v_div_scale_f32 v8, vcc, 1.0, v5, 1.0
	v_mul_f32_e32 v9, v8, v7
	v_fma_f32 v10, -v4, v9, v8
	v_fmac_f32_e32 v9, v10, v7
	v_fma_f32 v4, -v4, v9, v8
	v_div_fmas_f32 v4, v4, v7, v9
	v_div_fixup_f32 v4, v4, v5, 1.0
	v_mul_f32_e32 v4, v24, v4
	v_mul_f32_e32 v7, v6, v4
	v_fma_f32 v4, v6, v4, 1.0
	v_div_scale_f32 v6, s[0:1], v4, v4, 1.0
	v_rcp_f32_e32 v8, v6
	v_fma_f32 v9, -v6, v8, 1.0
	v_fmac_f32_e32 v8, v9, v8
	v_div_scale_f32 v9, vcc, 1.0, v4, 1.0
	v_mul_f32_e32 v10, v9, v8
	v_fma_f32 v11, -v6, v10, v9
	v_fmac_f32_e32 v10, v11, v8
	v_fma_f32 v6, -v6, v10, v9
	v_div_fmas_f32 v6, v6, v8, v10
	v_div_fixup_f32 v4, v6, v4, 1.0
	v_max_f32_e32 v6, 0x800000, v7
	v_cmp_gt_f32_e32 vcc, s6, v6
	v_mul_f32_e32 v4, v7, v4
	v_cndmask_b32_e64 v7, 0, 32, vcc
	v_ldexp_f32 v6, v6, v7
	v_log_f32_e32 v6, v6
	v_mul_f32_e32 v7, 0x3e9a209a, v6
	v_fma_f32 v7, v6, s3, -v7
	v_fmac_f32_e32 v7, 0x3284fbcf, v6
	v_fmac_f32_e32 v7, 0x3e9a209a, v6
	v_cmp_lt_f32_e64 s[0:1], |v6|, s5
	v_cndmask_b32_e64 v6, v6, v7, s[0:1]
	v_cndmask_b32_e32 v7, 0, v25, vcc
	v_sub_f32_e32 v6, v6, v7
	v_mul_f32_e32 v7, 0xb942c4c6, v22
	v_mul_f32_e32 v8, 0x3fb8aa3b, v7
	v_fma_f32 v9, v7, s9, -v8
	v_rndne_f32_e32 v10, v8
	v_fmac_f32_e32 v9, 0x32a5705f, v7
	v_sub_f32_e32 v8, v8, v10
	v_add_f32_e32 v8, v8, v9
	v_exp_f32_e32 v8, v8
	v_cvt_i32_f32_e32 v9, v10
	v_cmp_ngt_f32_e32 vcc, s8, v7
	v_ldexp_f32 v8, v8, v9
	v_cndmask_b32_e32 v8, 0, v8, vcc
	v_cmp_nlt_f32_e32 vcc, s7, v7
	v_cndmask_b32_e32 v7, v23, v8, vcc
	v_mul_f32_e32 v8, 0xbe6e8448, v22
	v_mul_f32_e32 v9, 0x3fb8aa3b, v8
	v_fma_f32 v10, v8, s9, -v9
	v_rndne_f32_e32 v11, v9
	v_fmac_f32_e32 v10, 0x32a5705f, v8
	v_sub_f32_e32 v9, v9, v11
	v_add_f32_e32 v9, v9, v10
	v_exp_f32_e32 v9, v9
	v_cvt_i32_f32_e32 v10, v11
	v_cmp_ngt_f32_e32 vcc, s8, v8
	v_mul_f32_e32 v7, 0xbf7b4a23, v7
	v_ldexp_f32 v9, v9, v10
	v_cndmask_b32_e32 v9, 0, v9, vcc
	v_cmp_nlt_f32_e32 vcc, s7, v8
	v_cndmask_b32_e32 v8, v23, v9, vcc
	v_fmac_f32_e32 v7, 0x3ffda512, v8
	v_mul_f32_e32 v8, 0x3da2d0e5, v31
	v_mul_f32_e32 v9, 0x3fb8aa3b, v8
	v_fma_f32 v10, v8, s9, -v9
	v_rndne_f32_e32 v11, v9
	v_fmac_f32_e32 v10, 0x32a5705f, v8
	v_sub_f32_e32 v9, v9, v11
	v_add_f32_e32 v9, v9, v10
	v_exp_f32_e32 v9, v9
	v_cvt_i32_f32_e32 v10, v11
	v_cmp_ngt_f32_e32 vcc, s8, v8
	v_ldexp_f32 v9, v9, v10
	v_cndmask_b32_e32 v9, 0, v9, vcc
	v_cmp_nlt_f32_e32 vcc, s7, v8
	v_cndmask_b32_e32 v8, v23, v9, vcc
	v_add_f32_e32 v7, v8, v7
	v_max_f32_e32 v7, 0x800000, v7
	v_cmp_gt_f32_e32 vcc, s6, v7
	v_cndmask_b32_e64 v8, 0, 32, vcc
	v_ldexp_f32 v7, v7, v8
	v_log_f32_e32 v7, v7
	v_mul_f32_e32 v8, 0x3e9a209a, v7
	v_fma_f32 v8, v7, s3, -v8
	v_fmac_f32_e32 v8, 0x3284fbcf, v7
	v_fmac_f32_e32 v8, 0x3e9a209a, v7
	v_cmp_lt_f32_e64 s[0:1], |v7|, s5
	v_cndmask_b32_e64 v7, v7, v8, s[0:1]
	v_cndmask_b32_e32 v8, 0, v25, vcc
	v_sub_f32_e32 v7, v7, v8
	v_fmac_f32_e32 v29, 0x3f2b851f, v7
	v_fmac_f32_e32 v27, 0xbfa28f5c, v7
	v_sub_f32_e32 v6, v6, v29
	v_fmac_f32_e32 v27, 0xbe0f5c29, v6
	v_div_scale_f32 v8, s[0:1], v27, v27, 1.0
	v_rcp_f32_e32 v9, v8
	v_fma_f32 v10, -v8, v9, 1.0
	v_fmac_f32_e32 v9, v10, v9
	v_div_scale_f32 v10, vcc, 1.0, v27, 1.0
	v_mul_f32_e32 v11, v10, v9
	v_fma_f32 v12, -v8, v11, v10
	v_fmac_f32_e32 v11, v12, v9
	v_fma_f32 v8, -v8, v11, v10
	v_div_fmas_f32 v8, v8, v9, v11
	v_div_fixup_f32 v8, v8, v27, 1.0
	v_mul_f32_e32 v6, v6, v8
	v_fma_f32 v6, v6, v6, 1.0
	v_div_scale_f32 v8, s[0:1], v6, v6, 1.0
	v_rcp_f32_e32 v9, v8
	v_fma_f32 v10, -v8, v9, 1.0
	v_fmac_f32_e32 v9, v10, v9
	v_div_scale_f32 v10, vcc, 1.0, v6, 1.0
	v_mul_f32_e32 v11, v10, v9
	v_fma_f32 v12, -v8, v11, v10
	v_fmac_f32_e32 v11, v12, v9
	v_fma_f32 v8, -v8, v11, v10
	v_div_fmas_f32 v8, v8, v9, v11
	v_div_fixup_f32 v6, v8, v6, 1.0
	v_mul_f32_e32 v6, v7, v6
	v_mul_f32_e32 v7, 0x40549a78, v6
	v_fma_f32 v8, v6, s10, -v7
	v_rndne_f32_e32 v9, v7
	v_fmac_f32_e32 v8, 0x33979a37, v6
	v_sub_f32_e32 v7, v7, v9
	v_add_f32_e32 v7, v7, v8
	v_exp_f32_e32 v7, v7
	v_cvt_i32_f32_e32 v8, v9
	v_cmp_ngt_f32_e32 vcc, s11, v6
	v_ldexp_f32 v7, v7, v8
	v_cndmask_b32_e32 v7, 0, v7, vcc
	v_cmp_nlt_f32_e32 vcc, s13, v6
	v_cndmask_b32_e32 v6, v23, v7, vcc
	v_mul_f32_e32 v4, v4, v6
	v_add_co_u32_e32 v0, vcc, s14, v0
	v_mul_f32_e32 v5, v5, v4
	v_addc_co_u32_e32 v1, vcc, v21, v1, vcc
	global_store_dword v[2:3], v5, off
	global_load_dword v2, v[0:1], off
	s_waitcnt vmcnt(0)
	v_mul_f32_e32 v2, v2, v4
	global_store_dword v[0:1], v2, off
	s_endpgm
	.section	.rodata,"a",@progbits
	.p2align	6, 0x0
	.amdhsa_kernel _Z11ratx_kernelIfEvPKT_S2_PS0_S3_S2_S0_
		.amdhsa_group_segment_fixed_size 0
		.amdhsa_private_segment_fixed_size 0
		.amdhsa_kernarg_size 304
		.amdhsa_user_sgpr_count 6
		.amdhsa_user_sgpr_private_segment_buffer 1
		.amdhsa_user_sgpr_dispatch_ptr 0
		.amdhsa_user_sgpr_queue_ptr 0
		.amdhsa_user_sgpr_kernarg_segment_ptr 1
		.amdhsa_user_sgpr_dispatch_id 0
		.amdhsa_user_sgpr_flat_scratch_init 0
		.amdhsa_user_sgpr_private_segment_size 0
		.amdhsa_uses_dynamic_stack 0
		.amdhsa_system_sgpr_private_segment_wavefront_offset 0
		.amdhsa_system_sgpr_workgroup_id_x 1
		.amdhsa_system_sgpr_workgroup_id_y 0
		.amdhsa_system_sgpr_workgroup_id_z 0
		.amdhsa_system_sgpr_workgroup_info 0
		.amdhsa_system_vgpr_workitem_id 0
		.amdhsa_next_free_vgpr 43
		.amdhsa_next_free_sgpr 16
		.amdhsa_reserve_vcc 1
		.amdhsa_reserve_flat_scratch 0
		.amdhsa_float_round_mode_32 0
		.amdhsa_float_round_mode_16_64 0
		.amdhsa_float_denorm_mode_32 3
		.amdhsa_float_denorm_mode_16_64 3
		.amdhsa_dx10_clamp 1
		.amdhsa_ieee_mode 1
		.amdhsa_fp16_overflow 0
		.amdhsa_exception_fp_ieee_invalid_op 0
		.amdhsa_exception_fp_denorm_src 0
		.amdhsa_exception_fp_ieee_div_zero 0
		.amdhsa_exception_fp_ieee_overflow 0
		.amdhsa_exception_fp_ieee_underflow 0
		.amdhsa_exception_fp_ieee_inexact 0
		.amdhsa_exception_int_div_zero 0
	.end_amdhsa_kernel
	.section	.text._Z11ratx_kernelIfEvPKT_S2_PS0_S3_S2_S0_,"axG",@progbits,_Z11ratx_kernelIfEvPKT_S2_PS0_S3_S2_S0_,comdat
.Lfunc_end12:
	.size	_Z11ratx_kernelIfEvPKT_S2_PS0_S3_S2_S0_, .Lfunc_end12-_Z11ratx_kernelIfEvPKT_S2_PS0_S3_S2_S0_
                                        ; -- End function
	.set _Z11ratx_kernelIfEvPKT_S2_PS0_S3_S2_S0_.num_vgpr, 43
	.set _Z11ratx_kernelIfEvPKT_S2_PS0_S3_S2_S0_.num_agpr, 0
	.set _Z11ratx_kernelIfEvPKT_S2_PS0_S3_S2_S0_.numbered_sgpr, 16
	.set _Z11ratx_kernelIfEvPKT_S2_PS0_S3_S2_S0_.num_named_barrier, 0
	.set _Z11ratx_kernelIfEvPKT_S2_PS0_S3_S2_S0_.private_seg_size, 0
	.set _Z11ratx_kernelIfEvPKT_S2_PS0_S3_S2_S0_.uses_vcc, 1
	.set _Z11ratx_kernelIfEvPKT_S2_PS0_S3_S2_S0_.uses_flat_scratch, 0
	.set _Z11ratx_kernelIfEvPKT_S2_PS0_S3_S2_S0_.has_dyn_sized_stack, 0
	.set _Z11ratx_kernelIfEvPKT_S2_PS0_S3_S2_S0_.has_recursion, 0
	.set _Z11ratx_kernelIfEvPKT_S2_PS0_S3_S2_S0_.has_indirect_call, 0
	.section	.AMDGPU.csdata,"",@progbits
; Kernel info:
; codeLenInByte = 11932
; TotalNumSgprs: 20
; NumVgprs: 43
; ScratchSize: 0
; MemoryBound: 0
; FloatMode: 240
; IeeeMode: 1
; LDSByteSize: 0 bytes/workgroup (compile time only)
; SGPRBlocks: 2
; VGPRBlocks: 10
; NumSGPRsForWavesPerEU: 20
; NumVGPRsForWavesPerEU: 43
; Occupancy: 5
; WaveLimiterHint : 0
; COMPUTE_PGM_RSRC2:SCRATCH_EN: 0
; COMPUTE_PGM_RSRC2:USER_SGPR: 6
; COMPUTE_PGM_RSRC2:TRAP_HANDLER: 0
; COMPUTE_PGM_RSRC2:TGID_X_EN: 1
; COMPUTE_PGM_RSRC2:TGID_Y_EN: 0
; COMPUTE_PGM_RSRC2:TGID_Z_EN: 0
; COMPUTE_PGM_RSRC2:TIDIG_COMP_CNT: 0
	.section	.text._Z12ratxb_kernelIfEvPKT_S2_PS0_S3_S2_S0_,"axG",@progbits,_Z12ratxb_kernelIfEvPKT_S2_PS0_S3_S2_S0_,comdat
	.protected	_Z12ratxb_kernelIfEvPKT_S2_PS0_S3_S2_S0_ ; -- Begin function _Z12ratxb_kernelIfEvPKT_S2_PS0_S3_S2_S0_
	.globl	_Z12ratxb_kernelIfEvPKT_S2_PS0_S3_S2_S0_
	.p2align	8
	.type	_Z12ratxb_kernelIfEvPKT_S2_PS0_S3_S2_S0_,@function
_Z12ratxb_kernelIfEvPKT_S2_PS0_S3_S2_S0_: ; @_Z12ratxb_kernelIfEvPKT_S2_PS0_S3_S2_S0_
; %bb.0:
	s_load_dwordx8 s[8:15], s[4:5], 0x0
	s_load_dwordx2 s[2:3], s[4:5], 0x20
	s_load_dword s0, s[4:5], 0x28
	s_load_dword s1, s[4:5], 0x30
	;; [unrolled: 1-line block ×3, first 2 shown]
	v_mov_b32_e32 v1, 0
	s_waitcnt lgkmcnt(0)
	v_mov_b32_e32 v5, s9
	v_mov_b32_e32 v42, s11
	s_mov_b32 s5, 0x7f800000
	s_and_b32 s4, s7, 0xffff
	s_mul_i32 s6, s6, s4
	v_add_u32_e32 v0, s6, v0
	v_lshlrev_b64 v[2:3], 2, v[0:1]
	s_mul_i32 s4, s1, s4
	v_add_co_u32_e32 v4, vcc, s8, v2
	v_addc_co_u32_e32 v5, vcc, v5, v3, vcc
	v_add_co_u32_e32 v2, vcc, s10, v2
	v_addc_co_u32_e32 v3, vcc, v42, v3, vcc
	v_add_u32_e32 v0, s4, v0
	global_load_dword v26, v[2:3], off
	v_lshlrev_b64 v[2:3], 2, v[0:1]
	v_add_u32_e32 v0, s4, v0
	v_add_co_u32_e32 v2, vcc, s10, v2
	v_addc_co_u32_e32 v3, vcc, v42, v3, vcc
	global_load_dword v43, v[2:3], off
	v_lshlrev_b64 v[2:3], 2, v[0:1]
	global_load_dword v27, v[4:5], off
	v_add_co_u32_e32 v2, vcc, s10, v2
	v_addc_co_u32_e32 v3, vcc, v42, v3, vcc
	global_load_dword v2, v[2:3], off
	v_add_u32_e32 v0, s4, v0
	s_mov_b32 s6, 0x800000
	s_mov_b32 s9, 0x3fb8aa3b
	;; [unrolled: 1-line block ×5, first 2 shown]
	s_waitcnt vmcnt(3)
	v_add_f32_e32 v4, 0, v26
	s_waitcnt vmcnt(2)
	v_add_f32_e32 v4, v4, v43
	;; [unrolled: 2-line block ×3, first 2 shown]
	v_lshlrev_b64 v[2:3], 2, v[0:1]
	v_add_u32_e32 v0, s4, v0
	v_add_co_u32_e32 v2, vcc, s10, v2
	v_addc_co_u32_e32 v3, vcc, v42, v3, vcc
	global_load_dword v48, v[2:3], off
	v_lshlrev_b64 v[2:3], 2, v[0:1]
	v_add_u32_e32 v0, s4, v0
	v_add_co_u32_e32 v2, vcc, s10, v2
	v_addc_co_u32_e32 v3, vcc, v42, v3, vcc
	global_load_dword v2, v[2:3], off
	s_waitcnt vmcnt(1)
	v_add_f32_e32 v4, v4, v48
	s_waitcnt vmcnt(0)
	v_add_f32_e32 v4, v4, v2
	v_lshlrev_b64 v[2:3], 2, v[0:1]
	v_add_u32_e32 v0, s4, v0
	v_add_co_u32_e32 v2, vcc, s10, v2
	v_addc_co_u32_e32 v3, vcc, v42, v3, vcc
	global_load_dword v28, v[2:3], off
	v_lshlrev_b64 v[2:3], 2, v[0:1]
	v_add_u32_e32 v0, s4, v0
	v_add_co_u32_e32 v24, vcc, s10, v2
	v_addc_co_u32_e32 v25, vcc, v42, v3, vcc
	global_load_dword v2, v[24:25], off
	s_waitcnt vmcnt(1)
	v_add_f32_e32 v4, v4, v28
	global_load_dword v24, v[24:25], off
	s_waitcnt vmcnt(1)
	v_add_f32_e32 v4, v4, v2
	v_lshlrev_b64 v[2:3], 2, v[0:1]
	v_add_u32_e32 v0, s4, v0
	v_add_co_u32_e32 v2, vcc, s10, v2
	v_addc_co_u32_e32 v3, vcc, v42, v3, vcc
	global_load_dword v2, v[2:3], off
	s_waitcnt vmcnt(0)
	v_add_f32_e32 v4, v4, v2
	v_lshlrev_b64 v[2:3], 2, v[0:1]
	v_add_u32_e32 v0, s4, v0
	v_add_co_u32_e32 v2, vcc, s10, v2
	v_addc_co_u32_e32 v3, vcc, v42, v3, vcc
	global_load_dword v2, v[2:3], off
	v_lshlrev_b64 v[30:31], 2, v[0:1]
	v_add_u32_e32 v0, s4, v0
	v_lshlrev_b64 v[34:35], 2, v[0:1]
	v_add_u32_e32 v0, s4, v0
	;; [unrolled: 2-line block ×7, first 2 shown]
	s_waitcnt vmcnt(0)
	v_add_f32_e32 v4, v4, v2
	v_add_co_u32_e32 v2, vcc, s10, v30
	v_addc_co_u32_e32 v3, vcc, v42, v31, vcc
	v_add_co_u32_e32 v20, vcc, s10, v34
	global_load_dword v29, v[2:3], off
	v_addc_co_u32_e32 v21, vcc, v42, v35, vcc
	global_load_dword v46, v[20:21], off
	s_waitcnt vmcnt(1)
	v_add_f32_e32 v2, v4, v29
	global_load_dword v20, v[20:21], off
	s_waitcnt vmcnt(1)
	v_add_f32_e32 v4, v2, v46
	v_add_co_u32_e32 v2, vcc, s10, v32
	v_addc_co_u32_e32 v3, vcc, v42, v33, vcc
	global_load_dword v45, v[2:3], off
	v_add_co_u32_e32 v2, vcc, s10, v16
	v_addc_co_u32_e32 v3, vcc, v42, v17, vcc
	v_add_co_u32_e32 v22, vcc, s10, v14
	global_load_dword v2, v[2:3], off
	v_addc_co_u32_e32 v23, vcc, v42, v15, vcc
	global_load_dword v40, v[22:23], off
	s_waitcnt vmcnt(2)
	v_add_f32_e32 v4, v4, v45
	global_load_dword v22, v[22:23], off
	s_waitcnt vmcnt(2)
	v_add_f32_e32 v2, v4, v2
	s_waitcnt vmcnt(1)
	v_add_f32_e32 v4, v2, v40
	v_add_co_u32_e32 v2, vcc, s10, v12
	v_addc_co_u32_e32 v3, vcc, v42, v13, vcc
	global_load_dword v49, v[2:3], off
	v_add_co_u32_e32 v2, vcc, s10, v10
	v_addc_co_u32_e32 v3, vcc, v42, v11, vcc
	global_load_dword v50, v[2:3], off
	v_lshlrev_b64 v[2:3], 2, v[0:1]
	v_add_u32_e32 v0, s4, v0
	v_add_co_u32_e32 v2, vcc, s10, v2
	v_addc_co_u32_e32 v3, vcc, v42, v3, vcc
	global_load_dword v2, v[2:3], off
	v_lshlrev_b64 v[8:9], 2, v[0:1]
	v_add_u32_e32 v0, s4, v0
	v_lshlrev_b64 v[6:7], 2, v[0:1]
	v_add_u32_e32 v0, s4, v0
	s_waitcnt vmcnt(2)
	v_add_f32_e32 v4, v4, v49
	s_waitcnt vmcnt(1)
	v_add_f32_e32 v4, v4, v50
	;; [unrolled: 2-line block ×3, first 2 shown]
	v_add_co_u32_e32 v2, vcc, s10, v8
	v_addc_co_u32_e32 v3, vcc, v42, v9, vcc
	global_load_dword v2, v[2:3], off
	s_waitcnt vmcnt(0)
	v_add_f32_e32 v4, v4, v2
	v_add_co_u32_e32 v2, vcc, s10, v6
	v_addc_co_u32_e32 v3, vcc, v42, v7, vcc
	global_load_dword v2, v[2:3], off
	s_waitcnt vmcnt(0)
	v_add_f32_e32 v2, v4, v2
	v_lshlrev_b64 v[4:5], 2, v[0:1]
	v_add_u32_e32 v0, s4, v0
	v_add_co_u32_e32 v18, vcc, s10, v4
	v_addc_co_u32_e32 v19, vcc, v42, v5, vcc
	global_load_dword v3, v[18:19], off
	s_waitcnt vmcnt(0)
	v_add_f32_e32 v38, v2, v3
	v_lshlrev_b64 v[2:3], 2, v[0:1]
	v_add_u32_e32 v0, s4, v0
	v_add_co_u32_e32 v36, vcc, s10, v2
	v_addc_co_u32_e32 v37, vcc, v42, v3, vcc
	global_load_dword v36, v[36:37], off
	s_waitcnt vmcnt(0)
	v_add_f32_e32 v38, v38, v36
	v_lshlrev_b64 v[36:37], 2, v[0:1]
	global_load_dword v18, v[18:19], off
	v_add_co_u32_e32 v36, vcc, s10, v36
	v_addc_co_u32_e32 v37, vcc, v42, v37, vcc
	global_load_dword v36, v[36:37], off
	s_waitcnt vmcnt(0)
	v_add_f32_e32 v44, v38, v36
	v_mov_b32_e32 v37, v44
	v_fmac_f32_e32 v37, 0xbe8a3d71, v26
	v_fmac_f32_e32 v37, 0x4029999a, v28
	v_add_f32_e32 v47, v44, v26
	v_add_f32_e32 v53, v29, v37
	v_mov_b32_e32 v37, v47
	v_fmac_f32_e32 v37, 0x40a00000, v28
	v_add_f32_e32 v37, v29, v37
	v_fmac_f32_e32 v37, 0.5, v46
	v_add_f32_e32 v39, v45, v37
	v_mov_b32_e32 v37, v44
	v_fmac_f32_e32 v37, 0x3fb33333, v26
	v_sub_f32_e32 v51, v44, v48
	v_fmac_f32_e32 v47, 0x40a00000, v48
	v_mul_f32_e32 v38, s0, v27
	v_sub_f32_e32 v27, v44, v26
	v_fmac_f32_e32 v37, 0x41666666, v28
	v_sub_f32_e32 v51, v51, v28
	v_fmac_f32_e32 v47, 0x40a00000, v28
	v_sub_f32_e32 v27, v27, v28
	v_add_f32_e32 v54, v29, v37
	v_fmac_f32_e32 v51, 0xbe800000, v46
	v_add_f32_e32 v47, v29, v47
	v_add_f32_e32 v27, v27, v29
	v_fmac_f32_e32 v54, 0x3f400000, v46
	v_fmac_f32_e32 v51, 0.5, v45
	v_fmac_f32_e32 v47, 0.5, v46
	v_sub_f32_e32 v27, v27, v45
	v_fmac_f32_e32 v54, 0x40266666, v45
	v_fmac_f32_e32 v51, 0.5, v50
	v_fmac_f32_e32 v47, 0x40200000, v45
	v_fmac_f32_e32 v27, 2.0, v50
	v_fmac_f32_e32 v53, 2.0, v50
	;; [unrolled: 1-line block ×4, first 2 shown]
	v_sub_f32_e32 v55, v51, v36
	v_fmac_f32_e32 v47, 2.0, v50
	s_mul_i32 s0, s4, 0xffffffef
	v_fmac_f32_e32 v27, 2.0, v40
	v_fmac_f32_e32 v53, 2.0, v40
	v_fma_f32 v41, 2.0, v40, v39
	v_fmac_f32_e32 v54, 2.0, v40
	v_fmac_f32_e32 v55, 2.0, v40
	v_fmac_f32_e32 v47, 2.0, v40
	v_add_u32_e32 v0, s0, v0
	v_fmac_f32_e32 v27, 2.0, v49
	v_fmac_f32_e32 v53, 2.0, v49
	;; [unrolled: 1-line block ×6, first 2 shown]
	v_lshlrev_b64 v[49:50], 2, v[0:1]
	v_mov_b32_e32 v40, s13
	v_add_co_u32_e32 v51, vcc, s12, v49
	v_addc_co_u32_e32 v52, vcc, v40, v50, vcc
	global_load_dword v29, v[51:52], off
	v_mov_b32_e32 v36, s15
	v_lshl_add_u32 v0, s4, 2, v0
	s_mul_i32 s15, s4, 5
	s_mov_b32 s13, 0x421a209b
	v_mov_b32_e32 v37, 0x3f400000
	s_waitcnt vmcnt(0)
	v_mul_f32_e32 v29, v27, v29
	v_mul_f32_e32 v29, v29, v43
	;; [unrolled: 1-line block ×3, first 2 shown]
	global_store_dword v[51:52], v29, off
	v_add_co_u32_e32 v51, vcc, s14, v49
	v_addc_co_u32_e32 v52, vcc, v36, v50, vcc
	global_load_dword v29, v[51:52], off
	s_waitcnt vmcnt(0)
	v_mul_f32_e32 v27, v27, v29
	v_mul_f32_e32 v26, v26, v27
	global_store_dword v[51:52], v26, off
	v_lshlrev_b64 v[26:27], 2, v[0:1]
	v_add_co_u32_e32 v51, vcc, s12, v26
	v_addc_co_u32_e32 v52, vcc, v40, v27, vcc
	global_load_dword v29, v[51:52], off
	v_add_co_u32_e32 v49, vcc, s10, v49
	v_addc_co_u32_e32 v50, vcc, v42, v50, vcc
	global_load_dword v56, v[49:50], off
	v_add_co_u32_e32 v49, vcc, s14, v26
	v_addc_co_u32_e32 v50, vcc, v36, v27, vcc
	s_waitcnt vmcnt(1)
	v_mul_f32_e32 v29, v53, v29
	v_mul_f32_e32 v29, v43, v29
	s_waitcnt vmcnt(0)
	v_mul_f32_e32 v29, v56, v29
	global_store_dword v[51:52], v29, off
	global_load_dword v29, v[49:50], off
	s_waitcnt vmcnt(0)
	v_mul_f32_e32 v29, v53, v29
	v_mul_f32_e32 v28, v28, v29
	global_store_dword v[49:50], v28, off
	v_add_co_u32_e32 v49, vcc, s12, v30
	v_addc_co_u32_e32 v50, vcc, v40, v31, vcc
	global_load_dword v28, v[49:50], off
	s_waitcnt vmcnt(0)
	v_mul_f32_e32 v53, v41, v28
	v_mad_u64_u32 v[28:29], s[0:1], s4, -6, v[0:1]
	v_mov_b32_e32 v29, v1
	v_lshlrev_b64 v[51:52], 2, v[28:29]
	v_add_co_u32_e32 v51, vcc, s10, v51
	v_addc_co_u32_e32 v52, vcc, v42, v52, vcc
	global_load_dword v0, v[51:52], off
	s_waitcnt vmcnt(0)
	v_mul_f32_e32 v29, v53, v0
	v_mul_f32_e32 v29, v43, v29
	global_store_dword v[49:50], v29, off
	v_add_co_u32_e32 v29, vcc, s14, v30
	v_addc_co_u32_e32 v30, vcc, v36, v31, vcc
	global_load_dword v31, v[29:30], off
	s_waitcnt vmcnt(0)
	v_mul_f32_e32 v31, v41, v31
	v_mul_f32_e32 v31, v56, v31
	global_store_dword v[29:30], v31, off
	v_add_co_u32_e32 v29, vcc, s12, v34
	v_addc_co_u32_e32 v30, vcc, v40, v35, vcc
	global_load_dword v31, v[29:30], off
	s_waitcnt vmcnt(0)
	v_mul_f32_e32 v31, v54, v31
	v_mul_f32_e32 v31, v0, v31
	v_mul_f32_e32 v31, v0, v31
	global_store_dword v[29:30], v31, off
	v_add_co_u32_e32 v29, vcc, s14, v34
	v_addc_co_u32_e32 v30, vcc, v36, v35, vcc
	global_load_dword v31, v[29:30], off
	s_waitcnt vmcnt(0)
	v_mul_f32_e32 v31, v54, v31
	v_mul_f32_e32 v31, v48, v31
	global_store_dword v[29:30], v31, off
	v_add_co_u32_e32 v29, vcc, s12, v32
	v_addc_co_u32_e32 v30, vcc, v40, v33, vcc
	global_load_dword v31, v[29:30], off
	s_waitcnt vmcnt(0)
	v_mul_f32_e32 v31, v55, v31
	v_mul_f32_e32 v31, v43, v31
	;; [unrolled: 1-line block ×3, first 2 shown]
	global_store_dword v[29:30], v31, off
	v_add_co_u32_e32 v29, vcc, s14, v32
	v_addc_co_u32_e32 v30, vcc, v36, v33, vcc
	global_load_dword v31, v[29:30], off
	s_waitcnt vmcnt(0)
	v_mul_f32_e32 v31, v55, v31
	v_mul_f32_e32 v24, v31, v24
	global_store_dword v[29:30], v24, off
	v_mad_u64_u32 v[24:25], s[0:1], s4, 26, v[28:29]
	v_mov_b32_e32 v25, v1
	v_lshlrev_b64 v[28:29], 2, v[24:25]
	v_mad_u64_u32 v[24:25], s[0:1], s4, 17, v[24:25]
	v_add_co_u32_e32 v30, vcc, s12, v28
	v_addc_co_u32_e32 v31, vcc, v40, v29, vcc
	global_load_dword v32, v[30:31], off
	v_add_co_u32_e32 v28, vcc, s14, v28
	v_addc_co_u32_e32 v29, vcc, v36, v29, vcc
	v_mov_b32_e32 v25, v1
	s_mul_i32 s0, s4, 0x4b
	s_waitcnt vmcnt(0)
	v_mul_f32_e32 v32, v47, v32
	v_mul_f32_e32 v32, v46, v32
	;; [unrolled: 1-line block ×3, first 2 shown]
	global_store_dword v[30:31], v0, off
	global_load_dword v0, v[28:29], off
	s_waitcnt vmcnt(0)
	v_mul_f32_e32 v0, v47, v0
	v_mul_f32_e32 v0, v45, v0
	global_store_dword v[28:29], v0, off
	v_lshlrev_b64 v[28:29], 2, v[24:25]
	v_add_co_u32_e32 v30, vcc, s12, v28
	v_addc_co_u32_e32 v31, vcc, v40, v29, vcc
	global_load_dword v0, v[30:31], off
	v_add_co_u32_e32 v28, vcc, s14, v28
	v_addc_co_u32_e32 v29, vcc, v36, v29, vcc
	s_waitcnt vmcnt(0)
	v_mul_f32_e32 v0, v41, v0
	global_store_dword v[30:31], v0, off
	global_load_dword v0, v[28:29], off
	s_waitcnt vmcnt(0)
	v_mul_f32_e32 v0, v41, v0
	v_mul_f32_e32 v0, v0, v20
	;; [unrolled: 1-line block ×3, first 2 shown]
	global_store_dword v[28:29], v0, off
	v_add_u32_e32 v0, s0, v24
	v_lshlrev_b64 v[20:21], 2, v[0:1]
	v_add_u32_e32 v0, s15, v0
	v_add_co_u32_e32 v24, vcc, s12, v20
	v_addc_co_u32_e32 v25, vcc, v40, v21, vcc
	global_load_dword v28, v[24:25], off
	s_waitcnt vmcnt(0)
	v_mul_f32_e32 v28, v44, v28
	v_mul_f32_e32 v28, v28, v22
	v_add_co_u32_e32 v22, vcc, s10, v26
	v_addc_co_u32_e32 v23, vcc, v42, v27, vcc
	global_load_dword v22, v[22:23], off
	v_add_co_u32_e32 v20, vcc, s14, v20
	v_addc_co_u32_e32 v21, vcc, v36, v21, vcc
	v_add_co_u32_e32 v16, vcc, s2, v16
	s_mov_b32 s10, 0x40549a78
	s_waitcnt vmcnt(0)
	v_mul_f32_e32 v22, v28, v22
	global_store_dword v[24:25], v22, off
	global_load_dword v22, v[20:21], off
	v_mov_b32_e32 v24, s3
	v_addc_co_u32_e32 v17, vcc, v24, v17, vcc
	s_mov_b32 s3, 0x3e9a209a
	s_waitcnt vmcnt(0)
	v_mul_f32_e32 v22, v44, v22
	v_mul_f32_e32 v18, v22, v18
	global_store_dword v[20:21], v18, off
	global_load_dword v20, v[16:17], off
	v_lshlrev_b64 v[16:17], 2, v[0:1]
	v_add_co_u32_e32 v18, vcc, s12, v16
	v_addc_co_u32_e32 v19, vcc, v40, v17, vcc
	global_load_dword v25, v[18:19], off
	s_waitcnt vmcnt(0)
	v_div_scale_f32 v21, s[0:1], v25, v25, 1.0
	v_rcp_f32_e32 v22, v21
	v_fma_f32 v23, -v21, v22, 1.0
	v_fmac_f32_e32 v22, v23, v22
	v_div_scale_f32 v23, vcc, 1.0, v25, 1.0
	v_mul_f32_e32 v26, v23, v22
	v_fma_f32 v27, -v21, v26, v23
	v_fmac_f32_e32 v26, v27, v22
	v_fma_f32 v21, -v21, v26, v23
	v_div_fmas_f32 v21, v21, v22, v26
	v_div_fixup_f32 v21, v21, v25, 1.0
	v_mul_f32_e32 v21, v41, v21
	v_mul_f32_e32 v22, v20, v21
	v_fma_f32 v20, v20, v21, 1.0
	v_div_scale_f32 v21, s[0:1], v20, v20, 1.0
	v_rcp_f32_e32 v23, v21
	v_fma_f32 v26, -v21, v23, 1.0
	v_fmac_f32_e32 v23, v26, v23
	v_div_scale_f32 v26, vcc, 1.0, v20, 1.0
	v_mul_f32_e32 v27, v26, v23
	v_fma_f32 v28, -v21, v27, v26
	v_fmac_f32_e32 v27, v28, v23
	v_fma_f32 v21, -v21, v27, v26
	v_div_fmas_f32 v21, v21, v23, v27
	v_div_fixup_f32 v20, v21, v20, 1.0
	v_mul_f32_e32 v26, v22, v20
	v_max_f32_e32 v20, 0x800000, v22
	v_cmp_gt_f32_e32 vcc, s6, v20
	v_cndmask_b32_e64 v21, 0, 32, vcc
	v_ldexp_f32 v20, v20, v21
	v_log_f32_e32 v20, v20
	v_mul_f32_e32 v21, 0x3e9a209a, v20
	v_fma_f32 v21, v20, s3, -v21
	v_fmac_f32_e32 v21, 0x3284fbcf, v20
	v_fmac_f32_e32 v21, 0x3e9a209a, v20
	v_cmp_lt_f32_e64 s[0:1], |v20|, s5
	v_cndmask_b32_e64 v20, v20, v21, s[0:1]
	v_mov_b32_e32 v21, 0x411a209b
	v_cndmask_b32_e32 v22, 0, v21, vcc
	v_sub_f32_e32 v27, v20, v22
	v_mul_f32_e32 v20, 0xba1991ec, v38
	v_mul_f32_e32 v22, 0x3fb8aa3b, v20
	v_fma_f32 v23, v20, s9, -v22
	v_rndne_f32_e32 v28, v22
	v_fmac_f32_e32 v23, 0x32a5705f, v20
	v_sub_f32_e32 v22, v22, v28
	v_add_f32_e32 v22, v22, v23
	v_exp_f32_e32 v22, v22
	v_cvt_i32_f32_e32 v23, v28
	v_cmp_ngt_f32_e32 vcc, s8, v20
	v_ldexp_f32 v22, v22, v23
	v_cndmask_b32_e32 v22, 0, v22, vcc
	v_cmp_nlt_f32_e32 vcc, s7, v20
	v_mov_b32_e32 v20, 0x7f800000
	v_cndmask_b32_e32 v23, v20, v22, vcc
	v_mul_f32_e32 v22, 0xb9a3d70a, v38
	v_mul_f32_e32 v28, 0x3fb8aa3b, v22
	v_fma_f32 v29, v22, s9, -v28
	v_rndne_f32_e32 v30, v28
	v_fmac_f32_e32 v29, 0x32a5705f, v22
	v_sub_f32_e32 v28, v28, v30
	v_add_f32_e32 v28, v28, v29
	v_exp_f32_e32 v28, v28
	v_cvt_i32_f32_e32 v29, v30
	v_cmp_ngt_f32_e32 vcc, s8, v22
	v_ldexp_f32 v28, v28, v29
	v_cndmask_b32_e32 v28, 0, v28, vcc
	v_cmp_nlt_f32_e32 vcc, s7, v22
	v_cndmask_b32_e32 v22, v20, v28, vcc
	v_mul_f32_e32 v22, 0x3eac8b44, v22
	v_fmac_f32_e32 v22, 0x3f29ba5e, v23
	v_div_scale_f32 v23, s[0:1], v38, v38, 1.0
	v_rcp_f32_e32 v28, v23
	v_fma_f32 v29, -v23, v28, 1.0
	v_fmac_f32_e32 v28, v29, v28
	v_div_scale_f32 v29, vcc, 1.0, v38, 1.0
	v_mul_f32_e32 v30, v29, v28
	v_fma_f32 v31, -v23, v30, v29
	v_fmac_f32_e32 v30, v31, v28
	v_fma_f32 v23, -v23, v30, v29
	v_div_fmas_f32 v23, v23, v28, v30
	v_div_fixup_f32 v23, v23, v38, 1.0
	v_mul_f32_e32 v28, 0xc5811800, v23
	v_mul_f32_e32 v29, 0x3fb8aa3b, v28
	v_fma_f32 v30, v28, s9, -v29
	v_rndne_f32_e32 v31, v29
	v_fmac_f32_e32 v30, 0x32a5705f, v28
	v_sub_f32_e32 v29, v29, v31
	v_add_f32_e32 v29, v29, v30
	v_exp_f32_e32 v29, v29
	v_cvt_i32_f32_e32 v30, v31
	v_cmp_ngt_f32_e32 vcc, s8, v28
	v_ldexp_f32 v29, v29, v30
	v_cndmask_b32_e32 v29, 0, v29, vcc
	v_cmp_nlt_f32_e32 vcc, s7, v28
	v_cndmask_b32_e32 v28, v20, v29, vcc
	v_add_f32_e32 v22, v28, v22
	v_max_f32_e32 v22, 0x800000, v22
	v_cmp_gt_f32_e32 vcc, s6, v22
	v_cndmask_b32_e64 v28, 0, 32, vcc
	v_ldexp_f32 v22, v22, v28
	v_log_f32_e32 v22, v22
	v_mov_b32_e32 v30, 0x3ecccccd
	v_mov_b32_e32 v29, 0x3f400000
	v_mul_f32_e32 v28, 0x3e9a209a, v22
	v_fma_f32 v28, v22, s3, -v28
	v_fmac_f32_e32 v28, 0x3284fbcf, v22
	v_fmac_f32_e32 v28, 0x3e9a209a, v22
	v_cmp_lt_f32_e64 s[0:1], |v22|, s5
	v_cndmask_b32_e64 v22, v22, v28, s[0:1]
	v_cndmask_b32_e32 v28, 0, v21, vcc
	v_sub_f32_e32 v28, v22, v28
	v_fmac_f32_e32 v30, 0x3f2b851f, v28
	v_fmac_f32_e32 v29, 0xbfa28f5c, v28
	v_sub_f32_e32 v27, v27, v30
	v_fmac_f32_e32 v29, 0xbe0f5c29, v27
	v_div_scale_f32 v30, s[0:1], v29, v29, 1.0
	v_mov_b32_e32 v22, 0x3ecccccd
	v_rcp_f32_e32 v31, v30
	v_fma_f32 v32, -v30, v31, 1.0
	v_fmac_f32_e32 v31, v32, v31
	v_div_scale_f32 v32, vcc, 1.0, v29, 1.0
	v_mul_f32_e32 v33, v32, v31
	v_fma_f32 v34, -v30, v33, v32
	v_fmac_f32_e32 v33, v34, v31
	v_fma_f32 v30, -v30, v33, v32
	v_div_fmas_f32 v30, v30, v31, v33
	v_div_fixup_f32 v29, v30, v29, 1.0
	v_mul_f32_e32 v27, v27, v29
	v_fma_f32 v27, v27, v27, 1.0
	v_div_scale_f32 v29, s[0:1], v27, v27, 1.0
	v_rcp_f32_e32 v30, v29
	v_fma_f32 v31, -v29, v30, 1.0
	v_fmac_f32_e32 v30, v31, v30
	v_div_scale_f32 v31, vcc, 1.0, v27, 1.0
	v_mul_f32_e32 v32, v31, v30
	v_fma_f32 v33, -v29, v32, v31
	v_fmac_f32_e32 v32, v33, v30
	v_fma_f32 v29, -v29, v32, v31
	v_div_fmas_f32 v29, v29, v30, v32
	v_div_fixup_f32 v27, v29, v27, 1.0
	v_mul_f32_e32 v27, v28, v27
	v_mul_f32_e32 v28, 0x40549a78, v27
	v_fma_f32 v29, v27, s10, -v28
	v_rndne_f32_e32 v30, v28
	v_fmac_f32_e32 v29, 0x33979a37, v27
	v_sub_f32_e32 v28, v28, v30
	v_add_f32_e32 v28, v28, v29
	v_exp_f32_e32 v28, v28
	v_cvt_i32_f32_e32 v29, v30
	v_cmp_ngt_f32_e32 vcc, s11, v27
	v_ldexp_f32 v28, v28, v29
	v_cndmask_b32_e32 v28, 0, v28, vcc
	v_cmp_nlt_f32_e32 vcc, s13, v27
	v_cndmask_b32_e32 v27, v20, v28, vcc
	v_mul_f32_e32 v26, v26, v27
	v_add_co_u32_e32 v16, vcc, s14, v16
	v_mul_f32_e32 v25, v25, v26
	v_addc_co_u32_e32 v17, vcc, v36, v17, vcc
	global_store_dword v[18:19], v25, off
	global_load_dword v18, v[16:17], off
	v_add_co_u32_e32 v14, vcc, s2, v14
	v_addc_co_u32_e32 v15, vcc, v24, v15, vcc
	global_load_dword v25, v[14:15], off
	v_mad_u64_u32 v[14:15], s[0:1], s4, 6, v[0:1]
	v_mov_b32_e32 v15, v1
	s_waitcnt vmcnt(1)
	v_mul_f32_e32 v18, v18, v26
	global_store_dword v[16:17], v18, off
	v_lshlrev_b64 v[16:17], 2, v[14:15]
	v_add_co_u32_e32 v18, vcc, s12, v16
	v_addc_co_u32_e32 v19, vcc, v40, v17, vcc
	global_load_dword v0, v[18:19], off
	s_waitcnt vmcnt(0)
	v_div_scale_f32 v26, s[0:1], v0, v0, 1.0
	v_rcp_f32_e32 v27, v26
	v_fma_f32 v28, -v26, v27, 1.0
	v_fmac_f32_e32 v27, v28, v27
	v_div_scale_f32 v28, vcc, 1.0, v0, 1.0
	v_mul_f32_e32 v29, v28, v27
	v_fma_f32 v30, -v26, v29, v28
	v_fmac_f32_e32 v29, v30, v27
	v_fma_f32 v26, -v26, v29, v28
	v_div_fmas_f32 v26, v26, v27, v29
	v_div_fixup_f32 v26, v26, v0, 1.0
	v_mul_f32_e32 v26, v41, v26
	v_mul_f32_e32 v27, v25, v26
	v_fma_f32 v25, v25, v26, 1.0
	v_div_scale_f32 v26, s[0:1], v25, v25, 1.0
	v_rcp_f32_e32 v28, v26
	v_fma_f32 v29, -v26, v28, 1.0
	v_fmac_f32_e32 v28, v29, v28
	v_div_scale_f32 v29, vcc, 1.0, v25, 1.0
	v_mul_f32_e32 v30, v29, v28
	v_fma_f32 v31, -v26, v30, v29
	v_fmac_f32_e32 v30, v31, v28
	v_fma_f32 v26, -v26, v30, v29
	v_div_fmas_f32 v26, v26, v28, v30
	v_div_fixup_f32 v25, v26, v25, 1.0
	v_max_f32_e32 v26, 0x800000, v27
	v_cmp_gt_f32_e32 vcc, s6, v26
	v_mul_f32_e32 v25, v27, v25
	v_cndmask_b32_e64 v27, 0, 32, vcc
	v_ldexp_f32 v26, v26, v27
	v_log_f32_e32 v26, v26
	v_mul_f32_e32 v27, 0x3e9a209a, v26
	v_fma_f32 v27, v26, s3, -v27
	v_fmac_f32_e32 v27, 0x3284fbcf, v26
	v_fmac_f32_e32 v27, 0x3e9a209a, v26
	v_cmp_lt_f32_e64 s[0:1], |v26|, s5
	v_cndmask_b32_e64 v26, v26, v27, s[0:1]
	v_cndmask_b32_e32 v27, 0, v21, vcc
	v_sub_f32_e32 v26, v26, v27
	v_mul_f32_e32 v27, 0xbb9deb07, v38
	v_mul_f32_e32 v28, 0x3fb8aa3b, v27
	v_fma_f32 v29, v27, s9, -v28
	v_rndne_f32_e32 v30, v28
	v_fmac_f32_e32 v29, 0x32a5705f, v27
	v_sub_f32_e32 v28, v28, v30
	v_add_f32_e32 v28, v28, v29
	v_exp_f32_e32 v28, v28
	v_cvt_i32_f32_e32 v29, v30
	v_cmp_ngt_f32_e32 vcc, s8, v27
	v_ldexp_f32 v28, v28, v29
	v_cndmask_b32_e32 v28, 0, v28, vcc
	v_cmp_nlt_f32_e32 vcc, s7, v27
	v_cndmask_b32_e32 v27, v20, v28, vcc
	v_mul_f32_e32 v28, 0xb9c4e0f3, v38
	v_mul_f32_e32 v29, 0x3fb8aa3b, v28
	v_fma_f32 v30, v28, s9, -v29
	v_rndne_f32_e32 v31, v29
	v_fmac_f32_e32 v30, 0x32a5705f, v28
	v_sub_f32_e32 v29, v29, v31
	v_add_f32_e32 v29, v29, v30
	v_exp_f32_e32 v29, v29
	v_cvt_i32_f32_e32 v30, v31
	v_cmp_ngt_f32_e32 vcc, s8, v28
	v_ldexp_f32 v29, v29, v30
	v_cndmask_b32_e32 v29, 0, v29, vcc
	v_cmp_nlt_f32_e32 vcc, s7, v28
	v_cndmask_b32_e32 v28, v20, v29, vcc
	v_mul_f32_e32 v28, 0x3f483127, v28
	v_fmac_f32_e32 v28, 0x3e5f3b64, v27
	v_mul_f32_e32 v27, 0xc5be7800, v23
	v_mul_f32_e32 v29, 0x3fb8aa3b, v27
	v_fma_f32 v30, v27, s9, -v29
	v_rndne_f32_e32 v31, v29
	v_fmac_f32_e32 v30, 0x32a5705f, v27
	v_sub_f32_e32 v29, v29, v31
	v_add_f32_e32 v29, v29, v30
	v_exp_f32_e32 v29, v29
	v_cvt_i32_f32_e32 v30, v31
	v_cmp_ngt_f32_e32 vcc, s8, v27
	v_ldexp_f32 v29, v29, v30
	v_cndmask_b32_e32 v29, 0, v29, vcc
	v_cmp_nlt_f32_e32 vcc, s7, v27
	v_cndmask_b32_e32 v27, v20, v29, vcc
	v_add_f32_e32 v27, v27, v28
	v_max_f32_e32 v27, 0x800000, v27
	v_cmp_gt_f32_e32 vcc, s6, v27
	v_cndmask_b32_e64 v28, 0, 32, vcc
	v_ldexp_f32 v27, v27, v28
	v_log_f32_e32 v27, v27
	v_mov_b32_e32 v29, 0x3ecccccd
	v_mul_f32_e32 v28, 0x3e9a209a, v27
	v_fma_f32 v28, v27, s3, -v28
	v_fmac_f32_e32 v28, 0x3284fbcf, v27
	v_fmac_f32_e32 v28, 0x3e9a209a, v27
	v_cmp_lt_f32_e64 s[0:1], |v27|, s5
	v_cndmask_b32_e64 v27, v27, v28, s[0:1]
	v_cndmask_b32_e32 v28, 0, v21, vcc
	v_sub_f32_e32 v27, v27, v28
	v_mov_b32_e32 v28, 0x3f400000
	v_fmac_f32_e32 v29, 0x3f2b851f, v27
	v_fmac_f32_e32 v28, 0xbfa28f5c, v27
	v_sub_f32_e32 v26, v26, v29
	v_fmac_f32_e32 v28, 0xbe0f5c29, v26
	v_div_scale_f32 v29, s[0:1], v28, v28, 1.0
	v_rcp_f32_e32 v30, v29
	v_fma_f32 v31, -v29, v30, 1.0
	v_fmac_f32_e32 v30, v31, v30
	v_div_scale_f32 v31, vcc, 1.0, v28, 1.0
	v_mul_f32_e32 v32, v31, v30
	v_fma_f32 v33, -v29, v32, v31
	v_fmac_f32_e32 v32, v33, v30
	v_fma_f32 v29, -v29, v32, v31
	v_div_fmas_f32 v29, v29, v30, v32
	v_div_fixup_f32 v28, v29, v28, 1.0
	v_mul_f32_e32 v26, v26, v28
	v_fma_f32 v26, v26, v26, 1.0
	v_div_scale_f32 v28, s[0:1], v26, v26, 1.0
	v_rcp_f32_e32 v29, v28
	v_fma_f32 v30, -v28, v29, 1.0
	v_fmac_f32_e32 v29, v30, v29
	v_div_scale_f32 v30, vcc, 1.0, v26, 1.0
	v_mul_f32_e32 v31, v30, v29
	v_fma_f32 v32, -v28, v31, v30
	v_fmac_f32_e32 v31, v32, v29
	v_fma_f32 v28, -v28, v31, v30
	v_div_fmas_f32 v28, v28, v29, v31
	v_div_fixup_f32 v26, v28, v26, 1.0
	v_mul_f32_e32 v26, v27, v26
	v_mul_f32_e32 v27, 0x40549a78, v26
	v_fma_f32 v28, v26, s10, -v27
	v_rndne_f32_e32 v29, v27
	v_fmac_f32_e32 v28, 0x33979a37, v26
	v_sub_f32_e32 v27, v27, v29
	v_add_f32_e32 v27, v27, v28
	v_exp_f32_e32 v27, v27
	v_cvt_i32_f32_e32 v28, v29
	v_cmp_ngt_f32_e32 vcc, s11, v26
	v_ldexp_f32 v27, v27, v28
	v_cndmask_b32_e32 v27, 0, v27, vcc
	v_cmp_nlt_f32_e32 vcc, s13, v26
	v_cndmask_b32_e32 v26, v20, v27, vcc
	v_mul_f32_e32 v25, v25, v26
	v_add_co_u32_e32 v16, vcc, s14, v16
	v_mul_f32_e32 v0, v0, v25
	v_addc_co_u32_e32 v17, vcc, v36, v17, vcc
	global_store_dword v[18:19], v0, off
	global_load_dword v0, v[16:17], off
	v_add_co_u32_e32 v12, vcc, s2, v12
	v_addc_co_u32_e32 v13, vcc, v24, v13, vcc
	global_load_dword v18, v[12:13], off
	v_mad_u64_u32 v[12:13], s[0:1], s4, 13, v[14:15]
	v_mov_b32_e32 v13, v1
	v_lshlrev_b64 v[14:15], 2, v[12:13]
	s_waitcnt vmcnt(1)
	v_mul_f32_e32 v0, v0, v25
	global_store_dword v[16:17], v0, off
	v_add_co_u32_e32 v16, vcc, s12, v14
	v_addc_co_u32_e32 v17, vcc, v40, v15, vcc
	global_load_dword v0, v[16:17], off
	s_waitcnt vmcnt(0)
	v_div_scale_f32 v19, s[0:1], v0, v0, 1.0
	v_rcp_f32_e32 v25, v19
	v_fma_f32 v26, -v19, v25, 1.0
	v_fmac_f32_e32 v25, v26, v25
	v_div_scale_f32 v26, vcc, 1.0, v0, 1.0
	v_mul_f32_e32 v27, v26, v25
	v_fma_f32 v28, -v19, v27, v26
	v_fmac_f32_e32 v27, v28, v25
	v_fma_f32 v19, -v19, v27, v26
	v_div_fmas_f32 v19, v19, v25, v27
	v_div_fixup_f32 v19, v19, v0, 1.0
	v_mul_f32_e32 v19, v41, v19
	v_mul_f32_e32 v25, v18, v19
	v_fma_f32 v18, v18, v19, 1.0
	v_div_scale_f32 v19, s[0:1], v18, v18, 1.0
	v_rcp_f32_e32 v26, v19
	v_fma_f32 v27, -v19, v26, 1.0
	v_fmac_f32_e32 v26, v27, v26
	v_div_scale_f32 v27, vcc, 1.0, v18, 1.0
	v_mul_f32_e32 v28, v27, v26
	v_fma_f32 v29, -v19, v28, v27
	v_fmac_f32_e32 v28, v29, v26
	v_fma_f32 v19, -v19, v28, v27
	v_div_fmas_f32 v19, v19, v26, v28
	v_div_fixup_f32 v18, v19, v18, 1.0
	v_max_f32_e32 v19, 0x800000, v25
	v_cmp_gt_f32_e32 vcc, s6, v19
	v_mul_f32_e32 v18, v25, v18
	v_cndmask_b32_e64 v25, 0, 32, vcc
	v_ldexp_f32 v19, v19, v25
	v_log_f32_e32 v19, v19
	v_mul_f32_e32 v25, 0x3e9a209a, v19
	v_fma_f32 v25, v19, s3, -v25
	v_fmac_f32_e32 v25, 0x3284fbcf, v19
	v_fmac_f32_e32 v25, 0x3e9a209a, v19
	v_cmp_lt_f32_e64 s[0:1], |v19|, s5
	v_cndmask_b32_e64 v19, v19, v25, s[0:1]
	v_cndmask_b32_e32 v25, 0, v21, vcc
	v_sub_f32_e32 v19, v19, v25
	v_mul_f32_e32 v25, 0xba438ad4, v38
	v_mul_f32_e32 v26, 0x3fb8aa3b, v25
	v_fma_f32 v27, v25, s9, -v26
	v_rndne_f32_e32 v28, v26
	v_fmac_f32_e32 v27, 0x32a5705f, v25
	v_sub_f32_e32 v26, v26, v28
	v_add_f32_e32 v26, v26, v27
	v_exp_f32_e32 v26, v26
	v_cvt_i32_f32_e32 v27, v28
	v_cmp_ngt_f32_e32 vcc, s8, v25
	v_ldexp_f32 v26, v26, v27
	v_cndmask_b32_e32 v26, 0, v26, vcc
	v_cmp_nlt_f32_e32 vcc, s7, v25
	v_cndmask_b32_e32 v25, v20, v26, vcc
	v_mul_f32_e32 v26, 0xb78bcf65, v38
	v_mul_f32_e32 v27, 0x3fb8aa3b, v26
	v_fma_f32 v28, v26, s9, -v27
	v_rndne_f32_e32 v29, v27
	v_fmac_f32_e32 v28, 0x32a5705f, v26
	v_sub_f32_e32 v27, v27, v29
	v_add_f32_e32 v27, v27, v28
	v_exp_f32_e32 v27, v27
	v_cvt_i32_f32_e32 v28, v29
	v_cmp_ngt_f32_e32 vcc, s8, v26
	v_ldexp_f32 v27, v27, v28
	v_cndmask_b32_e32 v27, 0, v27, vcc
	v_cmp_nlt_f32_e32 vcc, s7, v26
	v_cndmask_b32_e32 v26, v20, v27, vcc
	v_mul_f32_e32 v26, 0x3e333333, v26
	v_fmac_f32_e32 v26, 0x3f533333, v25
	v_mul_f32_e32 v25, 0xc61e6f33, v23
	v_mul_f32_e32 v27, 0x3fb8aa3b, v25
	v_fma_f32 v28, v25, s9, -v27
	v_rndne_f32_e32 v29, v27
	v_fmac_f32_e32 v28, 0x32a5705f, v25
	v_sub_f32_e32 v27, v27, v29
	v_add_f32_e32 v27, v27, v28
	v_exp_f32_e32 v27, v27
	v_cvt_i32_f32_e32 v28, v29
	v_cmp_ngt_f32_e32 vcc, s8, v25
	v_ldexp_f32 v27, v27, v28
	v_cndmask_b32_e32 v27, 0, v27, vcc
	v_cmp_nlt_f32_e32 vcc, s7, v25
	v_cndmask_b32_e32 v25, v20, v27, vcc
	v_add_f32_e32 v25, v25, v26
	v_max_f32_e32 v25, 0x800000, v25
	v_cmp_gt_f32_e32 vcc, s6, v25
	v_cndmask_b32_e64 v26, 0, 32, vcc
	v_ldexp_f32 v25, v25, v26
	v_log_f32_e32 v25, v25
	v_mov_b32_e32 v27, 0x3ecccccd
	v_mul_f32_e32 v26, 0x3e9a209a, v25
	v_fma_f32 v26, v25, s3, -v26
	v_fmac_f32_e32 v26, 0x3284fbcf, v25
	v_fmac_f32_e32 v26, 0x3e9a209a, v25
	v_cmp_lt_f32_e64 s[0:1], |v25|, s5
	v_cndmask_b32_e64 v25, v25, v26, s[0:1]
	v_cndmask_b32_e32 v26, 0, v21, vcc
	v_sub_f32_e32 v25, v25, v26
	v_mov_b32_e32 v26, 0x3f400000
	v_fmac_f32_e32 v27, 0x3f2b851f, v25
	v_fmac_f32_e32 v26, 0xbfa28f5c, v25
	v_sub_f32_e32 v19, v19, v27
	v_fmac_f32_e32 v26, 0xbe0f5c29, v19
	v_div_scale_f32 v27, s[0:1], v26, v26, 1.0
	v_rcp_f32_e32 v28, v27
	v_fma_f32 v29, -v27, v28, 1.0
	v_fmac_f32_e32 v28, v29, v28
	v_div_scale_f32 v29, vcc, 1.0, v26, 1.0
	v_mul_f32_e32 v30, v29, v28
	v_fma_f32 v31, -v27, v30, v29
	v_fmac_f32_e32 v30, v31, v28
	v_fma_f32 v27, -v27, v30, v29
	v_div_fmas_f32 v27, v27, v28, v30
	v_div_fixup_f32 v26, v27, v26, 1.0
	v_mul_f32_e32 v19, v19, v26
	v_fma_f32 v19, v19, v19, 1.0
	v_div_scale_f32 v26, s[0:1], v19, v19, 1.0
	v_rcp_f32_e32 v27, v26
	v_fma_f32 v28, -v26, v27, 1.0
	v_fmac_f32_e32 v27, v28, v27
	v_div_scale_f32 v28, vcc, 1.0, v19, 1.0
	v_mul_f32_e32 v29, v28, v27
	v_fma_f32 v30, -v26, v29, v28
	v_fmac_f32_e32 v29, v30, v27
	v_fma_f32 v26, -v26, v29, v28
	v_div_fmas_f32 v26, v26, v27, v29
	v_div_fixup_f32 v19, v26, v19, 1.0
	v_mul_f32_e32 v19, v25, v19
	v_mul_f32_e32 v25, 0x40549a78, v19
	v_fma_f32 v26, v19, s10, -v25
	v_rndne_f32_e32 v27, v25
	v_fmac_f32_e32 v26, 0x33979a37, v19
	v_sub_f32_e32 v25, v25, v27
	v_add_f32_e32 v25, v25, v26
	v_exp_f32_e32 v25, v25
	v_cvt_i32_f32_e32 v26, v27
	v_cmp_ngt_f32_e32 vcc, s11, v19
	v_ldexp_f32 v25, v25, v26
	v_cndmask_b32_e32 v25, 0, v25, vcc
	v_cmp_nlt_f32_e32 vcc, s13, v19
	v_cndmask_b32_e32 v19, v20, v25, vcc
	v_mul_f32_e32 v18, v18, v19
	v_add_co_u32_e32 v14, vcc, s14, v14
	v_mul_f32_e32 v0, v0, v18
	v_addc_co_u32_e32 v15, vcc, v36, v15, vcc
	global_store_dword v[16:17], v0, off
	global_load_dword v0, v[14:15], off
	v_add_co_u32_e32 v10, vcc, s2, v10
	v_addc_co_u32_e32 v11, vcc, v24, v11, vcc
	s_waitcnt vmcnt(0)
	v_mul_f32_e32 v0, v0, v18
	global_store_dword v[14:15], v0, off
	global_load_dword v15, v[10:11], off
	v_mad_u64_u32 v[10:11], s[0:1], s4, 3, v[12:13]
	v_mov_b32_e32 v11, v1
	v_lshlrev_b64 v[11:12], 2, v[10:11]
	v_add_co_u32_e32 v13, vcc, s12, v11
	v_addc_co_u32_e32 v14, vcc, v40, v12, vcc
	global_load_dword v0, v[13:14], off
	s_waitcnt vmcnt(0)
	v_div_scale_f32 v16, s[0:1], v0, v0, 1.0
	v_rcp_f32_e32 v17, v16
	v_fma_f32 v18, -v16, v17, 1.0
	v_fmac_f32_e32 v17, v18, v17
	v_div_scale_f32 v18, vcc, 1.0, v0, 1.0
	v_mul_f32_e32 v19, v18, v17
	v_fma_f32 v25, -v16, v19, v18
	v_fmac_f32_e32 v19, v25, v17
	v_fma_f32 v16, -v16, v19, v18
	v_div_fmas_f32 v16, v16, v17, v19
	v_div_fixup_f32 v16, v16, v0, 1.0
	v_mul_f32_e32 v16, v41, v16
	v_mul_f32_e32 v17, v15, v16
	v_fma_f32 v15, v15, v16, 1.0
	v_div_scale_f32 v16, s[0:1], v15, v15, 1.0
	v_rcp_f32_e32 v18, v16
	v_fma_f32 v19, -v16, v18, 1.0
	v_fmac_f32_e32 v18, v19, v18
	v_div_scale_f32 v19, vcc, 1.0, v15, 1.0
	v_mul_f32_e32 v25, v19, v18
	v_fma_f32 v26, -v16, v25, v19
	v_fmac_f32_e32 v25, v26, v18
	v_fma_f32 v16, -v16, v25, v19
	v_div_fmas_f32 v16, v16, v18, v25
	v_div_fixup_f32 v15, v16, v15, 1.0
	v_max_f32_e32 v16, 0x800000, v17
	v_cmp_gt_f32_e32 vcc, s6, v16
	v_mul_f32_e32 v15, v17, v15
	v_cndmask_b32_e64 v17, 0, 32, vcc
	v_ldexp_f32 v16, v16, v17
	v_log_f32_e32 v16, v16
	v_mul_f32_e32 v17, 0x3e9a209a, v16
	v_fma_f32 v17, v16, s3, -v17
	v_fmac_f32_e32 v17, 0x3284fbcf, v16
	v_fmac_f32_e32 v17, 0x3e9a209a, v16
	v_cmp_lt_f32_e64 s[0:1], |v16|, s5
	v_cndmask_b32_e64 v16, v16, v17, s[0:1]
	v_cndmask_b32_e32 v17, 0, v21, vcc
	v_sub_f32_e32 v16, v16, v17
	v_mul_f32_e32 v17, 0xb8eba293, v38
	v_mul_f32_e32 v18, 0x3fb8aa3b, v17
	v_fma_f32 v19, v17, s9, -v18
	v_rndne_f32_e32 v25, v18
	v_fmac_f32_e32 v19, 0x32a5705f, v17
	v_sub_f32_e32 v18, v18, v25
	v_add_f32_e32 v18, v18, v19
	v_exp_f32_e32 v18, v18
	v_cvt_i32_f32_e32 v19, v25
	v_cmp_ngt_f32_e32 vcc, s8, v17
	v_ldexp_f32 v18, v18, v19
	v_cndmask_b32_e32 v18, 0, v18, vcc
	v_cmp_nlt_f32_e32 vcc, s7, v17
	v_cndmask_b32_e32 v17, v20, v18, vcc
	v_mul_f32_e32 v18, 0xb9710d4d, v38
	v_mul_f32_e32 v19, 0x3fb8aa3b, v18
	v_fma_f32 v25, v18, s9, -v19
	v_rndne_f32_e32 v26, v19
	v_fmac_f32_e32 v25, 0x32a5705f, v18
	v_sub_f32_e32 v19, v19, v26
	v_add_f32_e32 v19, v19, v25
	v_exp_f32_e32 v19, v19
	v_cvt_i32_f32_e32 v25, v26
	v_cmp_ngt_f32_e32 vcc, s8, v18
	v_ldexp_f32 v19, v19, v25
	v_cndmask_b32_e32 v19, 0, v19, vcc
	v_cmp_nlt_f32_e32 vcc, s7, v18
	v_cndmask_b32_e32 v18, v20, v19, vcc
	v_mul_f32_e32 v18, 0x3f0ccccd, v18
	v_fmac_f32_e32 v18, 0x3ee66666, v17
	v_mul_f32_e32 v17, 0xc5e26000, v23
	v_mul_f32_e32 v19, 0x3fb8aa3b, v17
	v_fma_f32 v25, v17, s9, -v19
	v_rndne_f32_e32 v26, v19
	v_fmac_f32_e32 v25, 0x32a5705f, v17
	v_sub_f32_e32 v19, v19, v26
	v_add_f32_e32 v19, v19, v25
	v_exp_f32_e32 v19, v19
	v_cvt_i32_f32_e32 v25, v26
	v_cmp_ngt_f32_e32 vcc, s8, v17
	v_ldexp_f32 v19, v19, v25
	v_cndmask_b32_e32 v19, 0, v19, vcc
	v_cmp_nlt_f32_e32 vcc, s7, v17
	v_cndmask_b32_e32 v17, v20, v19, vcc
	v_add_f32_e32 v17, v17, v18
	v_max_f32_e32 v17, 0x800000, v17
	v_cmp_gt_f32_e32 vcc, s6, v17
	v_cndmask_b32_e64 v18, 0, 32, vcc
	v_ldexp_f32 v17, v17, v18
	v_log_f32_e32 v17, v17
	v_mov_b32_e32 v19, 0x3ecccccd
	v_mul_f32_e32 v18, 0x3e9a209a, v17
	v_fma_f32 v18, v17, s3, -v18
	v_fmac_f32_e32 v18, 0x3284fbcf, v17
	v_fmac_f32_e32 v18, 0x3e9a209a, v17
	v_cmp_lt_f32_e64 s[0:1], |v17|, s5
	v_cndmask_b32_e64 v17, v17, v18, s[0:1]
	v_cndmask_b32_e32 v18, 0, v21, vcc
	v_sub_f32_e32 v17, v17, v18
	v_mov_b32_e32 v18, 0x3f400000
	v_fmac_f32_e32 v19, 0x3f2b851f, v17
	v_fmac_f32_e32 v18, 0xbfa28f5c, v17
	v_sub_f32_e32 v16, v16, v19
	v_fmac_f32_e32 v18, 0xbe0f5c29, v16
	v_div_scale_f32 v19, s[0:1], v18, v18, 1.0
	v_rcp_f32_e32 v25, v19
	v_fma_f32 v26, -v19, v25, 1.0
	v_fmac_f32_e32 v25, v26, v25
	v_div_scale_f32 v26, vcc, 1.0, v18, 1.0
	v_mul_f32_e32 v27, v26, v25
	v_fma_f32 v28, -v19, v27, v26
	v_fmac_f32_e32 v27, v28, v25
	v_fma_f32 v19, -v19, v27, v26
	v_div_fmas_f32 v19, v19, v25, v27
	v_div_fixup_f32 v18, v19, v18, 1.0
	v_mul_f32_e32 v16, v16, v18
	v_fma_f32 v16, v16, v16, 1.0
	v_div_scale_f32 v18, s[0:1], v16, v16, 1.0
	s_mul_i32 s0, s4, 0xffffff7d
	v_rcp_f32_e32 v19, v18
	v_fma_f32 v25, -v18, v19, 1.0
	v_fmac_f32_e32 v19, v25, v19
	v_div_scale_f32 v25, vcc, 1.0, v16, 1.0
	v_mul_f32_e32 v26, v25, v19
	v_fma_f32 v27, -v18, v26, v25
	v_fmac_f32_e32 v26, v27, v19
	v_fma_f32 v18, -v18, v26, v25
	v_div_fmas_f32 v18, v18, v19, v26
	v_div_fixup_f32 v16, v18, v16, 1.0
	v_mul_f32_e32 v16, v17, v16
	v_mul_f32_e32 v17, 0x40549a78, v16
	v_fma_f32 v18, v16, s10, -v17
	v_rndne_f32_e32 v19, v17
	v_fmac_f32_e32 v18, 0x33979a37, v16
	v_sub_f32_e32 v17, v17, v19
	v_add_f32_e32 v17, v17, v18
	v_exp_f32_e32 v17, v17
	v_cvt_i32_f32_e32 v18, v19
	v_cmp_ngt_f32_e32 vcc, s11, v16
	v_ldexp_f32 v17, v17, v18
	v_cndmask_b32_e32 v17, 0, v17, vcc
	v_cmp_nlt_f32_e32 vcc, s13, v16
	v_cndmask_b32_e32 v16, v20, v17, vcc
	v_mul_f32_e32 v15, v15, v16
	v_add_co_u32_e32 v11, vcc, s14, v11
	v_mul_f32_e32 v0, v0, v15
	v_addc_co_u32_e32 v12, vcc, v36, v12, vcc
	global_store_dword v[13:14], v0, off
	global_load_dword v0, v[11:12], off
	s_waitcnt vmcnt(0)
	v_mul_f32_e32 v0, v0, v15
	global_store_dword v[11:12], v0, off
	v_add_u32_e32 v0, s0, v10
	v_lshlrev_b64 v[10:11], 2, v[0:1]
	s_mul_i32 s0, s4, 0x8a
	v_add_co_u32_e32 v10, vcc, s2, v10
	v_addc_co_u32_e32 v11, vcc, v24, v11, vcc
	v_add_u32_e32 v0, s0, v0
	global_load_dword v15, v[10:11], off
	v_lshlrev_b64 v[10:11], 2, v[0:1]
	v_add_u32_e32 v0, s4, v0
	v_add_co_u32_e32 v12, vcc, s12, v10
	v_addc_co_u32_e32 v13, vcc, v40, v11, vcc
	global_load_dword v14, v[12:13], off
	s_waitcnt vmcnt(0)
	v_div_scale_f32 v16, s[0:1], v14, v14, 1.0
	v_rcp_f32_e32 v17, v16
	v_fma_f32 v18, -v16, v17, 1.0
	v_fmac_f32_e32 v17, v18, v17
	v_div_scale_f32 v18, vcc, 1.0, v14, 1.0
	v_mul_f32_e32 v19, v18, v17
	v_fma_f32 v25, -v16, v19, v18
	v_fmac_f32_e32 v19, v25, v17
	v_fma_f32 v16, -v16, v19, v18
	v_div_fmas_f32 v16, v16, v17, v19
	v_div_fixup_f32 v16, v16, v14, 1.0
	v_mul_f32_e32 v16, v41, v16
	v_mul_f32_e32 v17, v15, v16
	v_fma_f32 v15, v15, v16, 1.0
	v_div_scale_f32 v16, s[0:1], v15, v15, 1.0
	v_rcp_f32_e32 v18, v16
	v_fma_f32 v19, -v16, v18, 1.0
	v_fmac_f32_e32 v18, v19, v18
	v_div_scale_f32 v19, vcc, 1.0, v15, 1.0
	v_mul_f32_e32 v25, v19, v18
	v_fma_f32 v26, -v16, v25, v19
	v_fmac_f32_e32 v25, v26, v18
	v_fma_f32 v16, -v16, v25, v19
	v_div_fmas_f32 v16, v16, v18, v25
	v_div_fixup_f32 v15, v16, v15, 1.0
	v_max_f32_e32 v16, 0x800000, v17
	v_cmp_gt_f32_e32 vcc, s6, v16
	v_mul_f32_e32 v15, v17, v15
	v_cndmask_b32_e64 v17, 0, 32, vcc
	v_ldexp_f32 v16, v16, v17
	v_log_f32_e32 v16, v16
	v_mul_f32_e32 v17, 0x3e9a209a, v16
	v_fma_f32 v17, v16, s3, -v17
	v_fmac_f32_e32 v17, 0x3284fbcf, v16
	v_fmac_f32_e32 v17, 0x3e9a209a, v16
	v_cmp_lt_f32_e64 s[0:1], |v16|, s5
	v_cndmask_b32_e64 v16, v16, v17, s[0:1]
	v_cndmask_b32_e32 v17, 0, v21, vcc
	v_sub_f32_e32 v16, v16, v17
	v_mul_f32_e32 v17, 0xbbb60b61, v38
	v_mul_f32_e32 v18, 0x3fb8aa3b, v17
	v_fma_f32 v19, v17, s9, -v18
	v_rndne_f32_e32 v25, v18
	v_fmac_f32_e32 v19, 0x32a5705f, v17
	v_sub_f32_e32 v18, v18, v25
	v_add_f32_e32 v18, v18, v19
	v_exp_f32_e32 v18, v18
	v_cvt_i32_f32_e32 v19, v25
	v_cmp_ngt_f32_e32 vcc, s8, v17
	v_ldexp_f32 v18, v18, v19
	v_cndmask_b32_e32 v18, 0, v18, vcc
	v_cmp_nlt_f32_e32 vcc, s7, v17
	v_cndmask_b32_e32 v17, v20, v18, vcc
	v_mul_f32_e32 v18, 0xba7d477b, v38
	v_mul_f32_e32 v19, 0x3fb8aa3b, v18
	v_fma_f32 v25, v18, s9, -v19
	v_rndne_f32_e32 v26, v19
	v_fmac_f32_e32 v25, 0x32a5705f, v18
	v_sub_f32_e32 v19, v19, v26
	v_add_f32_e32 v19, v19, v25
	v_exp_f32_e32 v19, v19
	v_cvt_i32_f32_e32 v25, v26
	v_cmp_ngt_f32_e32 vcc, s8, v18
	v_ldexp_f32 v19, v19, v25
	v_cndmask_b32_e32 v19, 0, v19, vcc
	v_cmp_nlt_f32_e32 vcc, s7, v18
	v_cndmask_b32_e32 v18, v20, v19, vcc
	v_mul_f32_e32 v18, 0x3f3c0831, v18
	v_fmac_f32_e32 v18, 0x3e87ef9e, v17
	v_mul_f32_e32 v17, 0xc5a94800, v23
	v_mul_f32_e32 v19, 0x3fb8aa3b, v17
	v_fma_f32 v25, v17, s9, -v19
	v_rndne_f32_e32 v26, v19
	v_fmac_f32_e32 v25, 0x32a5705f, v17
	v_sub_f32_e32 v19, v19, v26
	v_add_f32_e32 v19, v19, v25
	v_exp_f32_e32 v19, v19
	v_cvt_i32_f32_e32 v25, v26
	v_cmp_ngt_f32_e32 vcc, s8, v17
	v_ldexp_f32 v19, v19, v25
	v_cndmask_b32_e32 v19, 0, v19, vcc
	v_cmp_nlt_f32_e32 vcc, s7, v17
	v_cndmask_b32_e32 v17, v20, v19, vcc
	v_add_f32_e32 v17, v17, v18
	v_max_f32_e32 v17, 0x800000, v17
	v_cmp_gt_f32_e32 vcc, s6, v17
	v_cndmask_b32_e64 v18, 0, 32, vcc
	v_ldexp_f32 v17, v17, v18
	v_log_f32_e32 v17, v17
	v_mov_b32_e32 v19, 0x3ecccccd
	v_mul_f32_e32 v18, 0x3e9a209a, v17
	v_fma_f32 v18, v17, s3, -v18
	v_fmac_f32_e32 v18, 0x3284fbcf, v17
	v_fmac_f32_e32 v18, 0x3e9a209a, v17
	v_cmp_lt_f32_e64 s[0:1], |v17|, s5
	v_cndmask_b32_e64 v17, v17, v18, s[0:1]
	v_cndmask_b32_e32 v18, 0, v21, vcc
	v_sub_f32_e32 v17, v17, v18
	v_mov_b32_e32 v18, 0x3f400000
	v_fmac_f32_e32 v19, 0x3f2b851f, v17
	v_fmac_f32_e32 v18, 0xbfa28f5c, v17
	v_sub_f32_e32 v16, v16, v19
	v_fmac_f32_e32 v18, 0xbe0f5c29, v16
	v_div_scale_f32 v19, s[0:1], v18, v18, 1.0
	v_rcp_f32_e32 v25, v19
	v_fma_f32 v26, -v19, v25, 1.0
	v_fmac_f32_e32 v25, v26, v25
	v_div_scale_f32 v26, vcc, 1.0, v18, 1.0
	v_mul_f32_e32 v27, v26, v25
	v_fma_f32 v28, -v19, v27, v26
	v_fmac_f32_e32 v27, v28, v25
	v_fma_f32 v19, -v19, v27, v26
	v_div_fmas_f32 v19, v19, v25, v27
	v_div_fixup_f32 v18, v19, v18, 1.0
	v_mul_f32_e32 v16, v16, v18
	v_fma_f32 v16, v16, v16, 1.0
	v_div_scale_f32 v18, s[0:1], v16, v16, 1.0
	v_rcp_f32_e32 v19, v18
	v_fma_f32 v25, -v18, v19, 1.0
	v_fmac_f32_e32 v19, v25, v19
	v_div_scale_f32 v25, vcc, 1.0, v16, 1.0
	v_mul_f32_e32 v26, v25, v19
	v_fma_f32 v27, -v18, v26, v25
	v_fmac_f32_e32 v26, v27, v19
	v_fma_f32 v18, -v18, v26, v25
	v_div_fmas_f32 v18, v18, v19, v26
	v_div_fixup_f32 v16, v18, v16, 1.0
	v_mul_f32_e32 v16, v17, v16
	v_mul_f32_e32 v17, 0x40549a78, v16
	v_fma_f32 v18, v16, s10, -v17
	v_rndne_f32_e32 v19, v17
	v_fmac_f32_e32 v18, 0x33979a37, v16
	v_sub_f32_e32 v17, v17, v19
	v_add_f32_e32 v17, v17, v18
	v_exp_f32_e32 v17, v17
	v_cvt_i32_f32_e32 v18, v19
	v_cmp_ngt_f32_e32 vcc, s11, v16
	v_ldexp_f32 v17, v17, v18
	v_cndmask_b32_e32 v17, 0, v17, vcc
	v_cmp_nlt_f32_e32 vcc, s13, v16
	v_cndmask_b32_e32 v16, v20, v17, vcc
	v_mul_f32_e32 v15, v15, v16
	v_add_co_u32_e32 v10, vcc, s14, v10
	v_mul_f32_e32 v14, v14, v15
	v_addc_co_u32_e32 v11, vcc, v36, v11, vcc
	global_store_dword v[12:13], v14, off
	global_load_dword v12, v[10:11], off
	v_add_co_u32_e32 v8, vcc, s2, v8
	v_addc_co_u32_e32 v9, vcc, v24, v9, vcc
	s_waitcnt vmcnt(0)
	v_mul_f32_e32 v12, v12, v15
	global_store_dword v[10:11], v12, off
	global_load_dword v12, v[8:9], off
	v_lshlrev_b64 v[8:9], 2, v[0:1]
	v_add_co_u32_e32 v10, vcc, s12, v8
	v_addc_co_u32_e32 v11, vcc, v40, v9, vcc
	global_load_dword v13, v[10:11], off
	s_waitcnt vmcnt(0)
	v_div_scale_f32 v14, s[0:1], v13, v13, 1.0
	v_rcp_f32_e32 v15, v14
	v_fma_f32 v16, -v14, v15, 1.0
	v_fmac_f32_e32 v15, v16, v15
	v_div_scale_f32 v16, vcc, 1.0, v13, 1.0
	v_mul_f32_e32 v17, v16, v15
	v_fma_f32 v18, -v14, v17, v16
	v_fmac_f32_e32 v17, v18, v15
	v_fma_f32 v14, -v14, v17, v16
	v_div_fmas_f32 v14, v14, v15, v17
	v_div_fixup_f32 v14, v14, v13, 1.0
	v_mul_f32_e32 v14, v41, v14
	v_mul_f32_e32 v15, v12, v14
	v_fma_f32 v12, v12, v14, 1.0
	v_div_scale_f32 v14, s[0:1], v12, v12, 1.0
	v_rcp_f32_e32 v16, v14
	v_fma_f32 v17, -v14, v16, 1.0
	v_fmac_f32_e32 v16, v17, v16
	v_div_scale_f32 v17, vcc, 1.0, v12, 1.0
	v_mul_f32_e32 v18, v17, v16
	v_fma_f32 v19, -v14, v18, v17
	v_fmac_f32_e32 v18, v19, v16
	v_fma_f32 v14, -v14, v18, v17
	v_div_fmas_f32 v14, v14, v16, v18
	v_div_fixup_f32 v12, v14, v12, 1.0
	v_max_f32_e32 v14, 0x800000, v15
	v_cmp_gt_f32_e32 vcc, s6, v14
	v_mul_f32_e32 v12, v15, v12
	v_cndmask_b32_e64 v15, 0, 32, vcc
	v_ldexp_f32 v14, v14, v15
	v_log_f32_e32 v14, v14
	v_mul_f32_e32 v15, 0x3e9a209a, v14
	v_fma_f32 v15, v14, s3, -v15
	v_fmac_f32_e32 v15, 0x3284fbcf, v14
	v_fmac_f32_e32 v15, 0x3e9a209a, v14
	v_cmp_lt_f32_e64 s[0:1], |v14|, s5
	v_cndmask_b32_e64 v14, v14, v15, s[0:1]
	v_cndmask_b32_e32 v15, 0, v21, vcc
	v_sub_f32_e32 v14, v14, v15
	v_mul_f32_e32 v15, 0xbb9c09c1, v38
	v_mul_f32_e32 v16, 0x3fb8aa3b, v15
	v_fma_f32 v17, v15, s9, -v16
	v_rndne_f32_e32 v18, v16
	v_fmac_f32_e32 v17, 0x32a5705f, v15
	v_sub_f32_e32 v16, v16, v18
	v_add_f32_e32 v16, v16, v17
	v_exp_f32_e32 v16, v16
	v_cvt_i32_f32_e32 v17, v18
	v_cmp_ngt_f32_e32 vcc, s8, v15
	v_ldexp_f32 v16, v16, v17
	v_cndmask_b32_e32 v16, 0, v16, vcc
	v_cmp_nlt_f32_e32 vcc, s7, v15
	v_cndmask_b32_e32 v15, v20, v16, vcc
	v_mul_f32_e32 v16, 0xba853408, v38
	v_mul_f32_e32 v17, 0x3fb8aa3b, v16
	v_fma_f32 v18, v16, s9, -v17
	v_rndne_f32_e32 v19, v17
	v_fmac_f32_e32 v18, 0x32a5705f, v16
	v_sub_f32_e32 v17, v17, v19
	v_add_f32_e32 v17, v17, v18
	v_exp_f32_e32 v17, v17
	v_cvt_i32_f32_e32 v18, v19
	v_cmp_ngt_f32_e32 vcc, s8, v16
	v_ldexp_f32 v17, v17, v18
	v_cndmask_b32_e32 v17, 0, v17, vcc
	v_cmp_nlt_f32_e32 vcc, s7, v16
	v_cndmask_b32_e32 v16, v20, v17, vcc
	v_mul_f32_e32 v16, 0x3f79ad43, v16
	v_fmac_f32_e32 v16, 0x3cca57a8, v15
	v_mul_f32_e32 v15, 0xc588b000, v23
	v_mul_f32_e32 v17, 0x3fb8aa3b, v15
	v_fma_f32 v18, v15, s9, -v17
	v_rndne_f32_e32 v19, v17
	v_fmac_f32_e32 v18, 0x32a5705f, v15
	v_sub_f32_e32 v17, v17, v19
	v_add_f32_e32 v17, v17, v18
	v_exp_f32_e32 v17, v17
	v_cvt_i32_f32_e32 v18, v19
	v_cmp_ngt_f32_e32 vcc, s8, v15
	v_ldexp_f32 v17, v17, v18
	v_cndmask_b32_e32 v17, 0, v17, vcc
	v_cmp_nlt_f32_e32 vcc, s7, v15
	v_cndmask_b32_e32 v15, v20, v17, vcc
	v_add_f32_e32 v15, v15, v16
	v_max_f32_e32 v15, 0x800000, v15
	v_cmp_gt_f32_e32 vcc, s6, v15
	v_cndmask_b32_e64 v16, 0, 32, vcc
	v_ldexp_f32 v15, v15, v16
	v_log_f32_e32 v15, v15
	v_mov_b32_e32 v17, 0x3ecccccd
	v_mul_f32_e32 v16, 0x3e9a209a, v15
	v_fma_f32 v16, v15, s3, -v16
	v_fmac_f32_e32 v16, 0x3284fbcf, v15
	v_fmac_f32_e32 v16, 0x3e9a209a, v15
	v_cmp_lt_f32_e64 s[0:1], |v15|, s5
	v_cndmask_b32_e64 v15, v15, v16, s[0:1]
	v_cndmask_b32_e32 v16, 0, v21, vcc
	v_sub_f32_e32 v15, v15, v16
	v_mov_b32_e32 v16, 0x3f400000
	v_fmac_f32_e32 v17, 0x3f2b851f, v15
	v_fmac_f32_e32 v16, 0xbfa28f5c, v15
	v_sub_f32_e32 v14, v14, v17
	v_fmac_f32_e32 v16, 0xbe0f5c29, v14
	v_div_scale_f32 v17, s[0:1], v16, v16, 1.0
	v_rcp_f32_e32 v18, v17
	v_fma_f32 v19, -v17, v18, 1.0
	v_fmac_f32_e32 v18, v19, v18
	v_div_scale_f32 v19, vcc, 1.0, v16, 1.0
	v_mul_f32_e32 v25, v19, v18
	v_fma_f32 v26, -v17, v25, v19
	v_fmac_f32_e32 v25, v26, v18
	v_fma_f32 v17, -v17, v25, v19
	v_div_fmas_f32 v17, v17, v18, v25
	v_div_fixup_f32 v16, v17, v16, 1.0
	v_mul_f32_e32 v14, v14, v16
	v_fma_f32 v14, v14, v14, 1.0
	v_div_scale_f32 v16, s[0:1], v14, v14, 1.0
	v_rcp_f32_e32 v17, v16
	v_fma_f32 v18, -v16, v17, 1.0
	v_fmac_f32_e32 v17, v18, v17
	v_div_scale_f32 v18, vcc, 1.0, v14, 1.0
	v_mul_f32_e32 v19, v18, v17
	v_fma_f32 v25, -v16, v19, v18
	v_fmac_f32_e32 v19, v25, v17
	v_fma_f32 v16, -v16, v19, v18
	v_div_fmas_f32 v16, v16, v17, v19
	v_div_fixup_f32 v14, v16, v14, 1.0
	v_mul_f32_e32 v14, v15, v14
	v_mul_f32_e32 v15, 0x40549a78, v14
	v_fma_f32 v16, v14, s10, -v15
	v_rndne_f32_e32 v17, v15
	v_fmac_f32_e32 v16, 0x33979a37, v14
	v_sub_f32_e32 v15, v15, v17
	v_add_f32_e32 v15, v15, v16
	v_exp_f32_e32 v15, v15
	v_cvt_i32_f32_e32 v16, v17
	v_cmp_ngt_f32_e32 vcc, s11, v14
	v_ldexp_f32 v15, v15, v16
	v_cndmask_b32_e32 v15, 0, v15, vcc
	v_cmp_nlt_f32_e32 vcc, s13, v14
	v_cndmask_b32_e32 v14, v20, v15, vcc
	v_mul_f32_e32 v12, v12, v14
	v_add_co_u32_e32 v8, vcc, s14, v8
	v_mul_f32_e32 v13, v13, v12
	v_addc_co_u32_e32 v9, vcc, v36, v9, vcc
	global_store_dword v[10:11], v13, off
	global_load_dword v10, v[8:9], off
	v_add_co_u32_e32 v6, vcc, s2, v6
	v_addc_co_u32_e32 v7, vcc, v24, v7, vcc
	global_load_dword v11, v[6:7], off
	v_mad_u64_u32 v[6:7], s[0:1], s4, 14, v[0:1]
	v_mov_b32_e32 v7, v1
	s_waitcnt vmcnt(1)
	v_mul_f32_e32 v10, v10, v12
	global_store_dword v[8:9], v10, off
	v_lshlrev_b64 v[7:8], 2, v[6:7]
	v_add_co_u32_e32 v9, vcc, s12, v7
	v_addc_co_u32_e32 v10, vcc, v40, v8, vcc
	global_load_dword v0, v[9:10], off
	s_waitcnt vmcnt(0)
	v_div_scale_f32 v12, s[0:1], v0, v0, 1.0
	v_rcp_f32_e32 v13, v12
	v_fma_f32 v14, -v12, v13, 1.0
	v_fmac_f32_e32 v13, v14, v13
	v_div_scale_f32 v14, vcc, 1.0, v0, 1.0
	v_mul_f32_e32 v15, v14, v13
	v_fma_f32 v16, -v12, v15, v14
	v_fmac_f32_e32 v15, v16, v13
	v_fma_f32 v12, -v12, v15, v14
	v_div_fmas_f32 v12, v12, v13, v15
	v_div_fixup_f32 v12, v12, v0, 1.0
	v_mul_f32_e32 v12, v41, v12
	v_mul_f32_e32 v13, v11, v12
	v_fma_f32 v11, v11, v12, 1.0
	v_div_scale_f32 v12, s[0:1], v11, v11, 1.0
	v_rcp_f32_e32 v14, v12
	v_fma_f32 v15, -v12, v14, 1.0
	v_fmac_f32_e32 v14, v15, v14
	v_div_scale_f32 v15, vcc, 1.0, v11, 1.0
	v_mul_f32_e32 v16, v15, v14
	v_fma_f32 v17, -v12, v16, v15
	v_fmac_f32_e32 v16, v17, v14
	v_fma_f32 v12, -v12, v16, v15
	v_div_fmas_f32 v12, v12, v14, v16
	v_div_fixup_f32 v11, v12, v11, 1.0
	v_max_f32_e32 v12, 0x800000, v13
	v_cmp_gt_f32_e32 vcc, s6, v12
	v_mul_f32_e32 v11, v13, v11
	v_cndmask_b32_e64 v13, 0, 32, vcc
	v_ldexp_f32 v12, v12, v13
	v_log_f32_e32 v12, v12
	v_mul_f32_e32 v13, 0x3e9a209a, v12
	v_fma_f32 v13, v12, s3, -v13
	v_fmac_f32_e32 v13, 0x3284fbcf, v12
	v_fmac_f32_e32 v13, 0x3e9a209a, v12
	v_cmp_lt_f32_e64 s[0:1], |v12|, s5
	v_cndmask_b32_e64 v12, v12, v13, s[0:1]
	v_cndmask_b32_e32 v13, 0, v21, vcc
	v_sub_f32_e32 v12, v12, v13
	v_mul_f32_e32 v13, 0xbc03126f, v38
	v_mul_f32_e32 v14, 0x3fb8aa3b, v13
	v_fma_f32 v15, v13, s9, -v14
	v_rndne_f32_e32 v16, v14
	v_fmac_f32_e32 v15, 0x32a5705f, v13
	v_sub_f32_e32 v14, v14, v16
	v_add_f32_e32 v14, v14, v15
	v_exp_f32_e32 v14, v14
	v_cvt_i32_f32_e32 v15, v16
	v_cmp_ngt_f32_e32 vcc, s8, v13
	v_ldexp_f32 v14, v14, v15
	v_cndmask_b32_e32 v14, 0, v14, vcc
	v_cmp_nlt_f32_e32 vcc, s7, v13
	v_cndmask_b32_e32 v13, v20, v14, vcc
	v_mul_f32_e32 v14, 0xb9ec45af, v38
	v_mul_f32_e32 v15, 0x3fb8aa3b, v14
	v_fma_f32 v16, v14, s9, -v15
	v_rndne_f32_e32 v17, v15
	v_fmac_f32_e32 v16, 0x32a5705f, v14
	v_sub_f32_e32 v15, v15, v17
	v_add_f32_e32 v15, v15, v16
	v_exp_f32_e32 v15, v15
	v_cvt_i32_f32_e32 v16, v17
	v_cmp_ngt_f32_e32 vcc, s8, v14
	v_ldexp_f32 v15, v15, v16
	v_cndmask_b32_e32 v15, 0, v15, vcc
	v_cmp_nlt_f32_e32 vcc, s7, v14
	v_cndmask_b32_e32 v14, v20, v15, vcc
	v_mul_f32_e32 v14, 0x3f579a6b, v14
	v_fmac_f32_e32 v14, 0x3e219653, v13
	v_mul_f32_e32 v13, 0xc5d71000, v23
	v_mul_f32_e32 v15, 0x3fb8aa3b, v13
	v_fma_f32 v16, v13, s9, -v15
	v_rndne_f32_e32 v17, v15
	v_fmac_f32_e32 v16, 0x32a5705f, v13
	v_sub_f32_e32 v15, v15, v17
	v_add_f32_e32 v15, v15, v16
	v_exp_f32_e32 v15, v15
	v_cvt_i32_f32_e32 v16, v17
	v_cmp_ngt_f32_e32 vcc, s8, v13
	v_ldexp_f32 v15, v15, v16
	v_cndmask_b32_e32 v15, 0, v15, vcc
	v_cmp_nlt_f32_e32 vcc, s7, v13
	v_cndmask_b32_e32 v13, v20, v15, vcc
	v_add_f32_e32 v13, v13, v14
	v_max_f32_e32 v13, 0x800000, v13
	v_cmp_gt_f32_e32 vcc, s6, v13
	v_cndmask_b32_e64 v14, 0, 32, vcc
	v_ldexp_f32 v13, v13, v14
	v_log_f32_e32 v13, v13
	v_mov_b32_e32 v15, 0x3ecccccd
	v_mul_f32_e32 v14, 0x3e9a209a, v13
	v_fma_f32 v14, v13, s3, -v14
	v_fmac_f32_e32 v14, 0x3284fbcf, v13
	v_fmac_f32_e32 v14, 0x3e9a209a, v13
	v_cmp_lt_f32_e64 s[0:1], |v13|, s5
	v_cndmask_b32_e64 v13, v13, v14, s[0:1]
	v_cndmask_b32_e32 v14, 0, v21, vcc
	v_sub_f32_e32 v13, v13, v14
	v_mov_b32_e32 v14, 0x3f400000
	v_fmac_f32_e32 v15, 0x3f2b851f, v13
	v_fmac_f32_e32 v14, 0xbfa28f5c, v13
	v_sub_f32_e32 v12, v12, v15
	v_fmac_f32_e32 v14, 0xbe0f5c29, v12
	v_div_scale_f32 v15, s[0:1], v14, v14, 1.0
	v_rcp_f32_e32 v16, v15
	v_fma_f32 v17, -v15, v16, 1.0
	v_fmac_f32_e32 v16, v17, v16
	v_div_scale_f32 v17, vcc, 1.0, v14, 1.0
	v_mul_f32_e32 v18, v17, v16
	v_fma_f32 v19, -v15, v18, v17
	v_fmac_f32_e32 v18, v19, v16
	v_fma_f32 v15, -v15, v18, v17
	v_div_fmas_f32 v15, v15, v16, v18
	v_div_fixup_f32 v14, v15, v14, 1.0
	v_mul_f32_e32 v12, v12, v14
	v_fma_f32 v12, v12, v12, 1.0
	v_div_scale_f32 v14, s[0:1], v12, v12, 1.0
	v_rcp_f32_e32 v15, v14
	v_fma_f32 v16, -v14, v15, 1.0
	v_fmac_f32_e32 v15, v16, v15
	v_div_scale_f32 v16, vcc, 1.0, v12, 1.0
	v_mul_f32_e32 v17, v16, v15
	v_fma_f32 v18, -v14, v17, v16
	v_fmac_f32_e32 v17, v18, v15
	v_fma_f32 v14, -v14, v17, v16
	v_div_fmas_f32 v14, v14, v15, v17
	v_div_fixup_f32 v12, v14, v12, 1.0
	v_mul_f32_e32 v12, v13, v12
	v_mul_f32_e32 v13, 0x40549a78, v12
	v_fma_f32 v14, v12, s10, -v13
	v_rndne_f32_e32 v15, v13
	v_fmac_f32_e32 v14, 0x33979a37, v12
	v_sub_f32_e32 v13, v13, v15
	v_add_f32_e32 v13, v13, v14
	v_exp_f32_e32 v13, v13
	v_cvt_i32_f32_e32 v14, v15
	v_cmp_ngt_f32_e32 vcc, s11, v12
	v_ldexp_f32 v13, v13, v14
	v_cndmask_b32_e32 v13, 0, v13, vcc
	v_cmp_nlt_f32_e32 vcc, s13, v12
	v_cndmask_b32_e32 v12, v20, v13, vcc
	v_mul_f32_e32 v11, v11, v12
	v_add_co_u32_e32 v7, vcc, s14, v7
	v_mul_f32_e32 v0, v0, v11
	v_addc_co_u32_e32 v8, vcc, v36, v8, vcc
	global_store_dword v[9:10], v0, off
	global_load_dword v0, v[7:8], off
	v_add_co_u32_e32 v4, vcc, s2, v4
	v_addc_co_u32_e32 v5, vcc, v24, v5, vcc
	global_load_dword v9, v[4:5], off
	v_mad_u64_u32 v[4:5], s[0:1], s4, 15, v[6:7]
	v_mov_b32_e32 v5, v1
	v_lshlrev_b64 v[5:6], 2, v[4:5]
	s_waitcnt vmcnt(1)
	v_mul_f32_e32 v0, v0, v11
	global_store_dword v[7:8], v0, off
	v_add_co_u32_e32 v7, vcc, s12, v5
	v_addc_co_u32_e32 v8, vcc, v40, v6, vcc
	global_load_dword v0, v[7:8], off
	s_waitcnt vmcnt(0)
	v_div_scale_f32 v10, s[0:1], v0, v0, 1.0
	v_rcp_f32_e32 v11, v10
	v_fma_f32 v12, -v10, v11, 1.0
	v_fmac_f32_e32 v11, v12, v11
	v_div_scale_f32 v12, vcc, 1.0, v0, 1.0
	v_mul_f32_e32 v13, v12, v11
	v_fma_f32 v14, -v10, v13, v12
	v_fmac_f32_e32 v13, v14, v11
	v_fma_f32 v10, -v10, v13, v12
	v_div_fmas_f32 v10, v10, v11, v13
	v_div_fixup_f32 v10, v10, v0, 1.0
	v_mul_f32_e32 v10, v41, v10
	v_mul_f32_e32 v11, v9, v10
	v_fma_f32 v9, v9, v10, 1.0
	v_div_scale_f32 v10, s[0:1], v9, v9, 1.0
	v_rcp_f32_e32 v12, v10
	v_fma_f32 v13, -v10, v12, 1.0
	v_fmac_f32_e32 v12, v13, v12
	v_div_scale_f32 v13, vcc, 1.0, v9, 1.0
	v_mul_f32_e32 v14, v13, v12
	v_fma_f32 v15, -v10, v14, v13
	v_fmac_f32_e32 v14, v15, v12
	v_fma_f32 v10, -v10, v14, v13
	v_div_fmas_f32 v10, v10, v12, v14
	v_div_fixup_f32 v9, v10, v9, 1.0
	v_max_f32_e32 v10, 0x800000, v11
	v_cmp_gt_f32_e32 vcc, s6, v10
	v_mul_f32_e32 v9, v11, v9
	v_cndmask_b32_e64 v11, 0, 32, vcc
	v_ldexp_f32 v10, v10, v11
	v_log_f32_e32 v10, v10
	v_mul_f32_e32 v11, 0x3e9a209a, v10
	v_fma_f32 v11, v10, s3, -v11
	v_fmac_f32_e32 v11, 0x3284fbcf, v10
	v_fmac_f32_e32 v11, 0x3e9a209a, v10
	v_cmp_lt_f32_e64 s[0:1], |v10|, s5
	v_cndmask_b32_e64 v10, v10, v11, s[0:1]
	v_cndmask_b32_e32 v11, 0, v21, vcc
	v_sub_f32_e32 v10, v10, v11
	v_mul_f32_e32 v11, 0xba6f0d37, v38
	v_mul_f32_e32 v12, 0x3fb8aa3b, v11
	v_fma_f32 v13, v11, s9, -v12
	v_rndne_f32_e32 v14, v12
	v_fmac_f32_e32 v13, 0x32a5705f, v11
	v_sub_f32_e32 v12, v12, v14
	v_add_f32_e32 v12, v12, v13
	v_exp_f32_e32 v12, v12
	v_cvt_i32_f32_e32 v13, v14
	v_cmp_ngt_f32_e32 vcc, s8, v11
	v_ldexp_f32 v12, v12, v13
	v_cndmask_b32_e32 v12, 0, v12, vcc
	v_cmp_nlt_f32_e32 vcc, s7, v11
	v_cndmask_b32_e32 v11, v20, v12, vcc
	v_mul_f32_e32 v12, 0x3ca3d70a, v11
	v_fmac_f32_e32 v12, 0x3f7ae148, v11
	v_mul_f32_e32 v11, 0xc5d65c00, v23
	v_mul_f32_e32 v13, 0x3fb8aa3b, v11
	v_fma_f32 v14, v11, s9, -v13
	v_rndne_f32_e32 v15, v13
	v_fmac_f32_e32 v14, 0x32a5705f, v11
	v_sub_f32_e32 v13, v13, v15
	v_add_f32_e32 v13, v13, v14
	v_exp_f32_e32 v13, v13
	v_cvt_i32_f32_e32 v14, v15
	v_cmp_ngt_f32_e32 vcc, s8, v11
	v_ldexp_f32 v13, v13, v14
	v_cndmask_b32_e32 v13, 0, v13, vcc
	v_cmp_nlt_f32_e32 vcc, s7, v11
	v_cndmask_b32_e32 v11, v20, v13, vcc
	v_add_f32_e32 v11, v11, v12
	v_max_f32_e32 v11, 0x800000, v11
	v_cmp_gt_f32_e32 vcc, s6, v11
	v_cndmask_b32_e64 v12, 0, 32, vcc
	v_ldexp_f32 v11, v11, v12
	v_log_f32_e32 v11, v11
	v_mov_b32_e32 v13, 0x3ecccccd
	v_mul_f32_e32 v12, 0x3e9a209a, v11
	v_fma_f32 v12, v11, s3, -v12
	v_fmac_f32_e32 v12, 0x3284fbcf, v11
	v_fmac_f32_e32 v12, 0x3e9a209a, v11
	v_cmp_lt_f32_e64 s[0:1], |v11|, s5
	v_cndmask_b32_e64 v11, v11, v12, s[0:1]
	v_cndmask_b32_e32 v12, 0, v21, vcc
	v_sub_f32_e32 v11, v11, v12
	v_mov_b32_e32 v12, 0x3f400000
	v_fmac_f32_e32 v13, 0x3f2b851f, v11
	v_fmac_f32_e32 v12, 0xbfa28f5c, v11
	v_sub_f32_e32 v10, v10, v13
	v_fmac_f32_e32 v12, 0xbe0f5c29, v10
	v_div_scale_f32 v13, s[0:1], v12, v12, 1.0
	v_rcp_f32_e32 v14, v13
	v_fma_f32 v15, -v13, v14, 1.0
	v_fmac_f32_e32 v14, v15, v14
	v_div_scale_f32 v15, vcc, 1.0, v12, 1.0
	v_mul_f32_e32 v16, v15, v14
	v_fma_f32 v17, -v13, v16, v15
	v_fmac_f32_e32 v16, v17, v14
	v_fma_f32 v13, -v13, v16, v15
	v_div_fmas_f32 v13, v13, v14, v16
	v_div_fixup_f32 v12, v13, v12, 1.0
	v_mul_f32_e32 v10, v10, v12
	v_fma_f32 v10, v10, v10, 1.0
	v_div_scale_f32 v12, s[0:1], v10, v10, 1.0
	v_rcp_f32_e32 v13, v12
	v_fma_f32 v14, -v12, v13, 1.0
	v_fmac_f32_e32 v13, v14, v13
	v_div_scale_f32 v14, vcc, 1.0, v10, 1.0
	v_mul_f32_e32 v15, v14, v13
	v_fma_f32 v16, -v12, v15, v14
	v_fmac_f32_e32 v15, v16, v13
	v_fma_f32 v12, -v12, v15, v14
	v_div_fmas_f32 v12, v12, v13, v15
	v_div_fixup_f32 v10, v12, v10, 1.0
	v_mul_f32_e32 v10, v11, v10
	v_mul_f32_e32 v11, 0x40549a78, v10
	v_fma_f32 v12, v10, s10, -v11
	v_rndne_f32_e32 v13, v11
	v_fmac_f32_e32 v12, 0x33979a37, v10
	v_sub_f32_e32 v11, v11, v13
	v_add_f32_e32 v11, v11, v12
	v_exp_f32_e32 v11, v11
	v_cvt_i32_f32_e32 v12, v13
	v_cmp_ngt_f32_e32 vcc, s11, v10
	v_ldexp_f32 v11, v11, v12
	v_cndmask_b32_e32 v11, 0, v11, vcc
	v_cmp_nlt_f32_e32 vcc, s13, v10
	v_cndmask_b32_e32 v10, v20, v11, vcc
	v_mul_f32_e32 v9, v9, v10
	v_add_co_u32_e32 v5, vcc, s14, v5
	v_mul_f32_e32 v0, v0, v9
	v_addc_co_u32_e32 v6, vcc, v36, v6, vcc
	global_store_dword v[7:8], v0, off
	global_load_dword v0, v[5:6], off
	v_add_co_u32_e32 v2, vcc, s2, v2
	v_addc_co_u32_e32 v3, vcc, v24, v3, vcc
	s_waitcnt vmcnt(0)
	v_mul_f32_e32 v0, v0, v9
	global_store_dword v[5:6], v0, off
	v_add_u32_e32 v0, s15, v4
	v_lshlrev_b64 v[0:1], 2, v[0:1]
	global_load_dword v6, v[2:3], off
	v_add_co_u32_e32 v2, vcc, s12, v0
	v_addc_co_u32_e32 v3, vcc, v40, v1, vcc
	global_load_dword v5, v[2:3], off
	s_waitcnt vmcnt(0)
	v_div_scale_f32 v4, s[0:1], v5, v5, 1.0
	v_rcp_f32_e32 v7, v4
	v_fma_f32 v8, -v4, v7, 1.0
	v_fmac_f32_e32 v7, v8, v7
	v_div_scale_f32 v8, vcc, 1.0, v5, 1.0
	v_mul_f32_e32 v9, v8, v7
	v_fma_f32 v10, -v4, v9, v8
	v_fmac_f32_e32 v9, v10, v7
	v_fma_f32 v4, -v4, v9, v8
	v_div_fmas_f32 v4, v4, v7, v9
	v_div_fixup_f32 v4, v4, v5, 1.0
	v_mul_f32_e32 v4, v39, v4
	v_mul_f32_e32 v7, v6, v4
	v_fma_f32 v4, v6, v4, 1.0
	v_div_scale_f32 v6, s[0:1], v4, v4, 1.0
	v_rcp_f32_e32 v8, v6
	v_fma_f32 v9, -v6, v8, 1.0
	v_fmac_f32_e32 v8, v9, v8
	v_div_scale_f32 v9, vcc, 1.0, v4, 1.0
	v_mul_f32_e32 v10, v9, v8
	v_fma_f32 v11, -v6, v10, v9
	v_fmac_f32_e32 v10, v11, v8
	v_fma_f32 v6, -v6, v10, v9
	v_div_fmas_f32 v6, v6, v8, v10
	v_div_fixup_f32 v4, v6, v4, 1.0
	v_max_f32_e32 v6, 0x800000, v7
	v_cmp_gt_f32_e32 vcc, s6, v6
	v_mul_f32_e32 v4, v7, v4
	v_cndmask_b32_e64 v7, 0, 32, vcc
	v_ldexp_f32 v6, v6, v7
	v_log_f32_e32 v6, v6
	v_mul_f32_e32 v7, 0x3e9a209a, v6
	v_fma_f32 v7, v6, s3, -v7
	v_fmac_f32_e32 v7, 0x3284fbcf, v6
	v_fmac_f32_e32 v7, 0x3e9a209a, v6
	v_cmp_lt_f32_e64 s[0:1], |v6|, s5
	v_cndmask_b32_e64 v6, v6, v7, s[0:1]
	v_cndmask_b32_e32 v7, 0, v21, vcc
	v_sub_f32_e32 v6, v6, v7
	v_mul_f32_e32 v7, 0xba83126f, v38
	v_mul_f32_e32 v8, 0x3fb8aa3b, v7
	v_fma_f32 v9, v7, s9, -v8
	v_rndne_f32_e32 v10, v8
	v_fmac_f32_e32 v9, 0x32a5705f, v7
	v_sub_f32_e32 v8, v8, v10
	v_add_f32_e32 v8, v8, v9
	v_exp_f32_e32 v8, v8
	v_cvt_i32_f32_e32 v9, v10
	v_cmp_ngt_f32_e32 vcc, s8, v7
	v_ldexp_f32 v8, v8, v9
	v_cndmask_b32_e32 v8, 0, v8, vcc
	v_cmp_nlt_f32_e32 vcc, s7, v7
	v_cndmask_b32_e32 v7, v20, v8, vcc
	v_mul_f32_e32 v8, 0xba481c24, v38
	v_mul_f32_e32 v9, 0x3fb8aa3b, v8
	v_fma_f32 v10, v8, s9, -v9
	v_rndne_f32_e32 v11, v9
	v_fmac_f32_e32 v10, 0x32a5705f, v8
	v_sub_f32_e32 v9, v9, v11
	v_add_f32_e32 v9, v9, v10
	v_exp_f32_e32 v9, v9
	v_cvt_i32_f32_e32 v10, v11
	v_cmp_ngt_f32_e32 vcc, s8, v8
	v_ldexp_f32 v9, v9, v10
	v_cndmask_b32_e32 v9, 0, v9, vcc
	v_cmp_nlt_f32_e32 vcc, s7, v8
	v_cndmask_b32_e32 v8, v20, v9, vcc
	v_fmac_f32_e32 v8, 0, v7
	v_mul_f32_e32 v7, 0xc73be100, v23
	v_mul_f32_e32 v9, 0x3fb8aa3b, v7
	v_fma_f32 v10, v7, s9, -v9
	v_rndne_f32_e32 v11, v9
	v_fmac_f32_e32 v10, 0x32a5705f, v7
	v_sub_f32_e32 v9, v9, v11
	v_add_f32_e32 v9, v9, v10
	v_exp_f32_e32 v9, v9
	v_cvt_i32_f32_e32 v10, v11
	v_cmp_ngt_f32_e32 vcc, s8, v7
	v_ldexp_f32 v9, v9, v10
	v_cndmask_b32_e32 v9, 0, v9, vcc
	v_cmp_nlt_f32_e32 vcc, s7, v7
	v_cndmask_b32_e32 v7, v20, v9, vcc
	v_add_f32_e32 v7, v7, v8
	v_max_f32_e32 v7, 0x800000, v7
	v_cmp_gt_f32_e32 vcc, s6, v7
	v_cndmask_b32_e64 v8, 0, 32, vcc
	v_ldexp_f32 v7, v7, v8
	v_log_f32_e32 v7, v7
	v_mul_f32_e32 v8, 0x3e9a209a, v7
	v_fma_f32 v8, v7, s3, -v8
	v_fmac_f32_e32 v8, 0x3284fbcf, v7
	v_fmac_f32_e32 v8, 0x3e9a209a, v7
	v_cmp_lt_f32_e64 s[0:1], |v7|, s5
	v_cndmask_b32_e64 v7, v7, v8, s[0:1]
	v_cndmask_b32_e32 v8, 0, v21, vcc
	v_sub_f32_e32 v7, v7, v8
	v_fmac_f32_e32 v22, 0x3f2b851f, v7
	v_fmac_f32_e32 v37, 0xbfa28f5c, v7
	v_sub_f32_e32 v6, v6, v22
	v_fmac_f32_e32 v37, 0xbe0f5c29, v6
	v_div_scale_f32 v8, s[0:1], v37, v37, 1.0
	v_rcp_f32_e32 v9, v8
	v_fma_f32 v10, -v8, v9, 1.0
	v_fmac_f32_e32 v9, v10, v9
	v_div_scale_f32 v10, vcc, 1.0, v37, 1.0
	v_mul_f32_e32 v11, v10, v9
	v_fma_f32 v12, -v8, v11, v10
	v_fmac_f32_e32 v11, v12, v9
	v_fma_f32 v8, -v8, v11, v10
	v_div_fmas_f32 v8, v8, v9, v11
	v_div_fixup_f32 v8, v8, v37, 1.0
	v_mul_f32_e32 v6, v6, v8
	v_fma_f32 v6, v6, v6, 1.0
	v_div_scale_f32 v8, s[0:1], v6, v6, 1.0
	v_rcp_f32_e32 v9, v8
	v_fma_f32 v10, -v8, v9, 1.0
	v_fmac_f32_e32 v9, v10, v9
	v_div_scale_f32 v10, vcc, 1.0, v6, 1.0
	v_mul_f32_e32 v11, v10, v9
	v_fma_f32 v12, -v8, v11, v10
	v_fmac_f32_e32 v11, v12, v9
	v_fma_f32 v8, -v8, v11, v10
	v_div_fmas_f32 v8, v8, v9, v11
	v_div_fixup_f32 v6, v8, v6, 1.0
	v_mul_f32_e32 v6, v7, v6
	v_mul_f32_e32 v7, 0x40549a78, v6
	v_fma_f32 v8, v6, s10, -v7
	v_rndne_f32_e32 v9, v7
	v_fmac_f32_e32 v8, 0x33979a37, v6
	v_sub_f32_e32 v7, v7, v9
	v_add_f32_e32 v7, v7, v8
	v_exp_f32_e32 v7, v7
	v_cvt_i32_f32_e32 v8, v9
	v_cmp_ngt_f32_e32 vcc, s11, v6
	v_ldexp_f32 v7, v7, v8
	v_cndmask_b32_e32 v7, 0, v7, vcc
	v_cmp_nlt_f32_e32 vcc, s13, v6
	v_cndmask_b32_e32 v6, v20, v7, vcc
	v_mul_f32_e32 v4, v4, v6
	v_add_co_u32_e32 v0, vcc, s14, v0
	v_mul_f32_e32 v5, v5, v4
	v_addc_co_u32_e32 v1, vcc, v36, v1, vcc
	global_store_dword v[2:3], v5, off
	global_load_dword v2, v[0:1], off
	s_waitcnt vmcnt(0)
	v_mul_f32_e32 v2, v2, v4
	global_store_dword v[0:1], v2, off
	s_endpgm
	.section	.rodata,"a",@progbits
	.p2align	6, 0x0
	.amdhsa_kernel _Z12ratxb_kernelIfEvPKT_S2_PS0_S3_S2_S0_
		.amdhsa_group_segment_fixed_size 0
		.amdhsa_private_segment_fixed_size 0
		.amdhsa_kernarg_size 304
		.amdhsa_user_sgpr_count 6
		.amdhsa_user_sgpr_private_segment_buffer 1
		.amdhsa_user_sgpr_dispatch_ptr 0
		.amdhsa_user_sgpr_queue_ptr 0
		.amdhsa_user_sgpr_kernarg_segment_ptr 1
		.amdhsa_user_sgpr_dispatch_id 0
		.amdhsa_user_sgpr_flat_scratch_init 0
		.amdhsa_user_sgpr_private_segment_size 0
		.amdhsa_uses_dynamic_stack 0
		.amdhsa_system_sgpr_private_segment_wavefront_offset 0
		.amdhsa_system_sgpr_workgroup_id_x 1
		.amdhsa_system_sgpr_workgroup_id_y 0
		.amdhsa_system_sgpr_workgroup_id_z 0
		.amdhsa_system_sgpr_workgroup_info 0
		.amdhsa_system_vgpr_workitem_id 0
		.amdhsa_next_free_vgpr 57
		.amdhsa_next_free_sgpr 16
		.amdhsa_reserve_vcc 1
		.amdhsa_reserve_flat_scratch 0
		.amdhsa_float_round_mode_32 0
		.amdhsa_float_round_mode_16_64 0
		.amdhsa_float_denorm_mode_32 3
		.amdhsa_float_denorm_mode_16_64 3
		.amdhsa_dx10_clamp 1
		.amdhsa_ieee_mode 1
		.amdhsa_fp16_overflow 0
		.amdhsa_exception_fp_ieee_invalid_op 0
		.amdhsa_exception_fp_denorm_src 0
		.amdhsa_exception_fp_ieee_div_zero 0
		.amdhsa_exception_fp_ieee_overflow 0
		.amdhsa_exception_fp_ieee_underflow 0
		.amdhsa_exception_fp_ieee_inexact 0
		.amdhsa_exception_int_div_zero 0
	.end_amdhsa_kernel
	.section	.text._Z12ratxb_kernelIfEvPKT_S2_PS0_S3_S2_S0_,"axG",@progbits,_Z12ratxb_kernelIfEvPKT_S2_PS0_S3_S2_S0_,comdat
.Lfunc_end13:
	.size	_Z12ratxb_kernelIfEvPKT_S2_PS0_S3_S2_S0_, .Lfunc_end13-_Z12ratxb_kernelIfEvPKT_S2_PS0_S3_S2_S0_
                                        ; -- End function
	.set _Z12ratxb_kernelIfEvPKT_S2_PS0_S3_S2_S0_.num_vgpr, 57
	.set _Z12ratxb_kernelIfEvPKT_S2_PS0_S3_S2_S0_.num_agpr, 0
	.set _Z12ratxb_kernelIfEvPKT_S2_PS0_S3_S2_S0_.numbered_sgpr, 16
	.set _Z12ratxb_kernelIfEvPKT_S2_PS0_S3_S2_S0_.num_named_barrier, 0
	.set _Z12ratxb_kernelIfEvPKT_S2_PS0_S3_S2_S0_.private_seg_size, 0
	.set _Z12ratxb_kernelIfEvPKT_S2_PS0_S3_S2_S0_.uses_vcc, 1
	.set _Z12ratxb_kernelIfEvPKT_S2_PS0_S3_S2_S0_.uses_flat_scratch, 0
	.set _Z12ratxb_kernelIfEvPKT_S2_PS0_S3_S2_S0_.has_dyn_sized_stack, 0
	.set _Z12ratxb_kernelIfEvPKT_S2_PS0_S3_S2_S0_.has_recursion, 0
	.set _Z12ratxb_kernelIfEvPKT_S2_PS0_S3_S2_S0_.has_indirect_call, 0
	.section	.AMDGPU.csdata,"",@progbits
; Kernel info:
; codeLenInByte = 10700
; TotalNumSgprs: 20
; NumVgprs: 57
; ScratchSize: 0
; MemoryBound: 0
; FloatMode: 240
; IeeeMode: 1
; LDSByteSize: 0 bytes/workgroup (compile time only)
; SGPRBlocks: 2
; VGPRBlocks: 14
; NumSGPRsForWavesPerEU: 20
; NumVGPRsForWavesPerEU: 57
; Occupancy: 4
; WaveLimiterHint : 0
; COMPUTE_PGM_RSRC2:SCRATCH_EN: 0
; COMPUTE_PGM_RSRC2:USER_SGPR: 6
; COMPUTE_PGM_RSRC2:TRAP_HANDLER: 0
; COMPUTE_PGM_RSRC2:TGID_X_EN: 1
; COMPUTE_PGM_RSRC2:TGID_Y_EN: 0
; COMPUTE_PGM_RSRC2:TGID_Z_EN: 0
; COMPUTE_PGM_RSRC2:TIDIG_COMP_CNT: 0
	.section	.text._Z12ratx2_kernelIfEvPKT_PS0_S3_,"axG",@progbits,_Z12ratx2_kernelIfEvPKT_PS0_S3_,comdat
	.protected	_Z12ratx2_kernelIfEvPKT_PS0_S3_ ; -- Begin function _Z12ratx2_kernelIfEvPKT_PS0_S3_
	.globl	_Z12ratx2_kernelIfEvPKT_PS0_S3_
	.p2align	8
	.type	_Z12ratx2_kernelIfEvPKT_PS0_S3_,@function
_Z12ratx2_kernelIfEvPKT_PS0_S3_:        ; @_Z12ratx2_kernelIfEvPKT_PS0_S3_
; %bb.0:
	s_load_dwordx4 s[0:3], s[4:5], 0x0
	s_load_dword s7, s[4:5], 0x18
	s_load_dword s8, s[4:5], 0x24
	v_mov_b32_e32 v1, 0
	v_mov_b32_e32 v3, v1
	s_waitcnt lgkmcnt(0)
	v_mov_b32_e32 v42, s3
	v_mov_b32_e32 v43, s1
	s_and_b32 s4, s8, 0xffff
	s_mul_i32 s6, s6, s4
	v_add_u32_e32 v0, s6, v0
	v_lshlrev_b64 v[6:7], 2, v[0:1]
	s_mul_i32 s3, s7, s4
	v_add_u32_e32 v2, s3, v0
	v_add_co_u32_e32 v8, vcc, s2, v6
	v_lshlrev_b64 v[10:11], 2, v[2:3]
	v_addc_co_u32_e32 v9, vcc, v42, v7, vcc
	v_add_co_u32_e32 v4, vcc, s0, v10
	v_addc_co_u32_e32 v5, vcc, v43, v11, vcc
	global_load_dword v12, v[8:9], off
	global_load_dword v38, v[4:5], off
	s_lshl_b32 s1, s3, 1
	v_add_u32_e32 v2, s1, v2
	v_add_u32_e32 v0, s1, v0
	s_waitcnt vmcnt(0)
	v_mul_f32_e32 v14, v12, v38
	v_lshlrev_b64 v[12:13], 2, v[2:3]
	v_add_co_u32_e32 v2, vcc, s0, v12
	v_addc_co_u32_e32 v3, vcc, v43, v13, vcc
	global_load_dword v16, v[2:3], off
	v_add_co_u32_e32 v10, vcc, s2, v10
	v_addc_co_u32_e32 v11, vcc, v42, v11, vcc
	s_waitcnt vmcnt(0)
	v_mul_f32_e32 v14, v14, v16
	global_store_dword v[8:9], v14, off
	v_lshlrev_b64 v[14:15], 2, v[0:1]
	global_load_dword v17, v[10:11], off
	v_add_co_u32_e32 v8, vcc, s0, v14
	v_addc_co_u32_e32 v9, vcc, v43, v15, vcc
	v_add_co_u32_e32 v34, vcc, s0, v6
	global_load_dword v39, v[8:9], off
	v_addc_co_u32_e32 v35, vcc, v43, v7, vcc
	global_load_dword v18, v[34:35], off
	v_add_u32_e32 v0, s1, v0
	s_waitcnt vmcnt(1)
	v_mul_f32_e32 v17, v17, v39
	s_waitcnt vmcnt(0)
	v_mul_f32_e32 v6, v17, v18
	global_store_dword v[10:11], v6, off
	v_add_co_u32_e32 v10, vcc, s2, v14
	v_lshlrev_b64 v[6:7], 2, v[0:1]
	v_addc_co_u32_e32 v11, vcc, v42, v15, vcc
	v_add_co_u32_e32 v6, vcc, s0, v6
	v_addc_co_u32_e32 v7, vcc, v43, v7, vcc
	global_load_dword v14, v[10:11], off
	global_load_dword v40, v[6:7], off
	v_add_u32_e32 v0, s3, v0
	s_waitcnt vmcnt(0)
	v_mul_f32_e32 v14, v14, v40
	v_mul_f32_e32 v14, v18, v14
	global_store_dword v[10:11], v14, off
	v_add_co_u32_e32 v10, vcc, s2, v12
	v_addc_co_u32_e32 v11, vcc, v42, v13, vcc
	global_load_dword v12, v[10:11], off
	s_waitcnt vmcnt(0)
	v_mul_f32_e32 v12, v40, v12
	v_mul_f32_e32 v12, v40, v12
	global_store_dword v[10:11], v12, off
	v_lshlrev_b64 v[10:11], 2, v[0:1]
	v_add_u32_e32 v0, s3, v0
	v_add_co_u32_e32 v12, vcc, s2, v10
	v_addc_co_u32_e32 v13, vcc, v42, v11, vcc
	global_load_dword v14, v[12:13], off
	s_waitcnt vmcnt(0)
	v_mul_f32_e32 v14, v38, v14
	v_mul_f32_e32 v14, v38, v14
	v_mul_f32_e32 v14, v18, v14
	global_store_dword v[12:13], v14, off
	v_lshlrev_b64 v[12:13], 2, v[0:1]
	v_add_u32_e32 v0, s3, v0
	v_add_co_u32_e32 v14, vcc, s2, v12
	v_addc_co_u32_e32 v15, vcc, v42, v13, vcc
	global_load_dword v17, v[14:15], off
	v_add_co_u32_e32 v32, vcc, s0, v10
	v_addc_co_u32_e32 v33, vcc, v43, v11, vcc
	global_load_dword v20, v[32:33], off
	v_lshlrev_b64 v[18:19], 2, v[0:1]
	v_lshl_add_u32 v0, s3, 2, v0
	s_waitcnt vmcnt(1)
	v_mul_f32_e32 v17, v38, v17
	v_mul_f32_e32 v17, v38, v17
	s_waitcnt vmcnt(0)
	v_mul_f32_e32 v10, v20, v17
	global_store_dword v[14:15], v10, off
	v_add_co_u32_e32 v10, vcc, s2, v18
	v_addc_co_u32_e32 v11, vcc, v42, v19, vcc
	global_load_dword v14, v[10:11], off
	s_waitcnt vmcnt(0)
	v_mul_f32_e32 v14, v38, v14
	v_mul_f32_e32 v17, v38, v14
	v_lshlrev_b64 v[14:15], 2, v[0:1]
	v_add_u32_e32 v0, s3, v0
	v_add_co_u32_e32 v30, vcc, s0, v14
	v_addc_co_u32_e32 v31, vcc, v43, v15, vcc
	global_load_dword v14, v[30:31], off
	v_lshlrev_b64 v[22:23], 2, v[0:1]
	v_add_u32_e32 v0, s3, v0
	v_lshlrev_b64 v[26:27], 2, v[0:1]
	v_add_u32_e32 v0, s3, v0
	s_waitcnt vmcnt(0)
	v_mul_f32_e32 v14, v14, v17
	global_store_dword v[10:11], v14, off
	v_add_co_u32_e32 v10, vcc, s2, v22
	v_addc_co_u32_e32 v11, vcc, v42, v23, vcc
	global_load_dword v14, v[10:11], off
	s_waitcnt vmcnt(0)
	v_mul_f32_e32 v14, v38, v14
	v_mul_f32_e32 v14, v16, v14
	;; [unrolled: 1-line block ×3, first 2 shown]
	global_store_dword v[10:11], v14, off
	v_add_co_u32_e32 v10, vcc, s2, v26
	v_addc_co_u32_e32 v11, vcc, v42, v27, vcc
	global_load_dword v14, v[10:11], off
	s_waitcnt vmcnt(0)
	v_mul_f32_e32 v14, v38, v14
	v_mul_f32_e32 v14, v16, v14
	;; [unrolled: 1-line block ×3, first 2 shown]
	v_lshlrev_b64 v[20:21], 2, v[0:1]
	global_store_dword v[10:11], v14, off
	v_add_co_u32_e32 v10, vcc, s2, v20
	v_addc_co_u32_e32 v11, vcc, v42, v21, vcc
	global_load_dword v14, v[10:11], off
	s_waitcnt vmcnt(0)
	v_mul_f32_e32 v14, v38, v14
	v_mul_f32_e32 v16, v16, v14
	v_mad_u64_u32 v[14:15], s[4:5], s3, 7, v[0:1]
	v_mov_b32_e32 v15, v1
	v_lshlrev_b64 v[44:45], 2, v[14:15]
	v_add_co_u32_e32 v36, vcc, s0, v44
	v_addc_co_u32_e32 v37, vcc, v43, v45, vcc
	global_load_dword v0, v[36:37], off
	s_waitcnt vmcnt(0)
	v_mul_f32_e32 v0, v0, v16
	global_store_dword v[10:11], v0, off
	v_mad_u64_u32 v[10:11], s[4:5], s3, -6, v[14:15]
	v_mov_b32_e32 v11, v1
	s_mul_i32 s4, s3, 0xffffffed
	v_lshlrev_b64 v[16:17], 2, v[10:11]
	v_add_co_u32_e32 v14, vcc, s2, v16
	v_addc_co_u32_e32 v15, vcc, v42, v17, vcc
	global_load_dword v0, v[14:15], off
	s_waitcnt vmcnt(0)
	v_mul_f32_e32 v0, v40, v0
	v_mul_f32_e32 v0, v40, v0
	global_store_dword v[14:15], v0, off
	v_add_u32_e32 v0, s3, v10
	v_lshlrev_b64 v[28:29], 2, v[0:1]
	v_add_u32_e32 v0, s3, v0
	v_add_co_u32_e32 v14, vcc, s2, v28
	v_addc_co_u32_e32 v15, vcc, v42, v29, vcc
	v_add_co_u32_e32 v10, vcc, s0, v12
	v_addc_co_u32_e32 v11, vcc, v43, v13, vcc
	global_load_dword v24, v[14:15], off
	global_load_dword v41, v[10:11], off
	;; [unrolled: 1-line block ×3, first 2 shown]
	s_waitcnt vmcnt(1)
	v_mul_f32_e32 v12, v24, v41
	v_lshlrev_b64 v[24:25], 2, v[0:1]
	v_mul_f32_e32 v12, v38, v12
	global_store_dword v[14:15], v12, off
	v_add_co_u32_e32 v12, vcc, s2, v24
	v_addc_co_u32_e32 v13, vcc, v42, v25, vcc
	global_load_dword v14, v[12:13], off
	v_add_u32_e32 v0, s3, v0
	s_waitcnt vmcnt(0)
	v_mul_f32_e32 v14, v41, v14
	v_mul_f32_e32 v14, v38, v14
	global_store_dword v[12:13], v14, off
	v_lshlrev_b64 v[12:13], 2, v[0:1]
	v_add_u32_e32 v0, s3, v0
	v_add_co_u32_e32 v12, vcc, s2, v12
	v_addc_co_u32_e32 v13, vcc, v42, v13, vcc
	global_load_dword v14, v[12:13], off
	s_waitcnt vmcnt(0)
	v_mul_f32_e32 v14, v41, v14
	v_mul_f32_e32 v14, v38, v14
	global_store_dword v[12:13], v14, off
	v_lshlrev_b64 v[14:15], 2, v[0:1]
	v_add_u32_e32 v0, s3, v0
	v_add_co_u32_e32 v12, vcc, s2, v14
	v_addc_co_u32_e32 v13, vcc, v42, v15, vcc
	global_load_dword v46, v[12:13], off
	;; [unrolled: 9-line block ×3, first 2 shown]
	v_add_co_u32_e32 v44, vcc, s2, v44
	v_addc_co_u32_e32 v45, vcc, v42, v45, vcc
	s_waitcnt vmcnt(0)
	v_mul_f32_e32 v48, v41, v48
	v_mul_f32_e32 v48, v40, v48
	global_store_dword v[46:47], v48, off
	global_load_dword v46, v[44:45], off
	s_waitcnt vmcnt(0)
	v_mul_f32_e32 v46, v41, v46
	v_mul_f32_e32 v46, v41, v46
	global_store_dword v[44:45], v46, off
	v_lshlrev_b64 v[44:45], 2, v[0:1]
	v_add_u32_e32 v0, s3, v0
	v_add_co_u32_e32 v44, vcc, s2, v44
	v_addc_co_u32_e32 v45, vcc, v42, v45, vcc
	global_load_dword v46, v[44:45], off
	global_load_dword v48, v[34:35], off
	s_waitcnt vmcnt(1)
	v_mul_f32_e32 v46, v41, v46
	v_mul_f32_e32 v41, v41, v46
	global_store_dword v[44:45], v41, off
	v_lshlrev_b64 v[44:45], 2, v[0:1]
	v_add_u32_e32 v0, s3, v0
	v_add_co_u32_e32 v44, vcc, s2, v44
	v_addc_co_u32_e32 v45, vcc, v42, v45, vcc
	v_add_co_u32_e32 v18, vcc, s0, v18
	v_addc_co_u32_e32 v19, vcc, v43, v19, vcc
	global_load_dword v41, v[44:45], off
	global_load_dword v46, v[18:19], off
	s_waitcnt vmcnt(0)
	v_mul_f32_e32 v41, v41, v46
	v_mul_f32_e32 v41, v38, v41
	global_store_dword v[44:45], v41, off
	v_lshlrev_b64 v[44:45], 2, v[0:1]
	v_add_u32_e32 v0, s3, v0
	v_add_co_u32_e32 v44, vcc, s2, v44
	v_addc_co_u32_e32 v45, vcc, v42, v45, vcc
	global_load_dword v41, v[44:45], off
	s_waitcnt vmcnt(0)
	v_mul_f32_e32 v41, v46, v41
	v_mul_f32_e32 v38, v38, v41
	global_store_dword v[44:45], v38, off
	v_lshlrev_b64 v[44:45], 2, v[0:1]
	v_add_u32_e32 v0, s3, v0
	v_add_co_u32_e32 v44, vcc, s2, v44
	v_addc_co_u32_e32 v45, vcc, v42, v45, vcc
	;; [unrolled: 9-line block ×4, first 2 shown]
	global_load_dword v40, v[38:39], off
	s_waitcnt vmcnt(0)
	v_mul_f32_e32 v40, v40, v46
	global_load_dword v46, v[6:7], off
	s_waitcnt vmcnt(0)
	v_mul_f32_e32 v40, v40, v46
	global_store_dword v[38:39], v40, off
	v_lshlrev_b64 v[38:39], 2, v[0:1]
	v_add_u32_e32 v0, s4, v0
	v_add_co_u32_e32 v40, vcc, s2, v38
	v_addc_co_u32_e32 v41, vcc, v42, v39, vcc
	v_lshlrev_b64 v[38:39], 2, v[0:1]
	global_load_dword v44, v[40:41], off
	v_add_co_u32_e32 v38, vcc, s0, v38
	v_addc_co_u32_e32 v39, vcc, v43, v39, vcc
	global_load_dword v47, v[38:39], off
	s_waitcnt vmcnt(0)
	v_mul_f32_e32 v44, v44, v47
	v_mul_f32_e32 v44, v44, v46
	global_store_dword v[40:41], v44, off
	v_mad_u64_u32 v[40:41], s[4:5], s3, 20, v[0:1]
	v_mov_b32_e32 v41, v1
	v_lshlrev_b64 v[44:45], 2, v[40:41]
	v_add_co_u32_e32 v44, vcc, s2, v44
	v_addc_co_u32_e32 v45, vcc, v42, v45, vcc
	global_load_dword v0, v[44:45], off
	s_waitcnt vmcnt(0)
	v_mul_f32_e32 v0, v0, v47
	v_mul_f32_e32 v0, v0, v48
	global_store_dword v[44:45], v0, off
	v_add_u32_e32 v0, s3, v40
	v_lshlrev_b64 v[40:41], 2, v[0:1]
	global_load_dword v45, v[2:3], off
	v_add_co_u32_e32 v40, vcc, s2, v40
	v_addc_co_u32_e32 v41, vcc, v42, v41, vcc
	global_load_dword v44, v[40:41], off
	v_add_u32_e32 v0, s3, v0
	s_waitcnt vmcnt(0)
	v_mul_f32_e32 v44, v44, v47
	v_mul_f32_e32 v44, v44, v45
	global_store_dword v[40:41], v44, off
	v_lshlrev_b64 v[40:41], 2, v[0:1]
	v_add_u32_e32 v0, s3, v0
	v_add_co_u32_e32 v40, vcc, s2, v40
	v_addc_co_u32_e32 v41, vcc, v42, v41, vcc
	global_load_dword v44, v[40:41], off
	s_waitcnt vmcnt(0)
	v_mul_f32_e32 v44, v44, v47
	v_mul_f32_e32 v44, v44, v49
	global_store_dword v[40:41], v44, off
	v_lshlrev_b64 v[40:41], 2, v[0:1]
	v_add_u32_e32 v0, s3, v0
	v_add_co_u32_e32 v40, vcc, s2, v40
	v_addc_co_u32_e32 v41, vcc, v42, v41, vcc
	global_load_dword v49, v[40:41], off
	global_load_dword v44, v[8:9], off
	s_waitcnt vmcnt(0)
	v_mul_f32_e32 v49, v49, v44
	global_store_dword v[40:41], v49, off
	v_lshlrev_b64 v[40:41], 2, v[0:1]
	v_add_u32_e32 v0, s3, v0
	v_add_co_u32_e32 v40, vcc, s2, v40
	v_addc_co_u32_e32 v41, vcc, v42, v41, vcc
	global_load_dword v49, v[40:41], off
	s_waitcnt vmcnt(0)
	v_mul_f32_e32 v46, v49, v46
	global_store_dword v[40:41], v46, off
	v_lshlrev_b64 v[40:41], 2, v[0:1]
	v_add_u32_e32 v0, s3, v0
	v_add_co_u32_e32 v40, vcc, s2, v40
	v_addc_co_u32_e32 v41, vcc, v42, v41, vcc
	;; [unrolled: 8-line block ×3, first 2 shown]
	global_load_dword v46, v[40:41], off
	global_load_dword v48, v[32:33], off
	s_waitcnt vmcnt(0)
	v_mul_f32_e32 v46, v46, v48
	global_store_dword v[40:41], v46, off
	v_lshlrev_b64 v[40:41], 2, v[0:1]
	v_add_u32_e32 v0, s3, v0
	v_add_co_u32_e32 v40, vcc, s2, v40
	v_addc_co_u32_e32 v41, vcc, v42, v41, vcc
	global_load_dword v46, v[40:41], off
	s_waitcnt vmcnt(0)
	v_mul_f32_e32 v46, v46, v45
	global_store_dword v[40:41], v46, off
	v_lshlrev_b64 v[40:41], 2, v[0:1]
	v_add_u32_e32 v0, s3, v0
	v_add_co_u32_e32 v40, vcc, s2, v40
	v_addc_co_u32_e32 v41, vcc, v42, v41, vcc
	;; [unrolled: 8-line block ×3, first 2 shown]
	global_load_dword v46, v[40:41], off
	global_load_dword v47, v[30:31], off
	s_waitcnt vmcnt(0)
	v_mul_f32_e32 v46, v46, v47
	global_store_dword v[40:41], v46, off
	v_lshlrev_b64 v[40:41], 2, v[0:1]
	v_add_u32_e32 v0, s3, v0
	v_add_co_u32_e32 v40, vcc, s2, v40
	v_addc_co_u32_e32 v41, vcc, v42, v41, vcc
	global_load_dword v46, v[40:41], off
	global_load_dword v48, v[4:5], off
	s_waitcnt vmcnt(0)
	v_mul_f32_e32 v46, v46, v48
	global_store_dword v[40:41], v46, off
	v_lshlrev_b64 v[40:41], 2, v[0:1]
	v_add_u32_e32 v0, s3, v0
	v_add_co_u32_e32 v40, vcc, s2, v40
	v_addc_co_u32_e32 v41, vcc, v42, v41, vcc
	global_load_dword v46, v[40:41], off
	s_waitcnt vmcnt(0)
	v_mul_f32_e32 v46, v46, v48
	global_store_dword v[40:41], v46, off
	v_lshlrev_b64 v[40:41], 2, v[0:1]
	v_add_u32_e32 v0, s3, v0
	v_add_co_u32_e32 v40, vcc, s2, v40
	v_addc_co_u32_e32 v41, vcc, v42, v41, vcc
	;; [unrolled: 8-line block ×4, first 2 shown]
	global_load_dword v41, v[46:47], off
	global_load_dword v40, v[6:7], off
	s_waitcnt vmcnt(0)
	v_mul_f32_e32 v41, v41, v40
	global_store_dword v[46:47], v41, off
	v_lshlrev_b64 v[46:47], 2, v[0:1]
	v_add_u32_e32 v0, s3, v0
	v_add_co_u32_e32 v46, vcc, s2, v46
	v_addc_co_u32_e32 v47, vcc, v42, v47, vcc
	global_load_dword v41, v[46:47], off
	s_waitcnt vmcnt(0)
	v_mul_f32_e32 v41, v41, v45
	global_store_dword v[46:47], v41, off
	v_lshlrev_b64 v[46:47], 2, v[0:1]
	v_add_u32_e32 v0, s3, v0
	v_add_co_u32_e32 v46, vcc, s2, v46
	v_addc_co_u32_e32 v47, vcc, v42, v47, vcc
	;; [unrolled: 8-line block ×3, first 2 shown]
	global_load_dword v48, v[46:47], off
	global_load_dword v41, v[34:35], off
	s_waitcnt vmcnt(0)
	v_mul_f32_e32 v34, v48, v41
	global_store_dword v[46:47], v34, off
	v_lshlrev_b64 v[34:35], 2, v[0:1]
	v_add_u32_e32 v0, s3, v0
	v_add_co_u32_e32 v34, vcc, s2, v34
	v_addc_co_u32_e32 v35, vcc, v42, v35, vcc
	global_load_dword v46, v[34:35], off
	s_waitcnt vmcnt(0)
	v_mul_f32_e32 v46, v46, v44
	global_store_dword v[34:35], v46, off
	v_lshlrev_b64 v[34:35], 2, v[0:1]
	v_add_u32_e32 v0, s3, v0
	v_add_co_u32_e32 v34, vcc, s2, v34
	v_addc_co_u32_e32 v35, vcc, v42, v35, vcc
	global_load_dword v46, v[34:35], off
	s_waitcnt vmcnt(0)
	v_mul_f32_e32 v46, v46, v45
	global_store_dword v[34:35], v46, off
	v_lshlrev_b64 v[34:35], 2, v[0:1]
	v_add_u32_e32 v0, s3, v0
	v_add_co_u32_e32 v34, vcc, s2, v34
	v_addc_co_u32_e32 v35, vcc, v42, v35, vcc
	global_load_dword v46, v[34:35], off
	s_waitcnt vmcnt(0)
	v_mul_f32_e32 v45, v46, v45
	global_store_dword v[34:35], v45, off
	v_lshlrev_b64 v[34:35], 2, v[0:1]
	v_add_u32_e32 v0, s3, v0
	v_add_co_u32_e32 v34, vcc, s2, v34
	v_addc_co_u32_e32 v35, vcc, v42, v35, vcc
	global_load_dword v45, v[34:35], off
	s_waitcnt vmcnt(0)
	v_mul_f32_e32 v45, v45, v40
	global_store_dword v[34:35], v45, off
	v_lshlrev_b64 v[34:35], 2, v[0:1]
	v_add_u32_e32 v0, s3, v0
	v_add_co_u32_e32 v34, vcc, s2, v34
	v_addc_co_u32_e32 v35, vcc, v42, v35, vcc
	global_load_dword v45, v[34:35], off
	s_waitcnt vmcnt(0)
	v_mul_f32_e32 v45, v45, v40
	global_store_dword v[34:35], v45, off
	v_lshlrev_b64 v[34:35], 2, v[0:1]
	v_add_u32_e32 v0, s3, v0
	v_add_co_u32_e32 v34, vcc, s2, v34
	v_addc_co_u32_e32 v35, vcc, v42, v35, vcc
	global_load_dword v45, v[34:35], off
	global_load_dword v46, v[10:11], off
	s_waitcnt vmcnt(0)
	v_mul_f32_e32 v45, v45, v46
	global_store_dword v[34:35], v45, off
	v_lshlrev_b64 v[34:35], 2, v[0:1]
	v_add_co_u32_e32 v34, vcc, s2, v34
	v_addc_co_u32_e32 v35, vcc, v42, v35, vcc
	global_load_dword v45, v[34:35], off
	s_nop 0
	global_load_dword v38, v[38:39], off
	s_waitcnt vmcnt(0)
	v_mul_f32_e32 v39, v45, v38
	global_store_dword v[34:35], v39, off
	v_mad_u64_u32 v[34:35], s[4:5], s3, 3, v[0:1]
	v_mov_b32_e32 v35, v1
	s_mul_i32 s4, s3, 0xffffffbb
	v_lshlrev_b64 v[45:46], 2, v[34:35]
	v_add_co_u32_e32 v45, vcc, s2, v45
	v_addc_co_u32_e32 v46, vcc, v42, v46, vcc
	global_load_dword v0, v[45:46], off
	global_load_dword v35, v[36:37], off
	s_waitcnt vmcnt(0)
	v_mul_f32_e32 v0, v0, v35
	global_store_dword v[45:46], v0, off
	v_add_u32_e32 v0, s3, v34
	v_lshlrev_b64 v[34:35], 2, v[0:1]
	v_add_u32_e32 v0, s3, v0
	v_add_co_u32_e32 v34, vcc, s2, v34
	v_addc_co_u32_e32 v35, vcc, v42, v35, vcc
	global_load_dword v36, v[34:35], off
	global_load_dword v37, v[4:5], off
	s_waitcnt vmcnt(0)
	v_mul_f32_e32 v36, v36, v37
	global_store_dword v[34:35], v36, off
	v_lshlrev_b64 v[34:35], 2, v[0:1]
	v_add_u32_e32 v0, s3, v0
	v_add_co_u32_e32 v34, vcc, s2, v34
	v_addc_co_u32_e32 v35, vcc, v42, v35, vcc
	global_load_dword v36, v[34:35], off
	s_waitcnt vmcnt(0)
	v_mul_f32_e32 v36, v36, v44
	global_store_dword v[34:35], v36, off
	v_lshlrev_b64 v[34:35], 2, v[0:1]
	v_add_u32_e32 v0, s3, v0
	v_add_co_u32_e32 v34, vcc, s2, v34
	v_addc_co_u32_e32 v35, vcc, v42, v35, vcc
	;; [unrolled: 8-line block ×5, first 2 shown]
	global_load_dword v36, v[34:35], off
	global_load_dword v39, v[2:3], off
	s_waitcnt vmcnt(0)
	v_mul_f32_e32 v36, v36, v39
	global_store_dword v[34:35], v36, off
	v_lshlrev_b64 v[34:35], 2, v[0:1]
	v_add_u32_e32 v0, s3, v0
	v_add_co_u32_e32 v34, vcc, s2, v34
	v_addc_co_u32_e32 v35, vcc, v42, v35, vcc
	global_load_dword v36, v[34:35], off
	s_waitcnt vmcnt(0)
	v_mul_f32_e32 v36, v36, v39
	global_store_dword v[34:35], v36, off
	v_lshlrev_b64 v[34:35], 2, v[0:1]
	v_add_u32_e32 v0, s3, v0
	v_add_co_u32_e32 v34, vcc, s2, v34
	v_addc_co_u32_e32 v35, vcc, v42, v35, vcc
	global_load_dword v36, v[34:35], off
	s_nop 0
	global_load_dword v32, v[32:33], off
	s_waitcnt vmcnt(0)
	v_mul_f32_e32 v32, v36, v32
	global_store_dword v[34:35], v32, off
	v_lshlrev_b64 v[32:33], 2, v[0:1]
	v_add_u32_e32 v0, s3, v0
	v_add_co_u32_e32 v32, vcc, s2, v32
	v_addc_co_u32_e32 v33, vcc, v42, v33, vcc
	global_load_dword v34, v[32:33], off
	s_waitcnt vmcnt(0)
	v_mul_f32_e32 v34, v34, v38
	global_store_dword v[32:33], v34, off
	v_lshlrev_b64 v[32:33], 2, v[0:1]
	v_add_u32_e32 v0, s3, v0
	v_add_co_u32_e32 v32, vcc, s2, v32
	v_addc_co_u32_e32 v33, vcc, v42, v33, vcc
	global_load_dword v34, v[32:33], off
	global_load_dword v35, v[30:31], off
	;; [unrolled: 1-line block ×3, first 2 shown]
	s_waitcnt vmcnt(1)
	v_mul_f32_e32 v30, v34, v35
	global_store_dword v[32:33], v30, off
	v_lshlrev_b64 v[30:31], 2, v[0:1]
	v_add_u32_e32 v0, s3, v0
	v_add_co_u32_e32 v30, vcc, s2, v30
	v_addc_co_u32_e32 v31, vcc, v42, v31, vcc
	global_load_dword v32, v[30:31], off
	s_waitcnt vmcnt(0)
	v_mul_f32_e32 v32, v32, v35
	global_store_dword v[30:31], v32, off
	v_lshlrev_b64 v[30:31], 2, v[0:1]
	v_add_u32_e32 v0, s3, v0
	v_add_co_u32_e32 v32, vcc, s2, v30
	v_addc_co_u32_e32 v33, vcc, v42, v31, vcc
	v_add_co_u32_e32 v30, vcc, s0, v22
	v_addc_co_u32_e32 v31, vcc, v43, v23, vcc
	global_load_dword v34, v[32:33], off
	global_load_dword v38, v[30:31], off
	;; [unrolled: 1-line block ×3, first 2 shown]
	s_waitcnt vmcnt(1)
	v_mul_f32_e32 v22, v34, v38
	v_mul_f32_e32 v22, v22, v37
	global_store_dword v[32:33], v22, off
	v_lshlrev_b64 v[22:23], 2, v[0:1]
	v_add_u32_e32 v0, s3, v0
	v_add_co_u32_e32 v22, vcc, s2, v22
	v_addc_co_u32_e32 v23, vcc, v42, v23, vcc
	global_load_dword v32, v[22:23], off
	s_waitcnt vmcnt(0)
	v_mul_f32_e32 v32, v32, v38
	v_mul_f32_e32 v32, v32, v37
	global_store_dword v[22:23], v32, off
	v_lshlrev_b64 v[22:23], 2, v[0:1]
	v_add_u32_e32 v0, s3, v0
	v_add_co_u32_e32 v22, vcc, s2, v22
	v_addc_co_u32_e32 v23, vcc, v42, v23, vcc
	global_load_dword v32, v[22:23], off
	;; [unrolled: 9-line block ×6, first 2 shown]
	s_waitcnt vmcnt(0)
	v_mul_f32_e32 v32, v32, v38
	global_store_dword v[22:23], v32, off
	v_lshlrev_b64 v[22:23], 2, v[0:1]
	v_add_u32_e32 v0, s4, v0
	v_add_co_u32_e32 v32, vcc, s2, v22
	v_addc_co_u32_e32 v33, vcc, v42, v23, vcc
	v_lshlrev_b64 v[22:23], 2, v[0:1]
	global_load_dword v37, v[32:33], off
	v_add_co_u32_e32 v22, vcc, s0, v22
	v_addc_co_u32_e32 v23, vcc, v43, v23, vcc
	global_load_dword v34, v[22:23], off
	global_load_dword v38, v[4:5], off
	s_mul_i32 s4, s3, 0x46
	v_add_u32_e32 v0, s4, v0
	s_mul_i32 s4, s3, 0xffffffa4
	global_load_dword v30, v[30:31], off
	s_waitcnt vmcnt(2)
	v_mul_f32_e32 v37, v37, v34
	s_waitcnt vmcnt(1)
	v_mul_f32_e32 v37, v37, v38
	global_store_dword v[32:33], v37, off
	v_lshlrev_b64 v[32:33], 2, v[0:1]
	v_add_u32_e32 v0, s3, v0
	v_add_co_u32_e32 v32, vcc, s2, v32
	v_addc_co_u32_e32 v33, vcc, v42, v33, vcc
	global_load_dword v37, v[32:33], off
	s_waitcnt vmcnt(0)
	v_mul_f32_e32 v37, v37, v34
	v_mul_f32_e32 v36, v37, v36
	global_store_dword v[32:33], v36, off
	v_lshlrev_b64 v[32:33], 2, v[0:1]
	global_load_dword v37, v[6:7], off
	v_add_co_u32_e32 v32, vcc, s2, v32
	v_addc_co_u32_e32 v33, vcc, v42, v33, vcc
	global_load_dword v36, v[32:33], off
	v_add_u32_e32 v0, s3, v0
	s_waitcnt vmcnt(0)
	v_mul_f32_e32 v36, v36, v34
	v_mul_f32_e32 v36, v36, v37
	global_store_dword v[32:33], v36, off
	v_lshlrev_b64 v[32:33], 2, v[0:1]
	v_add_u32_e32 v0, s3, v0
	v_add_co_u32_e32 v32, vcc, s2, v32
	v_addc_co_u32_e32 v33, vcc, v42, v33, vcc
	global_load_dword v36, v[32:33], off
	s_waitcnt vmcnt(0)
	v_mul_f32_e32 v36, v36, v34
	v_mul_f32_e32 v36, v36, v37
	global_store_dword v[32:33], v36, off
	v_lshlrev_b64 v[32:33], 2, v[0:1]
	global_load_dword v37, v[2:3], off
	v_add_co_u32_e32 v32, vcc, s2, v32
	v_addc_co_u32_e32 v33, vcc, v42, v33, vcc
	global_load_dword v36, v[32:33], off
	v_add_u32_e32 v0, s3, v0
	s_waitcnt vmcnt(0)
	v_mul_f32_e32 v36, v36, v34
	v_mul_f32_e32 v36, v36, v37
	global_store_dword v[32:33], v36, off
	v_lshlrev_b64 v[32:33], 2, v[0:1]
	v_add_u32_e32 v0, s3, v0
	v_add_co_u32_e32 v32, vcc, s2, v32
	v_addc_co_u32_e32 v33, vcc, v42, v33, vcc
	global_load_dword v36, v[32:33], off
	s_waitcnt vmcnt(0)
	v_mul_f32_e32 v36, v36, v34
	v_mul_f32_e32 v36, v36, v37
	global_store_dword v[32:33], v36, off
	v_lshlrev_b64 v[32:33], 2, v[0:1]
	v_add_u32_e32 v0, s3, v0
	v_add_co_u32_e32 v32, vcc, s2, v32
	v_addc_co_u32_e32 v33, vcc, v42, v33, vcc
	global_load_dword v36, v[32:33], off
	;; [unrolled: 9-line block ×3, first 2 shown]
	s_waitcnt vmcnt(0)
	v_mul_f32_e32 v36, v36, v34
	v_mul_f32_e32 v35, v36, v35
	global_store_dword v[32:33], v35, off
	v_lshlrev_b64 v[32:33], 2, v[0:1]
	global_load_dword v36, v[18:19], off
	v_add_co_u32_e32 v32, vcc, s2, v32
	v_addc_co_u32_e32 v33, vcc, v42, v33, vcc
	global_load_dword v35, v[32:33], off
	v_add_u32_e32 v0, s3, v0
	s_waitcnt vmcnt(0)
	v_mul_f32_e32 v35, v35, v34
	v_mul_f32_e32 v35, v35, v36
	global_store_dword v[32:33], v35, off
	v_lshlrev_b64 v[32:33], 2, v[0:1]
	v_add_u32_e32 v0, s3, v0
	v_add_co_u32_e32 v32, vcc, s2, v32
	v_addc_co_u32_e32 v33, vcc, v42, v33, vcc
	global_load_dword v35, v[32:33], off
	s_waitcnt vmcnt(0)
	v_mul_f32_e32 v35, v35, v34
	global_store_dword v[32:33], v35, off
	v_lshlrev_b64 v[32:33], 2, v[0:1]
	v_add_u32_e32 v0, s3, v0
	v_add_co_u32_e32 v32, vcc, s2, v32
	v_addc_co_u32_e32 v33, vcc, v42, v33, vcc
	global_load_dword v35, v[32:33], off
	s_waitcnt vmcnt(0)
	;; [unrolled: 8-line block ×4, first 2 shown]
	v_mul_f32_e32 v35, v35, v34
	v_mul_f32_e32 v30, v35, v30
	global_store_dword v[32:33], v30, off
	v_lshlrev_b64 v[30:31], 2, v[0:1]
	v_add_u32_e32 v0, s3, v0
	v_add_co_u32_e32 v30, vcc, s2, v30
	v_addc_co_u32_e32 v31, vcc, v42, v31, vcc
	global_load_dword v32, v[30:31], off
	s_waitcnt vmcnt(0)
	v_mul_f32_e32 v32, v32, v34
	global_store_dword v[30:31], v32, off
	v_lshlrev_b64 v[30:31], 2, v[0:1]
	v_add_u32_e32 v0, s3, v0
	v_add_co_u32_e32 v30, vcc, s2, v30
	v_addc_co_u32_e32 v31, vcc, v42, v31, vcc
	global_load_dword v32, v[30:31], off
	s_waitcnt vmcnt(0)
	;; [unrolled: 8-line block ×3, first 2 shown]
	v_mul_f32_e32 v32, v32, v34
	v_mul_f32_e32 v32, v34, v32
	global_store_dword v[30:31], v32, off
	v_lshlrev_b64 v[30:31], 2, v[0:1]
	v_add_u32_e32 v0, s3, v0
	v_add_co_u32_e32 v30, vcc, s2, v30
	v_addc_co_u32_e32 v31, vcc, v42, v31, vcc
	global_load_dword v32, v[30:31], off
	s_waitcnt vmcnt(0)
	v_mul_f32_e32 v32, v32, v34
	v_mul_f32_e32 v32, v34, v32
	global_store_dword v[30:31], v32, off
	v_lshlrev_b64 v[30:31], 2, v[0:1]
	v_add_u32_e32 v0, s3, v0
	v_add_co_u32_e32 v32, vcc, s2, v30
	v_addc_co_u32_e32 v33, vcc, v42, v31, vcc
	global_load_dword v30, v[32:33], off
	v_add_co_u32_e32 v28, vcc, s0, v28
	v_addc_co_u32_e32 v29, vcc, v43, v29, vcc
	s_waitcnt vmcnt(0)
	v_mul_f32_e32 v31, v30, v34
	global_load_dword v30, v[28:29], off
	s_waitcnt vmcnt(0)
	v_mul_f32_e32 v28, v31, v30
	global_store_dword v[32:33], v28, off
	v_lshlrev_b64 v[28:29], 2, v[0:1]
	v_add_u32_e32 v0, s3, v0
	v_add_co_u32_e32 v28, vcc, s2, v28
	v_addc_co_u32_e32 v29, vcc, v42, v29, vcc
	global_load_dword v31, v[28:29], off
	global_load_dword v33, v[4:5], off
	s_waitcnt vmcnt(0)
	v_mul_f32_e32 v31, v31, v33
	global_store_dword v[28:29], v31, off
	v_lshlrev_b64 v[28:29], 2, v[0:1]
	v_add_u32_e32 v0, s3, v0
	v_add_co_u32_e32 v28, vcc, s2, v28
	v_addc_co_u32_e32 v29, vcc, v42, v29, vcc
	global_load_dword v31, v[28:29], off
	s_waitcnt vmcnt(0)
	v_mul_f32_e32 v31, v31, v33
	global_store_dword v[28:29], v31, off
	v_lshlrev_b64 v[28:29], 2, v[0:1]
	v_add_u32_e32 v0, s3, v0
	v_add_co_u32_e32 v28, vcc, s2, v28
	v_addc_co_u32_e32 v29, vcc, v42, v29, vcc
	;; [unrolled: 8-line block ×3, first 2 shown]
	global_load_dword v31, v[28:29], off
	global_load_dword v34, v[8:9], off
	s_waitcnt vmcnt(0)
	v_mul_f32_e32 v31, v31, v34
	global_store_dword v[28:29], v31, off
	v_lshlrev_b64 v[28:29], 2, v[0:1]
	v_add_u32_e32 v0, s3, v0
	v_add_co_u32_e32 v28, vcc, s2, v28
	v_addc_co_u32_e32 v29, vcc, v42, v29, vcc
	global_load_dword v31, v[28:29], off
	global_load_dword v35, v[6:7], off
	s_waitcnt vmcnt(0)
	v_mul_f32_e32 v31, v31, v35
	global_store_dword v[28:29], v31, off
	v_lshlrev_b64 v[28:29], 2, v[0:1]
	v_add_u32_e32 v0, s3, v0
	v_add_co_u32_e32 v28, vcc, s2, v28
	v_addc_co_u32_e32 v29, vcc, v42, v29, vcc
	global_load_dword v31, v[28:29], off
	global_load_dword v36, v[2:3], off
	s_waitcnt vmcnt(0)
	v_mul_f32_e32 v31, v31, v36
	global_store_dword v[28:29], v31, off
	v_lshlrev_b64 v[28:29], 2, v[0:1]
	v_add_u32_e32 v0, s4, v0
	v_add_co_u32_e32 v28, vcc, s2, v28
	v_lshlrev_b64 v[31:32], 2, v[0:1]
	v_addc_co_u32_e32 v29, vcc, v42, v29, vcc
	v_add_co_u32_e32 v31, vcc, s0, v31
	v_addc_co_u32_e32 v32, vcc, v43, v32, vcc
	global_load_dword v37, v[28:29], off
	s_mul_i32 s4, s3, 0x5d
	global_load_dword v31, v[31:32], off
	v_add_u32_e32 v0, s4, v0
	s_waitcnt vmcnt(0)
	v_mul_f32_e32 v32, v37, v31
	v_mul_f32_e32 v32, v32, v33
	global_store_dword v[28:29], v32, off
	v_lshlrev_b64 v[28:29], 2, v[0:1]
	v_add_u32_e32 v0, s3, v0
	v_add_co_u32_e32 v28, vcc, s2, v28
	v_addc_co_u32_e32 v29, vcc, v42, v29, vcc
	global_load_dword v32, v[28:29], off
	s_waitcnt vmcnt(0)
	v_mul_f32_e32 v32, v32, v31
	v_mul_f32_e32 v32, v32, v34
	global_store_dword v[28:29], v32, off
	v_lshlrev_b64 v[28:29], 2, v[0:1]
	v_add_u32_e32 v0, s3, v0
	v_add_co_u32_e32 v28, vcc, s2, v28
	v_addc_co_u32_e32 v29, vcc, v42, v29, vcc
	global_load_dword v32, v[28:29], off
	s_waitcnt vmcnt(0)
	v_mul_f32_e32 v32, v32, v31
	v_mul_f32_e32 v32, v32, v35
	global_store_dword v[28:29], v32, off
	v_lshlrev_b64 v[28:29], 2, v[0:1]
	v_add_u32_e32 v0, s3, v0
	v_add_co_u32_e32 v28, vcc, s2, v28
	v_addc_co_u32_e32 v29, vcc, v42, v29, vcc
	global_load_dword v32, v[28:29], off
	s_waitcnt vmcnt(0)
	v_mul_f32_e32 v32, v32, v31
	global_store_dword v[28:29], v32, off
	v_lshlrev_b64 v[28:29], 2, v[0:1]
	v_add_u32_e32 v0, s3, v0
	v_add_co_u32_e32 v28, vcc, s2, v28
	v_addc_co_u32_e32 v29, vcc, v42, v29, vcc
	global_load_dword v32, v[28:29], off
	s_waitcnt vmcnt(0)
	v_mul_f32_e32 v32, v32, v31
	global_store_dword v[28:29], v32, off
	v_lshlrev_b64 v[28:29], 2, v[0:1]
	v_add_u32_e32 v0, s3, v0
	v_add_co_u32_e32 v28, vcc, s2, v28
	v_addc_co_u32_e32 v29, vcc, v42, v29, vcc
	global_load_dword v32, v[28:29], off
	;; [unrolled: 8-line block ×3, first 2 shown]
	s_waitcnt vmcnt(0)
	v_mul_f32_e32 v31, v31, v30
	v_mul_f32_e32 v31, v31, v33
	global_store_dword v[28:29], v31, off
	v_lshlrev_b64 v[28:29], 2, v[0:1]
	v_add_u32_e32 v0, s3, v0
	v_add_co_u32_e32 v28, vcc, s2, v28
	v_addc_co_u32_e32 v29, vcc, v42, v29, vcc
	global_load_dword v31, v[28:29], off
	s_waitcnt vmcnt(0)
	v_mul_f32_e32 v31, v31, v30
	v_mul_f32_e32 v31, v31, v34
	global_store_dword v[28:29], v31, off
	v_lshlrev_b64 v[28:29], 2, v[0:1]
	v_add_u32_e32 v0, s3, v0
	v_add_co_u32_e32 v28, vcc, s2, v28
	v_addc_co_u32_e32 v29, vcc, v42, v29, vcc
	global_load_dword v31, v[28:29], off
	;; [unrolled: 9-line block ×3, first 2 shown]
	s_waitcnt vmcnt(0)
	v_mul_f32_e32 v31, v31, v30
	global_store_dword v[28:29], v31, off
	v_lshlrev_b64 v[28:29], 2, v[0:1]
	v_add_u32_e32 v0, s3, v0
	v_add_co_u32_e32 v28, vcc, s2, v28
	v_addc_co_u32_e32 v29, vcc, v42, v29, vcc
	global_load_dword v31, v[28:29], off
	s_waitcnt vmcnt(0)
	v_mul_f32_e32 v31, v31, v30
	global_store_dword v[28:29], v31, off
	v_lshlrev_b64 v[28:29], 2, v[0:1]
	v_add_u32_e32 v0, s3, v0
	v_add_co_u32_e32 v28, vcc, s2, v28
	v_addc_co_u32_e32 v29, vcc, v42, v29, vcc
	global_load_dword v31, v[28:29], off
	s_waitcnt vmcnt(0)
	v_mul_f32_e32 v31, v31, v30
	v_mul_f32_e32 v30, v30, v31
	global_store_dword v[28:29], v30, off
	v_lshlrev_b64 v[28:29], 2, v[0:1]
	v_add_u32_e32 v0, s1, v0
	v_add_co_u32_e32 v28, vcc, s2, v28
	v_addc_co_u32_e32 v29, vcc, v42, v29, vcc
	v_add_co_u32_e32 v26, vcc, s0, v26
	v_addc_co_u32_e32 v27, vcc, v43, v27, vcc
	global_load_dword v30, v[28:29], off
	global_load_dword v31, v[26:27], off
	s_waitcnt vmcnt(0)
	v_mul_f32_e32 v26, v30, v31
	global_store_dword v[28:29], v26, off
	v_lshlrev_b64 v[26:27], 2, v[0:1]
	v_add_u32_e32 v0, s3, v0
	v_add_co_u32_e32 v26, vcc, s2, v26
	v_addc_co_u32_e32 v27, vcc, v42, v27, vcc
	global_load_dword v28, v[26:27], off
	s_waitcnt vmcnt(0)
	v_mul_f32_e32 v29, v28, v31
	global_load_dword v28, v[8:9], off
	s_waitcnt vmcnt(0)
	v_mul_f32_e32 v29, v29, v28
	global_store_dword v[26:27], v29, off
	v_lshlrev_b64 v[26:27], 2, v[0:1]
	v_add_u32_e32 v0, s3, v0
	v_add_co_u32_e32 v26, vcc, s2, v26
	v_addc_co_u32_e32 v27, vcc, v42, v27, vcc
	global_load_dword v29, v[26:27], off
	s_waitcnt vmcnt(0)
	v_mul_f32_e32 v29, v29, v31
	v_mul_f32_e32 v29, v29, v28
	global_store_dword v[26:27], v29, off
	v_lshlrev_b64 v[26:27], 2, v[0:1]
	v_add_u32_e32 v0, s3, v0
	v_add_co_u32_e32 v26, vcc, s2, v26
	v_addc_co_u32_e32 v27, vcc, v42, v27, vcc
	global_load_dword v29, v[26:27], off
	s_waitcnt vmcnt(0)
	v_mul_f32_e32 v30, v29, v31
	global_load_dword v29, v[6:7], off
	s_waitcnt vmcnt(0)
	v_mul_f32_e32 v30, v30, v29
	global_store_dword v[26:27], v30, off
	v_lshlrev_b64 v[26:27], 2, v[0:1]
	v_add_u32_e32 v0, s3, v0
	v_add_co_u32_e32 v26, vcc, s2, v26
	v_addc_co_u32_e32 v27, vcc, v42, v27, vcc
	global_load_dword v30, v[26:27], off
	s_waitcnt vmcnt(0)
	v_mul_f32_e32 v30, v30, v31
	v_mul_f32_e32 v30, v30, v29
	global_store_dword v[26:27], v30, off
	v_lshlrev_b64 v[26:27], 2, v[0:1]
	v_add_u32_e32 v0, s1, v0
	v_add_co_u32_e32 v26, vcc, s2, v26
	v_addc_co_u32_e32 v27, vcc, v42, v27, vcc
	global_load_dword v30, v[26:27], off
	s_waitcnt vmcnt(0)
	v_mul_f32_e32 v30, v30, v31
	global_store_dword v[26:27], v30, off
	v_lshlrev_b64 v[26:27], 2, v[0:1]
	v_add_u32_e32 v0, s3, v0
	v_add_co_u32_e32 v26, vcc, s2, v26
	v_addc_co_u32_e32 v27, vcc, v42, v27, vcc
	global_load_dword v30, v[26:27], off
	global_load_dword v32, v[4:5], off
	s_waitcnt vmcnt(0)
	v_mul_f32_e32 v30, v30, v32
	global_store_dword v[26:27], v30, off
	v_lshlrev_b64 v[26:27], 2, v[0:1]
	v_add_u32_e32 v0, s3, v0
	v_add_co_u32_e32 v26, vcc, s2, v26
	v_addc_co_u32_e32 v27, vcc, v42, v27, vcc
	global_load_dword v30, v[26:27], off
	s_waitcnt vmcnt(0)
	v_mul_f32_e32 v30, v30, v28
	global_store_dword v[26:27], v30, off
	v_lshlrev_b64 v[26:27], 2, v[0:1]
	v_add_u32_e32 v0, s3, v0
	v_add_co_u32_e32 v26, vcc, s2, v26
	v_addc_co_u32_e32 v27, vcc, v42, v27, vcc
	;; [unrolled: 8-line block ×3, first 2 shown]
	global_load_dword v27, v[30:31], off
	global_load_dword v26, v[2:3], off
	s_waitcnt vmcnt(0)
	v_mul_f32_e32 v27, v27, v26
	global_store_dword v[30:31], v27, off
	v_lshlrev_b64 v[30:31], 2, v[0:1]
	v_add_u32_e32 v0, s3, v0
	v_add_co_u32_e32 v30, vcc, s2, v30
	v_addc_co_u32_e32 v31, vcc, v42, v31, vcc
	v_add_co_u32_e32 v24, vcc, s0, v24
	v_addc_co_u32_e32 v25, vcc, v43, v25, vcc
	global_load_dword v27, v[30:31], off
	global_load_dword v33, v[24:25], off
	s_waitcnt vmcnt(0)
	v_mul_f32_e32 v24, v27, v33
	v_mul_f32_e32 v24, v24, v32
	global_store_dword v[30:31], v24, off
	v_lshlrev_b64 v[24:25], 2, v[0:1]
	v_add_u32_e32 v0, s3, v0
	v_add_co_u32_e32 v24, vcc, s2, v24
	v_addc_co_u32_e32 v25, vcc, v42, v25, vcc
	global_load_dword v27, v[24:25], off
	s_waitcnt vmcnt(0)
	v_mul_f32_e32 v27, v27, v33
	v_mul_f32_e32 v27, v27, v32
	global_store_dword v[24:25], v27, off
	v_lshlrev_b64 v[24:25], 2, v[0:1]
	v_add_u32_e32 v0, s3, v0
	v_add_co_u32_e32 v24, vcc, s2, v24
	v_addc_co_u32_e32 v25, vcc, v42, v25, vcc
	;; [unrolled: 9-line block ×6, first 2 shown]
	global_load_dword v27, v[24:25], off
	s_waitcnt vmcnt(0)
	v_mul_f32_e32 v27, v27, v32
	global_store_dword v[24:25], v27, off
	v_lshlrev_b64 v[24:25], 2, v[0:1]
	v_add_u32_e32 v0, s3, v0
	v_add_co_u32_e32 v24, vcc, s2, v24
	v_addc_co_u32_e32 v25, vcc, v42, v25, vcc
	global_load_dword v27, v[24:25], off
	s_waitcnt vmcnt(0)
	v_mul_f32_e32 v27, v27, v32
	global_store_dword v[24:25], v27, off
	v_lshlrev_b64 v[24:25], 2, v[0:1]
	v_add_u32_e32 v0, s3, v0
	v_add_co_u32_e32 v24, vcc, s2, v24
	v_addc_co_u32_e32 v25, vcc, v42, v25, vcc
	;; [unrolled: 8-line block ×5, first 2 shown]
	global_load_dword v28, v[24:25], off
	global_load_dword v27, v[6:7], off
	s_waitcnt vmcnt(0)
	v_mul_f32_e32 v28, v28, v27
	global_store_dword v[24:25], v28, off
	v_lshlrev_b64 v[24:25], 2, v[0:1]
	v_add_u32_e32 v0, s3, v0
	v_add_co_u32_e32 v24, vcc, s2, v24
	v_addc_co_u32_e32 v25, vcc, v42, v25, vcc
	global_load_dword v28, v[24:25], off
	s_waitcnt vmcnt(0)
	v_mul_f32_e32 v28, v28, v26
	global_store_dword v[24:25], v28, off
	v_lshlrev_b64 v[24:25], 2, v[0:1]
	v_add_u32_e32 v0, s3, v0
	v_add_co_u32_e32 v24, vcc, s2, v24
	v_addc_co_u32_e32 v25, vcc, v42, v25, vcc
	;; [unrolled: 8-line block ×4, first 2 shown]
	global_load_dword v28, v[24:25], off
	global_load_dword v29, v[10:11], off
	s_waitcnt vmcnt(0)
	v_mul_f32_e32 v28, v28, v29
	global_store_dword v[24:25], v28, off
	v_lshlrev_b64 v[24:25], 2, v[0:1]
	v_add_u32_e32 v0, s1, v0
	v_add_co_u32_e32 v24, vcc, s2, v24
	v_addc_co_u32_e32 v25, vcc, v42, v25, vcc
	global_load_dword v28, v[24:25], off
	global_load_dword v29, v[18:19], off
	s_waitcnt vmcnt(0)
	v_mul_f32_e32 v28, v28, v29
	global_store_dword v[24:25], v28, off
	v_lshlrev_b64 v[24:25], 2, v[0:1]
	v_add_u32_e32 v0, s3, v0
	v_add_co_u32_e32 v24, vcc, s2, v24
	v_addc_co_u32_e32 v25, vcc, v42, v25, vcc
	;; [unrolled: 9-line block ×3, first 2 shown]
	global_load_dword v28, v[24:25], off
	s_waitcnt vmcnt(0)
	v_mul_f32_e32 v28, v28, v29
	global_store_dword v[24:25], v28, off
	v_lshlrev_b64 v[24:25], 2, v[0:1]
	v_add_u32_e32 v0, s1, v0
	v_add_co_u32_e32 v24, vcc, s2, v24
	v_addc_co_u32_e32 v25, vcc, v42, v25, vcc
	global_load_dword v28, v[24:25], off
	s_waitcnt vmcnt(0)
	v_mul_f32_e32 v28, v28, v29
	global_store_dword v[24:25], v28, off
	v_lshlrev_b64 v[24:25], 2, v[0:1]
	v_add_u32_e32 v0, s3, v0
	v_add_co_u32_e32 v24, vcc, s2, v24
	v_addc_co_u32_e32 v25, vcc, v42, v25, vcc
	global_load_dword v28, v[24:25], off
	global_load_dword v29, v[4:5], off
	s_waitcnt vmcnt(0)
	v_mul_f32_e32 v28, v28, v29
	global_store_dword v[24:25], v28, off
	v_lshlrev_b64 v[24:25], 2, v[0:1]
	v_add_u32_e32 v0, s3, v0
	v_add_co_u32_e32 v24, vcc, s2, v24
	v_addc_co_u32_e32 v25, vcc, v42, v25, vcc
	global_load_dword v28, v[24:25], off
	s_waitcnt vmcnt(0)
	v_mul_f32_e32 v28, v28, v29
	global_store_dword v[24:25], v28, off
	v_lshlrev_b64 v[24:25], 2, v[0:1]
	v_add_u32_e32 v0, s3, v0
	v_add_co_u32_e32 v24, vcc, s2, v24
	v_addc_co_u32_e32 v25, vcc, v42, v25, vcc
	global_load_dword v28, v[24:25], off
	s_waitcnt vmcnt(0)
	v_mul_f32_e32 v28, v28, v29
	global_store_dword v[24:25], v28, off
	v_lshlrev_b64 v[24:25], 2, v[0:1]
	v_add_u32_e32 v0, s3, v0
	v_add_co_u32_e32 v24, vcc, s2, v24
	v_addc_co_u32_e32 v25, vcc, v42, v25, vcc
	global_load_dword v28, v[24:25], off
	global_load_dword v30, v[8:9], off
	s_waitcnt vmcnt(0)
	v_mul_f32_e32 v28, v28, v30
	global_store_dword v[24:25], v28, off
	v_lshlrev_b64 v[24:25], 2, v[0:1]
	v_add_u32_e32 v0, s3, v0
	v_add_co_u32_e32 v24, vcc, s2, v24
	v_addc_co_u32_e32 v25, vcc, v42, v25, vcc
	;; [unrolled: 25-line block ×3, first 2 shown]
	v_add_co_u32_e32 v20, vcc, s0, v20
	v_addc_co_u32_e32 v21, vcc, v43, v21, vcc
	global_load_dword v26, v[24:25], off
	global_load_dword v28, v[20:21], off
	s_waitcnt vmcnt(0)
	v_mul_f32_e32 v20, v26, v28
	global_store_dword v[24:25], v20, off
	v_lshlrev_b64 v[20:21], 2, v[0:1]
	v_add_u32_e32 v0, s3, v0
	v_add_co_u32_e32 v20, vcc, s2, v20
	v_addc_co_u32_e32 v21, vcc, v42, v21, vcc
	global_load_dword v24, v[20:21], off
	global_load_dword v25, v[6:7], off
	;; [unrolled: 1-line block ×3, first 2 shown]
	s_waitcnt vmcnt(2)
	v_mul_f32_e32 v24, v24, v28
	v_mul_f32_e32 v24, v24, v29
	global_store_dword v[20:21], v24, off
	v_lshlrev_b64 v[20:21], 2, v[0:1]
	v_add_u32_e32 v0, s3, v0
	v_add_co_u32_e32 v20, vcc, s2, v20
	v_addc_co_u32_e32 v21, vcc, v42, v21, vcc
	global_load_dword v24, v[20:21], off
	s_waitcnt vmcnt(0)
	v_mul_f32_e32 v24, v24, v28
	v_mul_f32_e32 v24, v24, v29
	global_store_dword v[20:21], v24, off
	v_lshlrev_b64 v[20:21], 2, v[0:1]
	v_add_u32_e32 v0, s3, v0
	v_add_co_u32_e32 v20, vcc, s2, v20
	v_addc_co_u32_e32 v21, vcc, v42, v21, vcc
	global_load_dword v24, v[20:21], off
	;; [unrolled: 9-line block ×7, first 2 shown]
	s_waitcnt vmcnt(0)
	v_mul_f32_e32 v25, v24, v28
	global_load_dword v24, v[10:11], off
	s_waitcnt vmcnt(0)
	v_mul_f32_e32 v25, v25, v24
	global_store_dword v[20:21], v25, off
	v_lshlrev_b64 v[20:21], 2, v[0:1]
	v_add_u32_e32 v0, s3, v0
	v_add_co_u32_e32 v20, vcc, s2, v20
	v_addc_co_u32_e32 v21, vcc, v42, v21, vcc
	global_load_dword v25, v[20:21], off
	s_waitcnt vmcnt(0)
	v_mul_f32_e32 v25, v25, v28
	global_store_dword v[20:21], v25, off
	v_lshlrev_b64 v[20:21], 2, v[0:1]
	v_add_u32_e32 v0, s3, v0
	v_add_co_u32_e32 v20, vcc, s2, v20
	v_addc_co_u32_e32 v21, vcc, v42, v21, vcc
	;; [unrolled: 8-line block ×5, first 2 shown]
	global_load_dword v25, v[20:21], off
	s_waitcnt vmcnt(0)
	v_mul_f32_e32 v25, v25, v28
	v_mul_f32_e32 v25, v25, v26
	global_store_dword v[20:21], v25, off
	v_lshlrev_b64 v[20:21], 2, v[0:1]
	v_add_u32_e32 v0, s3, v0
	v_add_co_u32_e32 v20, vcc, s2, v20
	v_addc_co_u32_e32 v21, vcc, v42, v21, vcc
	global_load_dword v25, v[20:21], off
	s_waitcnt vmcnt(0)
	v_mul_f32_e32 v25, v25, v28
	v_mul_f32_e32 v25, v25, v26
	global_store_dword v[20:21], v25, off
	v_lshlrev_b64 v[20:21], 2, v[0:1]
	v_add_u32_e32 v0, s3, v0
	v_add_co_u32_e32 v20, vcc, s2, v20
	v_addc_co_u32_e32 v21, vcc, v42, v21, vcc
	global_load_dword v25, v[20:21], off
	global_load_dword v26, v[4:5], off
	s_waitcnt vmcnt(0)
	v_mul_f32_e32 v25, v25, v26
	global_store_dword v[20:21], v25, off
	v_lshlrev_b64 v[20:21], 2, v[0:1]
	v_add_u32_e32 v0, s3, v0
	v_add_co_u32_e32 v20, vcc, s2, v20
	v_addc_co_u32_e32 v21, vcc, v42, v21, vcc
	global_load_dword v25, v[20:21], off
	s_waitcnt vmcnt(0)
	v_mul_f32_e32 v25, v25, v26
	global_store_dword v[20:21], v25, off
	v_lshlrev_b64 v[20:21], 2, v[0:1]
	v_add_u32_e32 v0, s3, v0
	v_add_co_u32_e32 v20, vcc, s2, v20
	v_addc_co_u32_e32 v21, vcc, v42, v21, vcc
	global_load_dword v25, v[20:21], off
	global_load_dword v27, v[8:9], off
	s_waitcnt vmcnt(0)
	v_mul_f32_e32 v25, v25, v27
	global_store_dword v[20:21], v25, off
	v_lshlrev_b64 v[20:21], 2, v[0:1]
	v_add_u32_e32 v0, s3, v0
	v_add_co_u32_e32 v20, vcc, s2, v20
	v_addc_co_u32_e32 v21, vcc, v42, v21, vcc
	global_load_dword v25, v[20:21], off
	s_waitcnt vmcnt(0)
	;; [unrolled: 17-line block ×3, first 2 shown]
	v_mul_f32_e32 v25, v25, v24
	global_store_dword v[20:21], v25, off
	v_lshlrev_b64 v[20:21], 2, v[0:1]
	v_add_u32_e32 v0, s3, v0
	v_add_co_u32_e32 v20, vcc, s2, v20
	v_addc_co_u32_e32 v21, vcc, v42, v21, vcc
	global_load_dword v25, v[20:21], off
	s_waitcnt vmcnt(0)
	v_mul_f32_e32 v25, v25, v24
	global_store_dword v[20:21], v25, off
	v_lshlrev_b64 v[20:21], 2, v[0:1]
	v_add_u32_e32 v0, s3, v0
	v_add_co_u32_e32 v20, vcc, s2, v20
	v_addc_co_u32_e32 v21, vcc, v42, v21, vcc
	global_load_dword v25, v[20:21], off
	s_waitcnt vmcnt(0)
	v_mul_f32_e32 v25, v25, v24
	global_store_dword v[20:21], v25, off
	v_lshlrev_b64 v[20:21], 2, v[0:1]
	v_add_u32_e32 v0, s1, v0
	v_add_co_u32_e32 v20, vcc, s2, v20
	v_addc_co_u32_e32 v21, vcc, v42, v21, vcc
	global_load_dword v25, v[20:21], off
	global_load_dword v28, v[18:19], off
	s_waitcnt vmcnt(0)
	v_mul_f32_e32 v18, v25, v28
	global_store_dword v[20:21], v18, off
	v_lshlrev_b64 v[18:19], 2, v[0:1]
	v_add_u32_e32 v0, s3, v0
	v_add_co_u32_e32 v18, vcc, s2, v18
	v_addc_co_u32_e32 v19, vcc, v42, v19, vcc
	v_add_co_u32_e32 v16, vcc, s0, v16
	v_addc_co_u32_e32 v17, vcc, v43, v17, vcc
	global_load_dword v20, v[18:19], off
	global_load_dword v21, v[16:17], off
	s_waitcnt vmcnt(0)
	v_mul_f32_e32 v16, v20, v21
	v_mul_f32_e32 v16, v16, v26
	global_store_dword v[18:19], v16, off
	v_lshlrev_b64 v[16:17], 2, v[0:1]
	v_add_u32_e32 v0, s3, v0
	v_add_co_u32_e32 v16, vcc, s2, v16
	v_addc_co_u32_e32 v17, vcc, v42, v17, vcc
	global_load_dword v18, v[16:17], off
	global_load_dword v19, v[6:7], off
	s_waitcnt vmcnt(1)
	v_mul_f32_e32 v18, v18, v21
	v_mul_f32_e32 v18, v18, v27
	global_store_dword v[16:17], v18, off
	v_lshlrev_b64 v[16:17], 2, v[0:1]
	v_add_u32_e32 v0, s3, v0
	v_add_co_u32_e32 v16, vcc, s2, v16
	v_addc_co_u32_e32 v17, vcc, v42, v17, vcc
	global_load_dword v18, v[16:17], off
	s_waitcnt vmcnt(0)
	v_mul_f32_e32 v18, v18, v21
	v_mul_f32_e32 v18, v18, v19
	global_store_dword v[16:17], v18, off
	v_lshlrev_b64 v[16:17], 2, v[0:1]
	v_add_u32_e32 v0, s3, v0
	v_add_co_u32_e32 v16, vcc, s2, v16
	v_addc_co_u32_e32 v17, vcc, v42, v17, vcc
	global_load_dword v18, v[16:17], off
	global_load_dword v19, v[22:23], off
	s_waitcnt vmcnt(1)
	v_mul_f32_e32 v18, v18, v21
	global_store_dword v[16:17], v18, off
	v_lshlrev_b64 v[16:17], 2, v[0:1]
	v_add_u32_e32 v0, s3, v0
	v_add_co_u32_e32 v16, vcc, s2, v16
	v_addc_co_u32_e32 v17, vcc, v42, v17, vcc
	global_load_dword v18, v[16:17], off
	s_waitcnt vmcnt(0)
	v_mul_f32_e32 v18, v18, v21
	v_mul_f32_e32 v18, v18, v19
	global_store_dword v[16:17], v18, off
	v_lshlrev_b64 v[16:17], 2, v[0:1]
	v_add_u32_e32 v0, s3, v0
	v_add_co_u32_e32 v16, vcc, s2, v16
	v_addc_co_u32_e32 v17, vcc, v42, v17, vcc
	v_add_co_u32_e32 v14, vcc, s0, v14
	v_addc_co_u32_e32 v15, vcc, v43, v15, vcc
	global_load_dword v18, v[16:17], off
	global_load_dword v19, v[14:15], off
	s_waitcnt vmcnt(0)
	v_mul_f32_e32 v14, v18, v19
	v_mul_f32_e32 v14, v14, v26
	global_store_dword v[16:17], v14, off
	v_lshlrev_b64 v[14:15], 2, v[0:1]
	v_add_u32_e32 v0, s3, v0
	v_add_co_u32_e32 v14, vcc, s2, v14
	v_addc_co_u32_e32 v15, vcc, v42, v15, vcc
	global_load_dword v16, v[14:15], off
	s_waitcnt vmcnt(0)
	v_mul_f32_e32 v16, v16, v19
	v_mul_f32_e32 v16, v16, v26
	global_store_dword v[14:15], v16, off
	v_lshlrev_b64 v[14:15], 2, v[0:1]
	v_add_u32_e32 v0, s3, v0
	v_add_co_u32_e32 v14, vcc, s2, v14
	v_addc_co_u32_e32 v15, vcc, v42, v15, vcc
	;; [unrolled: 9-line block ×4, first 2 shown]
	global_load_dword v16, v[14:15], off
	s_waitcnt vmcnt(0)
	v_mul_f32_e32 v16, v16, v19
	global_store_dword v[14:15], v16, off
	v_lshlrev_b64 v[14:15], 2, v[0:1]
	v_add_u32_e32 v0, s3, v0
	v_add_co_u32_e32 v14, vcc, s2, v14
	v_addc_co_u32_e32 v15, vcc, v42, v15, vcc
	v_add_co_u32_e32 v12, vcc, s0, v12
	v_addc_co_u32_e32 v13, vcc, v43, v13, vcc
	global_load_dword v16, v[14:15], off
	global_load_dword v17, v[12:13], off
	s_waitcnt vmcnt(0)
	v_mul_f32_e32 v12, v16, v17
	v_mul_f32_e32 v12, v12, v26
	global_store_dword v[14:15], v12, off
	v_lshlrev_b64 v[12:13], 2, v[0:1]
	v_add_u32_e32 v0, s3, v0
	v_add_co_u32_e32 v12, vcc, s2, v12
	v_addc_co_u32_e32 v13, vcc, v42, v13, vcc
	global_load_dword v14, v[12:13], off
	s_waitcnt vmcnt(0)
	v_mul_f32_e32 v14, v14, v17
	v_mul_f32_e32 v14, v14, v26
	global_store_dword v[12:13], v14, off
	v_lshlrev_b64 v[12:13], 2, v[0:1]
	v_add_u32_e32 v0, s3, v0
	v_add_co_u32_e32 v12, vcc, s2, v12
	v_addc_co_u32_e32 v13, vcc, v42, v13, vcc
	;; [unrolled: 9-line block ×3, first 2 shown]
	global_load_dword v12, v[14:15], off
	s_waitcnt vmcnt(0)
	v_mul_f32_e32 v13, v12, v17
	global_load_dword v12, v[8:9], off
	s_waitcnt vmcnt(0)
	v_mul_f32_e32 v8, v13, v12
	global_store_dword v[14:15], v8, off
	v_lshlrev_b64 v[8:9], 2, v[0:1]
	v_add_u32_e32 v0, s3, v0
	v_add_co_u32_e32 v8, vcc, s2, v8
	v_addc_co_u32_e32 v9, vcc, v42, v9, vcc
	global_load_dword v13, v[8:9], off
	s_waitcnt vmcnt(0)
	v_mul_f32_e32 v13, v13, v17
	v_mul_f32_e32 v13, v13, v12
	global_store_dword v[8:9], v13, off
	v_lshlrev_b64 v[8:9], 2, v[0:1]
	v_add_u32_e32 v0, s3, v0
	v_add_co_u32_e32 v8, vcc, s2, v8
	v_addc_co_u32_e32 v9, vcc, v42, v9, vcc
	global_load_dword v13, v[8:9], off
	s_waitcnt vmcnt(0)
	v_mul_f32_e32 v13, v13, v17
	;; [unrolled: 9-line block ×3, first 2 shown]
	global_load_dword v13, v[6:7], off
	s_waitcnt vmcnt(0)
	v_mul_f32_e32 v6, v14, v13
	global_store_dword v[8:9], v6, off
	v_lshlrev_b64 v[6:7], 2, v[0:1]
	global_load_dword v9, v[10:11], off
	v_add_co_u32_e32 v6, vcc, s2, v6
	v_addc_co_u32_e32 v7, vcc, v42, v7, vcc
	global_load_dword v8, v[6:7], off
	v_add_u32_e32 v0, s3, v0
	s_waitcnt vmcnt(0)
	v_mul_f32_e32 v8, v8, v17
	v_mul_f32_e32 v8, v8, v9
	global_store_dword v[6:7], v8, off
	v_lshlrev_b64 v[6:7], 2, v[0:1]
	v_add_u32_e32 v0, s3, v0
	v_add_co_u32_e32 v6, vcc, s2, v6
	v_addc_co_u32_e32 v7, vcc, v42, v7, vcc
	global_load_dword v8, v[6:7], off
	s_waitcnt vmcnt(0)
	v_mul_f32_e32 v10, v8, v17
	global_load_dword v8, v[22:23], off
	s_waitcnt vmcnt(0)
	v_mul_f32_e32 v10, v10, v8
	global_store_dword v[6:7], v10, off
	v_lshlrev_b64 v[6:7], 2, v[0:1]
	v_add_u32_e32 v0, s3, v0
	v_add_co_u32_e32 v6, vcc, s2, v6
	v_addc_co_u32_e32 v7, vcc, v42, v7, vcc
	global_load_dword v10, v[6:7], off
	global_load_dword v11, v[4:5], off
	s_waitcnt vmcnt(0)
	v_mul_f32_e32 v4, v10, v11
	global_store_dword v[6:7], v4, off
	v_lshlrev_b64 v[4:5], 2, v[0:1]
	v_add_u32_e32 v0, s3, v0
	v_add_co_u32_e32 v4, vcc, s2, v4
	v_addc_co_u32_e32 v5, vcc, v42, v5, vcc
	global_load_dword v6, v[4:5], off
	s_waitcnt vmcnt(0)
	v_mul_f32_e32 v6, v6, v11
	global_store_dword v[4:5], v6, off
	v_lshlrev_b64 v[4:5], 2, v[0:1]
	v_add_u32_e32 v0, s3, v0
	v_add_co_u32_e32 v4, vcc, s2, v4
	v_addc_co_u32_e32 v5, vcc, v42, v5, vcc
	;; [unrolled: 8-line block ×4, first 2 shown]
	global_load_dword v6, v[4:5], off
	global_load_dword v7, v[2:3], off
	s_waitcnt vmcnt(0)
	v_mul_f32_e32 v2, v6, v7
	global_store_dword v[4:5], v2, off
	v_lshlrev_b64 v[2:3], 2, v[0:1]
	v_add_u32_e32 v0, s3, v0
	v_add_co_u32_e32 v2, vcc, s2, v2
	v_addc_co_u32_e32 v3, vcc, v42, v3, vcc
	global_load_dword v4, v[2:3], off
	v_lshlrev_b64 v[0:1], 2, v[0:1]
	v_add_co_u32_e32 v0, vcc, s2, v0
	v_addc_co_u32_e32 v1, vcc, v42, v1, vcc
	s_waitcnt vmcnt(0)
	v_mul_f32_e32 v4, v4, v9
	global_store_dword v[2:3], v4, off
	global_load_dword v2, v[0:1], off
	s_waitcnt vmcnt(0)
	v_mul_f32_e32 v2, v2, v8
	global_store_dword v[0:1], v2, off
	s_endpgm
	.section	.rodata,"a",@progbits
	.p2align	6, 0x0
	.amdhsa_kernel _Z12ratx2_kernelIfEvPKT_PS0_S3_
		.amdhsa_group_segment_fixed_size 0
		.amdhsa_private_segment_fixed_size 0
		.amdhsa_kernarg_size 280
		.amdhsa_user_sgpr_count 6
		.amdhsa_user_sgpr_private_segment_buffer 1
		.amdhsa_user_sgpr_dispatch_ptr 0
		.amdhsa_user_sgpr_queue_ptr 0
		.amdhsa_user_sgpr_kernarg_segment_ptr 1
		.amdhsa_user_sgpr_dispatch_id 0
		.amdhsa_user_sgpr_flat_scratch_init 0
		.amdhsa_user_sgpr_private_segment_size 0
		.amdhsa_uses_dynamic_stack 0
		.amdhsa_system_sgpr_private_segment_wavefront_offset 0
		.amdhsa_system_sgpr_workgroup_id_x 1
		.amdhsa_system_sgpr_workgroup_id_y 0
		.amdhsa_system_sgpr_workgroup_id_z 0
		.amdhsa_system_sgpr_workgroup_info 0
		.amdhsa_system_vgpr_workitem_id 0
		.amdhsa_next_free_vgpr 50
		.amdhsa_next_free_sgpr 9
		.amdhsa_reserve_vcc 1
		.amdhsa_reserve_flat_scratch 0
		.amdhsa_float_round_mode_32 0
		.amdhsa_float_round_mode_16_64 0
		.amdhsa_float_denorm_mode_32 3
		.amdhsa_float_denorm_mode_16_64 3
		.amdhsa_dx10_clamp 1
		.amdhsa_ieee_mode 1
		.amdhsa_fp16_overflow 0
		.amdhsa_exception_fp_ieee_invalid_op 0
		.amdhsa_exception_fp_denorm_src 0
		.amdhsa_exception_fp_ieee_div_zero 0
		.amdhsa_exception_fp_ieee_overflow 0
		.amdhsa_exception_fp_ieee_underflow 0
		.amdhsa_exception_fp_ieee_inexact 0
		.amdhsa_exception_int_div_zero 0
	.end_amdhsa_kernel
	.section	.text._Z12ratx2_kernelIfEvPKT_PS0_S3_,"axG",@progbits,_Z12ratx2_kernelIfEvPKT_PS0_S3_,comdat
.Lfunc_end14:
	.size	_Z12ratx2_kernelIfEvPKT_PS0_S3_, .Lfunc_end14-_Z12ratx2_kernelIfEvPKT_PS0_S3_
                                        ; -- End function
	.set _Z12ratx2_kernelIfEvPKT_PS0_S3_.num_vgpr, 50
	.set _Z12ratx2_kernelIfEvPKT_PS0_S3_.num_agpr, 0
	.set _Z12ratx2_kernelIfEvPKT_PS0_S3_.numbered_sgpr, 9
	.set _Z12ratx2_kernelIfEvPKT_PS0_S3_.num_named_barrier, 0
	.set _Z12ratx2_kernelIfEvPKT_PS0_S3_.private_seg_size, 0
	.set _Z12ratx2_kernelIfEvPKT_PS0_S3_.uses_vcc, 1
	.set _Z12ratx2_kernelIfEvPKT_PS0_S3_.uses_flat_scratch, 0
	.set _Z12ratx2_kernelIfEvPKT_PS0_S3_.has_dyn_sized_stack, 0
	.set _Z12ratx2_kernelIfEvPKT_PS0_S3_.has_recursion, 0
	.set _Z12ratx2_kernelIfEvPKT_PS0_S3_.has_indirect_call, 0
	.section	.AMDGPU.csdata,"",@progbits
; Kernel info:
; codeLenInByte = 9824
; TotalNumSgprs: 13
; NumVgprs: 50
; ScratchSize: 0
; MemoryBound: 0
; FloatMode: 240
; IeeeMode: 1
; LDSByteSize: 0 bytes/workgroup (compile time only)
; SGPRBlocks: 1
; VGPRBlocks: 12
; NumSGPRsForWavesPerEU: 13
; NumVGPRsForWavesPerEU: 50
; Occupancy: 4
; WaveLimiterHint : 0
; COMPUTE_PGM_RSRC2:SCRATCH_EN: 0
; COMPUTE_PGM_RSRC2:USER_SGPR: 6
; COMPUTE_PGM_RSRC2:TRAP_HANDLER: 0
; COMPUTE_PGM_RSRC2:TGID_X_EN: 1
; COMPUTE_PGM_RSRC2:TGID_Y_EN: 0
; COMPUTE_PGM_RSRC2:TGID_Z_EN: 0
; COMPUTE_PGM_RSRC2:TIDIG_COMP_CNT: 0
	.section	.text._Z12ratx4_kernelIfEvPKT_PS0_S3_,"axG",@progbits,_Z12ratx4_kernelIfEvPKT_PS0_S3_,comdat
	.protected	_Z12ratx4_kernelIfEvPKT_PS0_S3_ ; -- Begin function _Z12ratx4_kernelIfEvPKT_PS0_S3_
	.globl	_Z12ratx4_kernelIfEvPKT_PS0_S3_
	.p2align	8
	.type	_Z12ratx4_kernelIfEvPKT_PS0_S3_,@function
_Z12ratx4_kernelIfEvPKT_PS0_S3_:        ; @_Z12ratx4_kernelIfEvPKT_PS0_S3_
; %bb.0:
	s_load_dwordx2 s[2:3], s[4:5], 0x0
	s_load_dwordx2 s[0:1], s[4:5], 0x10
	s_load_dword s7, s[4:5], 0x18
	s_load_dword s8, s[4:5], 0x24
	v_mov_b32_e32 v3, 0
	v_mov_b32_e32 v7, v3
	s_waitcnt lgkmcnt(0)
	v_mov_b32_e32 v46, s1
	v_mov_b32_e32 v47, s3
	s_and_b32 s4, s8, 0xffff
	s_mul_i32 s6, s6, s4
	v_add_u32_e32 v2, s6, v0
	s_mul_i32 s1, s7, s4
	v_lshlrev_b64 v[0:1], 2, v[2:3]
	s_lshl_b32 s4, s1, 1
	v_add_u32_e32 v6, s4, v2
	v_add_co_u32_e32 v4, vcc, s0, v0
	v_lshlrev_b64 v[12:13], 2, v[6:7]
	v_addc_co_u32_e32 v5, vcc, v46, v1, vcc
	v_add_co_u32_e32 v30, vcc, s2, v12
	v_addc_co_u32_e32 v31, vcc, v47, v13, vcc
	global_load_dword v8, v[4:5], off
	global_load_dword v20, v[30:31], off
	v_add_u32_e32 v6, s4, v6
	v_lshlrev_b64 v[6:7], 2, v[6:7]
	v_add_u32_e32 v2, s1, v2
	s_lshl_b32 s3, s1, 2
	s_waitcnt vmcnt(0)
	v_mul_f32_e32 v10, v8, v20
	v_add_co_u32_e32 v8, vcc, s2, v6
	v_addc_co_u32_e32 v9, vcc, v47, v7, vcc
	global_load_dword v23, v[8:9], off
	s_waitcnt vmcnt(0)
	v_mul_f32_e32 v6, v10, v23
	global_store_dword v[4:5], v6, off
	v_lshlrev_b64 v[4:5], 2, v[2:3]
	v_add_u32_e32 v2, s3, v2
	v_add_co_u32_e32 v6, vcc, s0, v4
	v_addc_co_u32_e32 v7, vcc, v46, v5, vcc
	v_add_co_u32_e32 v10, vcc, s2, v4
	v_addc_co_u32_e32 v11, vcc, v47, v5, vcc
	global_load_dword v14, v[6:7], off
	global_load_dword v22, v[10:11], off
	s_waitcnt vmcnt(0)
	v_mul_f32_e32 v4, v14, v22
	v_mul_f32_e32 v4, v23, v4
	global_store_dword v[6:7], v4, off
	v_add_co_u32_e32 v4, vcc, s0, v12
	v_addc_co_u32_e32 v5, vcc, v46, v13, vcc
	global_load_dword v6, v[4:5], off
	s_waitcnt vmcnt(0)
	v_mul_f32_e32 v12, v22, v6
	v_lshlrev_b64 v[6:7], 2, v[2:3]
	v_subrev_u32_e32 v2, s4, v2
	v_add_co_u32_e32 v16, vcc, s2, v6
	v_addc_co_u32_e32 v17, vcc, v47, v7, vcc
	global_load_dword v40, v[16:17], off
	v_lshlrev_b64 v[14:15], 2, v[2:3]
	s_waitcnt vmcnt(0)
	v_mul_f32_e32 v12, v12, v40
	global_store_dword v[4:5], v12, off
	v_add_co_u32_e32 v4, vcc, s0, v14
	v_addc_co_u32_e32 v5, vcc, v46, v15, vcc
	global_load_dword v12, v[4:5], off
	s_waitcnt vmcnt(0)
	v_mul_f32_e32 v12, v20, v12
	v_mul_f32_e32 v12, v40, v12
	global_store_dword v[4:5], v12, off
	v_add_co_u32_e32 v4, vcc, s0, v6
	v_addc_co_u32_e32 v5, vcc, v46, v7, vcc
	v_add_co_u32_e32 v12, vcc, s2, v0
	v_addc_co_u32_e32 v13, vcc, v47, v1, vcc
	global_load_dword v6, v[4:5], off
	global_load_dword v44, v[12:13], off
	s_waitcnt vmcnt(0)
	v_mul_f32_e32 v0, v6, v44
	v_mul_f32_e32 v0, v44, v0
	global_store_dword v[4:5], v0, off
	v_mad_u64_u32 v[0:1], s[6:7], s1, 3, v[2:3]
	v_mov_b32_e32 v1, v3
	v_lshlrev_b64 v[4:5], 2, v[0:1]
	v_add_co_u32_e32 v1, vcc, s0, v4
	v_addc_co_u32_e32 v2, vcc, v46, v5, vcc
	global_load_dword v6, v[1:2], off
	s_waitcnt vmcnt(0)
	v_mul_f32_e32 v6, v44, v6
	v_mul_f32_e32 v6, v40, v6
	global_store_dword v[1:2], v6, off
	v_add_u32_e32 v2, s1, v0
	v_lshlrev_b64 v[0:1], 2, v[2:3]
	v_add_u32_e32 v2, s3, v2
	v_add_co_u32_e32 v6, vcc, s0, v0
	v_addc_co_u32_e32 v7, vcc, v46, v1, vcc
	global_load_dword v18, v[6:7], off
	s_mul_i32 s3, s1, 0xffffffe9
	s_waitcnt vmcnt(0)
	v_mul_f32_e32 v21, v44, v18
	v_lshlrev_b64 v[18:19], 2, v[2:3]
	v_add_u32_e32 v2, s1, v2
	v_add_co_u32_e32 v36, vcc, s2, v18
	v_addc_co_u32_e32 v37, vcc, v47, v19, vcc
	global_load_dword v41, v[36:37], off
	s_waitcnt vmcnt(0)
	v_mul_f32_e32 v18, v21, v41
	global_store_dword v[6:7], v18, off
	v_lshlrev_b64 v[6:7], 2, v[2:3]
	v_add_u32_e32 v2, s1, v2
	v_add_co_u32_e32 v24, vcc, s0, v6
	v_addc_co_u32_e32 v25, vcc, v46, v7, vcc
	v_add_co_u32_e32 v4, vcc, s2, v4
	v_addc_co_u32_e32 v5, vcc, v47, v5, vcc
	global_load_dword v18, v[24:25], off
	global_load_dword v45, v[4:5], off
	v_lshlrev_b64 v[42:43], 2, v[2:3]
	v_add_u32_e32 v2, s1, v2
	v_mad_u64_u32 v[28:29], s[6:7], s1, 7, v[2:3]
	v_lshlrev_b64 v[26:27], 2, v[2:3]
	v_mov_b32_e32 v29, v3
	v_lshlrev_b64 v[48:49], 2, v[28:29]
	v_mad_u64_u32 v[32:33], s[6:7], s1, -6, v[28:29]
	v_mov_b32_e32 v33, v3
	v_lshlrev_b64 v[28:29], 2, v[32:33]
	s_waitcnt vmcnt(0)
	v_mul_f32_e32 v21, v18, v45
	v_add_co_u32_e32 v18, vcc, s2, v14
	v_addc_co_u32_e32 v19, vcc, v47, v15, vcc
	global_load_dword v52, v[18:19], off
	s_waitcnt vmcnt(0)
	v_mul_f32_e32 v14, v21, v52
	global_store_dword v[24:25], v14, off
	v_add_co_u32_e32 v14, vcc, s0, v42
	v_addc_co_u32_e32 v15, vcc, v46, v43, vcc
	global_load_dword v21, v[14:15], off
	s_waitcnt vmcnt(0)
	v_mul_f32_e32 v21, v45, v21
	v_mul_f32_e32 v21, v40, v21
	global_store_dword v[14:15], v21, off
	v_add_co_u32_e32 v14, vcc, s0, v26
	v_addc_co_u32_e32 v15, vcc, v46, v27, vcc
	v_add_co_u32_e32 v24, vcc, s2, v48
	global_load_dword v21, v[14:15], off
	v_addc_co_u32_e32 v25, vcc, v47, v49, vcc
	global_load_dword v2, v[24:25], off
	v_add_co_u32_e32 v33, vcc, s0, v28
	v_addc_co_u32_e32 v34, vcc, v46, v29, vcc
	s_waitcnt vmcnt(1)
	v_mul_f32_e32 v21, v45, v21
	s_waitcnt vmcnt(0)
	v_mul_f32_e32 v2, v21, v2
	global_store_dword v[14:15], v2, off
	v_add_co_u32_e32 v14, vcc, s2, v0
	v_addc_co_u32_e32 v15, vcc, v47, v1, vcc
	global_load_dword v2, v[33:34], off
	global_load_dword v53, v[14:15], off
	s_waitcnt vmcnt(0)
	v_mul_f32_e32 v0, v2, v53
	v_add_u32_e32 v2, s1, v32
	global_store_dword v[33:34], v0, off
	v_lshlrev_b64 v[0:1], 2, v[2:3]
	v_add_u32_e32 v2, s1, v2
	v_add_co_u32_e32 v32, vcc, s0, v0
	v_addc_co_u32_e32 v33, vcc, v46, v1, vcc
	global_load_dword v21, v[32:33], off
	s_waitcnt vmcnt(0)
	v_mul_f32_e32 v20, v20, v21
	v_mul_f32_e32 v20, v40, v20
	global_store_dword v[32:33], v20, off
	v_lshlrev_b64 v[20:21], 2, v[2:3]
	v_add_u32_e32 v2, s1, v2
	v_add_co_u32_e32 v32, vcc, s0, v20
	v_addc_co_u32_e32 v33, vcc, v46, v21, vcc
	global_load_dword v34, v[32:33], off
	v_lshlrev_b64 v[38:39], 2, v[2:3]
	v_add_u32_e32 v2, s1, v2
	s_waitcnt vmcnt(0)
	v_mul_f32_e32 v34, v52, v34
	v_mul_f32_e32 v34, v44, v34
	global_store_dword v[32:33], v34, off
	v_add_co_u32_e32 v32, vcc, s0, v38
	v_addc_co_u32_e32 v33, vcc, v46, v39, vcc
	global_load_dword v34, v[32:33], off
	s_waitcnt vmcnt(0)
	v_mul_f32_e32 v34, v23, v34
	v_mul_f32_e32 v34, v23, v34
	global_store_dword v[32:33], v34, off
	v_lshlrev_b64 v[32:33], 2, v[2:3]
	v_add_u32_e32 v2, s1, v2
	v_add_co_u32_e32 v34, vcc, s0, v32
	v_addc_co_u32_e32 v35, vcc, v46, v33, vcc
	global_load_dword v50, v[34:35], off
	s_waitcnt vmcnt(0)
	v_mul_f32_e32 v50, v23, v50
	v_mul_f32_e32 v50, v52, v50
	global_store_dword v[34:35], v50, off
	v_lshlrev_b64 v[34:35], 2, v[2:3]
	v_add_u32_e32 v2, s4, v2
	v_add_co_u32_e32 v50, vcc, s0, v34
	v_addc_co_u32_e32 v51, vcc, v46, v35, vcc
	global_load_dword v54, v[50:51], off
	v_add_co_u32_e32 v48, vcc, s0, v48
	v_addc_co_u32_e32 v49, vcc, v46, v49, vcc
	s_waitcnt vmcnt(0)
	v_mul_f32_e32 v54, v52, v54
	v_mul_f32_e32 v54, v40, v54
	global_store_dword v[50:51], v54, off
	global_load_dword v50, v[48:49], off
	s_waitcnt vmcnt(0)
	v_mul_f32_e32 v50, v52, v50
	v_mul_f32_e32 v50, v53, v50
	global_store_dword v[48:49], v50, off
	v_lshlrev_b64 v[48:49], 2, v[2:3]
	v_add_u32_e32 v2, s1, v2
	v_add_co_u32_e32 v48, vcc, s0, v48
	v_addc_co_u32_e32 v49, vcc, v46, v49, vcc
	global_load_dword v50, v[48:49], off
	s_waitcnt vmcnt(0)
	v_mul_f32_e32 v50, v52, v50
	v_mul_f32_e32 v50, v53, v50
	global_store_dword v[48:49], v50, off
	v_lshlrev_b64 v[48:49], 2, v[2:3]
	v_add_u32_e32 v2, s1, v2
	v_add_co_u32_e32 v48, vcc, s0, v48
	v_addc_co_u32_e32 v49, vcc, v46, v49, vcc
	;; [unrolled: 9-line block ×6, first 2 shown]
	global_load_dword v23, v[48:49], off
	s_waitcnt vmcnt(0)
	v_mul_f32_e32 v23, v45, v23
	v_lshlrev_b64 v[44:45], 2, v[2:3]
	v_mul_f32_e32 v23, v40, v23
	v_add_co_u32_e32 v44, vcc, s0, v44
	global_store_dword v[48:49], v23, off
	v_addc_co_u32_e32 v45, vcc, v46, v45, vcc
	global_load_dword v23, v[44:45], off
	v_add_u32_e32 v2, s1, v2
	s_waitcnt vmcnt(0)
	v_mul_f32_e32 v23, v41, v23
	v_mul_f32_e32 v22, v22, v23
	global_store_dword v[44:45], v22, off
	v_lshlrev_b64 v[22:23], 2, v[2:3]
	v_add_u32_e32 v2, s1, v2
	v_add_co_u32_e32 v22, vcc, s0, v22
	v_addc_co_u32_e32 v23, vcc, v46, v23, vcc
	v_add_co_u32_e32 v6, vcc, s2, v6
	v_addc_co_u32_e32 v7, vcc, v47, v7, vcc
	global_load_dword v40, v[22:23], off
	global_load_dword v45, v[6:7], off
	s_waitcnt vmcnt(0)
	v_mul_f32_e32 v40, v40, v45
	global_store_dword v[22:23], v40, off
	v_lshlrev_b64 v[22:23], 2, v[2:3]
	v_add_u32_e32 v2, s1, v2
	v_add_co_u32_e32 v22, vcc, s0, v22
	v_addc_co_u32_e32 v23, vcc, v46, v23, vcc
	global_load_dword v40, v[22:23], off
	global_load_dword v44, v[36:37], off
	;; [unrolled: 1-line block ×5, first 2 shown]
	s_waitcnt vmcnt(3)
	v_mul_f32_e32 v40, v40, v44
	s_waitcnt vmcnt(2)
	v_mul_f32_e32 v40, v40, v50
	global_store_dword v[22:23], v40, off
	v_lshlrev_b64 v[22:23], 2, v[2:3]
	v_add_u32_e32 v2, s1, v2
	v_add_co_u32_e32 v22, vcc, s0, v22
	v_addc_co_u32_e32 v23, vcc, v46, v23, vcc
	global_load_dword v40, v[22:23], off
	s_waitcnt vmcnt(0)
	v_mul_f32_e32 v40, v40, v44
	v_mul_f32_e32 v40, v40, v51
	global_store_dword v[22:23], v40, off
	v_lshlrev_b64 v[22:23], 2, v[2:3]
	v_add_u32_e32 v2, s3, v2
	v_add_co_u32_e32 v40, vcc, s0, v22
	v_addc_co_u32_e32 v41, vcc, v46, v23, vcc
	v_lshlrev_b64 v[22:23], 2, v[2:3]
	global_load_dword v48, v[40:41], off
	v_add_co_u32_e32 v22, vcc, s2, v22
	v_addc_co_u32_e32 v23, vcc, v47, v23, vcc
	global_load_dword v52, v[22:23], off
	s_mul_i32 s3, s1, 0xffffffd9
	s_waitcnt vmcnt(0)
	v_mul_f32_e32 v48, v48, v52
	v_mul_f32_e32 v48, v48, v53
	global_store_dword v[40:41], v48, off
	v_mad_u64_u32 v[40:41], s[6:7], s1, 24, v[2:3]
	v_mov_b32_e32 v41, v3
	v_lshlrev_b64 v[48:49], 2, v[40:41]
	v_add_co_u32_e32 v48, vcc, s0, v48
	v_addc_co_u32_e32 v49, vcc, v46, v49, vcc
	global_load_dword v2, v[48:49], off
	s_waitcnt vmcnt(0)
	v_mul_f32_e32 v2, v2, v53
	global_store_dword v[48:49], v2, off
	v_add_u32_e32 v2, s1, v40
	v_lshlrev_b64 v[40:41], 2, v[2:3]
	v_add_u32_e32 v2, s1, v2
	v_add_co_u32_e32 v40, vcc, s0, v40
	v_addc_co_u32_e32 v41, vcc, v46, v41, vcc
	global_load_dword v48, v[40:41], off
	s_waitcnt vmcnt(0)
	v_mul_f32_e32 v48, v48, v53
	global_store_dword v[40:41], v48, off
	v_lshlrev_b64 v[40:41], 2, v[2:3]
	v_add_u32_e32 v2, s1, v2
	v_add_co_u32_e32 v40, vcc, s0, v40
	v_addc_co_u32_e32 v41, vcc, v46, v41, vcc
	global_load_dword v48, v[40:41], off
	s_waitcnt vmcnt(0)
	v_mul_f32_e32 v48, v48, v45
	v_mul_f32_e32 v48, v48, v53
	global_store_dword v[40:41], v48, off
	v_lshlrev_b64 v[40:41], 2, v[2:3]
	v_add_u32_e32 v2, s1, v2
	v_add_co_u32_e32 v40, vcc, s0, v40
	v_addc_co_u32_e32 v41, vcc, v46, v41, vcc
	global_load_dword v48, v[40:41], off
	s_waitcnt vmcnt(0)
	v_mul_f32_e32 v48, v48, v50
	global_store_dword v[40:41], v48, off
	v_lshlrev_b64 v[40:41], 2, v[2:3]
	v_add_u32_e32 v2, s1, v2
	v_add_co_u32_e32 v48, vcc, s0, v40
	v_addc_co_u32_e32 v49, vcc, v46, v41, vcc
	v_add_co_u32_e32 v40, vcc, s2, v0
	v_addc_co_u32_e32 v41, vcc, v47, v1, vcc
	global_load_dword v50, v[48:49], off
	global_load_dword v0, v[40:41], off
	s_waitcnt vmcnt(0)
	v_mul_f32_e32 v0, v50, v0
	global_store_dword v[48:49], v0, off
	v_lshlrev_b64 v[0:1], 2, v[2:3]
	v_add_u32_e32 v2, s1, v2
	v_add_co_u32_e32 v0, vcc, s0, v0
	v_addc_co_u32_e32 v1, vcc, v46, v1, vcc
	global_load_dword v48, v[0:1], off
	s_waitcnt vmcnt(0)
	v_mul_f32_e32 v48, v48, v52
	global_store_dword v[0:1], v48, off
	v_lshlrev_b64 v[0:1], 2, v[2:3]
	v_add_u32_e32 v2, s1, v2
	v_add_co_u32_e32 v0, vcc, s0, v0
	v_addc_co_u32_e32 v1, vcc, v46, v1, vcc
	global_load_dword v48, v[0:1], off
	s_waitcnt vmcnt(0)
	v_mul_f32_e32 v45, v48, v45
	global_store_dword v[0:1], v45, off
	v_lshlrev_b64 v[0:1], 2, v[2:3]
	global_load_dword v48, v[12:13], off
	v_add_co_u32_e32 v0, vcc, s0, v0
	v_addc_co_u32_e32 v1, vcc, v46, v1, vcc
	global_load_dword v45, v[0:1], off
	v_add_u32_e32 v2, s1, v2
	s_waitcnt vmcnt(0)
	v_mul_f32_e32 v45, v45, v52
	v_mul_f32_e32 v45, v45, v48
	global_store_dword v[0:1], v45, off
	v_lshlrev_b64 v[0:1], 2, v[2:3]
	v_add_u32_e32 v2, s1, v2
	v_add_co_u32_e32 v0, vcc, s0, v0
	v_addc_co_u32_e32 v1, vcc, v46, v1, vcc
	global_load_dword v45, v[0:1], off
	global_load_dword v48, v[4:5], off
	s_waitcnt vmcnt(1)
	v_mul_f32_e32 v45, v45, v52
	v_mul_f32_e32 v45, v45, v51
	global_store_dword v[0:1], v45, off
	v_lshlrev_b64 v[0:1], 2, v[2:3]
	v_add_u32_e32 v2, s1, v2
	v_add_co_u32_e32 v0, vcc, s0, v0
	v_addc_co_u32_e32 v1, vcc, v46, v1, vcc
	global_load_dword v45, v[0:1], off
	global_load_dword v51, v[16:17], off
	s_waitcnt vmcnt(1)
	v_mul_f32_e32 v45, v45, v44
	v_mul_f32_e32 v45, v45, v53
	global_store_dword v[0:1], v45, off
	v_lshlrev_b64 v[0:1], 2, v[2:3]
	v_add_u32_e32 v2, s4, v2
	v_add_co_u32_e32 v0, vcc, s0, v0
	v_addc_co_u32_e32 v1, vcc, v46, v1, vcc
	global_load_dword v45, v[0:1], off
	s_waitcnt vmcnt(0)
	v_mul_f32_e32 v45, v45, v52
	v_mul_f32_e32 v45, v45, v51
	global_store_dword v[0:1], v45, off
	v_lshlrev_b64 v[0:1], 2, v[2:3]
	v_add_u32_e32 v2, s1, v2
	v_add_co_u32_e32 v0, vcc, s0, v0
	v_addc_co_u32_e32 v1, vcc, v46, v1, vcc
	;; [unrolled: 9-line block ×3, first 2 shown]
	v_lshlrev_b64 v[0:1], 2, v[2:3]
	global_load_dword v45, v[48:49], off
	v_add_co_u32_e32 v0, vcc, s2, v0
	v_addc_co_u32_e32 v1, vcc, v47, v1, vcc
	global_load_dword v52, v[0:1], off
	s_mul_i32 s3, s1, 0xffffffbc
	s_waitcnt vmcnt(0)
	v_mul_f32_e32 v45, v45, v52
	global_store_dword v[48:49], v45, off
	v_mad_u64_u32 v[48:49], s[6:7], s1, 40, v[2:3]
	v_mov_b32_e32 v49, v3
	v_lshlrev_b64 v[49:50], 2, v[48:49]
	v_add_co_u32_e32 v49, vcc, s0, v49
	v_addc_co_u32_e32 v50, vcc, v46, v50, vcc
	global_load_dword v2, v[49:50], off
	global_load_dword v45, v[10:11], off
	s_waitcnt vmcnt(0)
	v_mul_f32_e32 v2, v2, v45
	v_mul_f32_e32 v2, v2, v52
	global_store_dword v[49:50], v2, off
	v_add_u32_e32 v2, s1, v48
	v_lshlrev_b64 v[48:49], 2, v[2:3]
	v_add_u32_e32 v2, s1, v2
	v_add_co_u32_e32 v48, vcc, s0, v48
	v_addc_co_u32_e32 v49, vcc, v46, v49, vcc
	global_load_dword v50, v[48:49], off
	s_waitcnt vmcnt(0)
	v_mul_f32_e32 v50, v50, v45
	global_store_dword v[48:49], v50, off
	v_lshlrev_b64 v[48:49], 2, v[2:3]
	v_add_u32_e32 v2, s1, v2
	v_add_co_u32_e32 v48, vcc, s0, v48
	v_addc_co_u32_e32 v49, vcc, v46, v49, vcc
	global_load_dword v50, v[48:49], off
	global_load_dword v52, v[8:9], off
	s_waitcnt vmcnt(0)
	v_mul_f32_e32 v50, v50, v52
	global_store_dword v[48:49], v50, off
	v_lshlrev_b64 v[48:49], 2, v[2:3]
	v_add_u32_e32 v2, s1, v2
	v_add_co_u32_e32 v48, vcc, s0, v48
	v_addc_co_u32_e32 v49, vcc, v46, v49, vcc
	global_load_dword v50, v[48:49], off
	s_waitcnt vmcnt(0)
	v_mul_f32_e32 v44, v50, v44
	v_mul_f32_e32 v44, v44, v45
	;; [unrolled: 1-line block ×3, first 2 shown]
	global_store_dword v[48:49], v44, off
	v_lshlrev_b64 v[48:49], 2, v[2:3]
	v_add_u32_e32 v2, s1, v2
	v_add_co_u32_e32 v48, vcc, s0, v48
	v_addc_co_u32_e32 v49, vcc, v46, v49, vcc
	global_load_dword v44, v[48:49], off
	global_load_dword v50, v[6:7], off
	s_waitcnt vmcnt(0)
	v_mul_f32_e32 v44, v44, v50
	v_mul_f32_e32 v44, v44, v45
	global_store_dword v[48:49], v44, off
	v_lshlrev_b64 v[48:49], 2, v[2:3]
	v_add_u32_e32 v2, s1, v2
	v_add_co_u32_e32 v48, vcc, s0, v48
	v_addc_co_u32_e32 v49, vcc, v46, v49, vcc
	global_load_dword v44, v[48:49], off
	s_waitcnt vmcnt(0)
	v_mul_f32_e32 v44, v44, v51
	global_store_dword v[48:49], v44, off
	v_lshlrev_b64 v[48:49], 2, v[2:3]
	v_add_u32_e32 v2, s1, v2
	v_add_co_u32_e32 v48, vcc, s0, v48
	v_addc_co_u32_e32 v49, vcc, v46, v49, vcc
	global_load_dword v44, v[48:49], off
	s_waitcnt vmcnt(0)
	v_mul_f32_e32 v44, v44, v50
	v_mul_f32_e32 v44, v44, v52
	global_store_dword v[48:49], v44, off
	v_lshlrev_b64 v[48:49], 2, v[2:3]
	v_add_u32_e32 v2, s1, v2
	v_add_co_u32_e32 v48, vcc, s0, v48
	v_addc_co_u32_e32 v49, vcc, v46, v49, vcc
	v_add_co_u32_e32 v20, vcc, s2, v20
	v_addc_co_u32_e32 v21, vcc, v47, v21, vcc
	global_load_dword v44, v[48:49], off
	global_load_dword v51, v[20:21], off
	s_waitcnt vmcnt(0)
	v_mul_f32_e32 v44, v44, v51
	global_store_dword v[48:49], v44, off
	v_lshlrev_b64 v[48:49], 2, v[2:3]
	v_add_u32_e32 v2, s1, v2
	v_add_co_u32_e32 v48, vcc, s0, v48
	v_addc_co_u32_e32 v49, vcc, v46, v49, vcc
	v_add_co_u32_e32 v42, vcc, s2, v42
	v_addc_co_u32_e32 v43, vcc, v47, v43, vcc
	global_load_dword v44, v[48:49], off
	global_load_dword v51, v[42:43], off
	s_waitcnt vmcnt(0)
	v_mul_f32_e32 v44, v44, v51
	v_mul_f32_e32 v44, v44, v45
	global_store_dword v[48:49], v44, off
	v_lshlrev_b64 v[48:49], 2, v[2:3]
	v_add_u32_e32 v2, s1, v2
	v_add_co_u32_e32 v48, vcc, s0, v48
	v_addc_co_u32_e32 v49, vcc, v46, v49, vcc
	global_load_dword v44, v[48:49], off
	s_waitcnt vmcnt(0)
	v_mul_f32_e32 v44, v44, v51
	global_load_dword v51, v[12:13], off
	s_waitcnt vmcnt(0)
	v_mul_f32_e32 v44, v44, v51
	global_store_dword v[48:49], v44, off
	v_lshlrev_b64 v[48:49], 2, v[2:3]
	v_add_u32_e32 v2, s1, v2
	v_add_co_u32_e32 v48, vcc, s0, v48
	v_addc_co_u32_e32 v49, vcc, v46, v49, vcc
	global_load_dword v44, v[48:49], off
	s_nop 0
	global_load_dword v24, v[24:25], off
	s_waitcnt vmcnt(0)
	v_mul_f32_e32 v24, v44, v24
	global_store_dword v[48:49], v24, off
	v_lshlrev_b64 v[24:25], 2, v[2:3]
	v_add_u32_e32 v2, s1, v2
	v_add_co_u32_e32 v24, vcc, s0, v24
	v_addc_co_u32_e32 v25, vcc, v46, v25, vcc
	global_load_dword v44, v[24:25], off
	s_waitcnt vmcnt(0)
	v_mul_f32_e32 v44, v44, v51
	global_store_dword v[24:25], v44, off
	v_lshlrev_b64 v[24:25], 2, v[2:3]
	v_add_u32_e32 v2, s1, v2
	v_add_co_u32_e32 v24, vcc, s0, v24
	v_addc_co_u32_e32 v25, vcc, v46, v25, vcc
	global_load_dword v44, v[24:25], off
	global_load_dword v49, v[22:23], off
	s_waitcnt vmcnt(0)
	v_mul_f32_e32 v44, v44, v49
	v_mul_f32_e32 v44, v44, v51
	global_store_dword v[24:25], v44, off
	v_lshlrev_b64 v[24:25], 2, v[2:3]
	v_add_u32_e32 v2, s1, v2
	v_add_co_u32_e32 v24, vcc, s0, v24
	v_addc_co_u32_e32 v25, vcc, v46, v25, vcc
	global_load_dword v44, v[24:25], off
	s_waitcnt vmcnt(0)
	v_mul_f32_e32 v44, v44, v45
	global_store_dword v[24:25], v44, off
	v_lshlrev_b64 v[24:25], 2, v[2:3]
	v_add_u32_e32 v2, s1, v2
	v_add_co_u32_e32 v24, vcc, s0, v24
	v_addc_co_u32_e32 v25, vcc, v46, v25, vcc
	global_load_dword v44, v[24:25], off
	s_waitcnt vmcnt(0)
	v_mul_f32_e32 v44, v44, v50
	v_mul_f32_e32 v44, v44, v45
	global_store_dword v[24:25], v44, off
	v_lshlrev_b64 v[24:25], 2, v[2:3]
	v_add_u32_e32 v2, s1, v2
	v_add_co_u32_e32 v24, vcc, s0, v24
	v_addc_co_u32_e32 v25, vcc, v46, v25, vcc
	global_load_dword v44, v[24:25], off
	global_load_dword v48, v[0:1], off
	;; [unrolled: 1-line block ×3, first 2 shown]
	s_waitcnt vmcnt(1)
	v_mul_f32_e32 v44, v44, v48
	v_mul_f32_e32 v44, v44, v45
	global_store_dword v[24:25], v44, off
	v_lshlrev_b64 v[24:25], 2, v[2:3]
	v_add_u32_e32 v2, s1, v2
	v_add_co_u32_e32 v24, vcc, s0, v24
	v_addc_co_u32_e32 v25, vcc, v46, v25, vcc
	global_load_dword v44, v[24:25], off
	s_waitcnt vmcnt(0)
	v_mul_f32_e32 v44, v44, v45
	global_load_dword v45, v[8:9], off
	s_waitcnt vmcnt(0)
	v_mul_f32_e32 v44, v44, v45
	v_mul_f32_e32 v44, v44, v49
	global_store_dword v[24:25], v44, off
	v_lshlrev_b64 v[24:25], 2, v[2:3]
	v_add_u32_e32 v2, s1, v2
	v_add_co_u32_e32 v24, vcc, s0, v24
	v_addc_co_u32_e32 v25, vcc, v46, v25, vcc
	global_load_dword v44, v[24:25], off
	s_waitcnt vmcnt(0)
	v_mul_f32_e32 v44, v44, v49
	v_mul_f32_e32 v44, v44, v52
	global_store_dword v[24:25], v44, off
	v_lshlrev_b64 v[24:25], 2, v[2:3]
	v_add_u32_e32 v2, s1, v2
	v_add_co_u32_e32 v24, vcc, s0, v24
	v_addc_co_u32_e32 v25, vcc, v46, v25, vcc
	global_load_dword v44, v[24:25], off
	s_waitcnt vmcnt(0)
	v_mul_f32_e32 v44, v44, v52
	global_store_dword v[24:25], v44, off
	v_lshlrev_b64 v[24:25], 2, v[2:3]
	v_add_u32_e32 v2, s1, v2
	v_add_co_u32_e32 v24, vcc, s0, v24
	v_addc_co_u32_e32 v25, vcc, v46, v25, vcc
	global_load_dword v44, v[24:25], off
	s_waitcnt vmcnt(0)
	v_mul_f32_e32 v44, v44, v49
	global_store_dword v[24:25], v44, off
	v_lshlrev_b64 v[24:25], 2, v[2:3]
	v_add_u32_e32 v2, s1, v2
	v_add_co_u32_e32 v24, vcc, s0, v24
	v_addc_co_u32_e32 v25, vcc, v46, v25, vcc
	global_load_dword v44, v[24:25], off
	global_load_dword v48, v[36:37], off
	s_waitcnt vmcnt(0)
	v_mul_f32_e32 v44, v44, v48
	global_store_dword v[24:25], v44, off
	v_lshlrev_b64 v[24:25], 2, v[2:3]
	v_add_u32_e32 v2, s4, v2
	v_add_co_u32_e32 v24, vcc, s0, v24
	v_addc_co_u32_e32 v25, vcc, v46, v25, vcc
	global_load_dword v44, v[24:25], off
	global_load_dword v48, v[6:7], off
	s_waitcnt vmcnt(0)
	v_mul_f32_e32 v44, v44, v48
	v_mul_f32_e32 v44, v44, v49
	global_store_dword v[24:25], v44, off
	v_lshlrev_b64 v[24:25], 2, v[2:3]
	v_add_u32_e32 v2, s1, v2
	v_add_co_u32_e32 v24, vcc, s0, v24
	v_addc_co_u32_e32 v25, vcc, v46, v25, vcc
	global_load_dword v44, v[24:25], off
	s_waitcnt vmcnt(0)
	v_mul_f32_e32 v44, v44, v51
	global_store_dword v[24:25], v44, off
	v_lshlrev_b64 v[24:25], 2, v[2:3]
	v_add_u32_e32 v2, s1, v2
	v_add_co_u32_e32 v24, vcc, s0, v24
	v_addc_co_u32_e32 v25, vcc, v46, v25, vcc
	global_load_dword v44, v[24:25], off
	s_waitcnt vmcnt(0)
	;; [unrolled: 8-line block ×3, first 2 shown]
	v_mul_f32_e32 v44, v44, v52
	global_store_dword v[24:25], v44, off
	v_lshlrev_b64 v[24:25], 2, v[2:3]
	v_add_u32_e32 v2, s1, v2
	v_add_co_u32_e32 v24, vcc, s0, v24
	v_addc_co_u32_e32 v25, vcc, v46, v25, vcc
	global_load_dword v44, v[24:25], off
	global_load_dword v50, v[4:5], off
	s_waitcnt vmcnt(0)
	v_mul_f32_e32 v44, v44, v50
	global_store_dword v[24:25], v44, off
	v_lshlrev_b64 v[24:25], 2, v[2:3]
	v_add_u32_e32 v2, s1, v2
	v_add_co_u32_e32 v24, vcc, s0, v24
	v_addc_co_u32_e32 v25, vcc, v46, v25, vcc
	global_load_dword v44, v[24:25], off
	global_load_dword v45, v[14:15], off
	s_waitcnt vmcnt(0)
	v_mul_f32_e32 v44, v44, v45
	global_store_dword v[24:25], v44, off
	v_lshlrev_b64 v[24:25], 2, v[2:3]
	v_add_u32_e32 v2, s1, v2
	v_add_co_u32_e32 v24, vcc, s0, v24
	v_addc_co_u32_e32 v25, vcc, v46, v25, vcc
	global_load_dword v44, v[24:25], off
	global_load_dword v45, v[20:21], off
	;; [unrolled: 1-line block ×3, first 2 shown]
	s_waitcnt vmcnt(1)
	v_mul_f32_e32 v44, v44, v45
	s_waitcnt vmcnt(0)
	v_mul_f32_e32 v44, v44, v51
	global_store_dword v[24:25], v44, off
	v_lshlrev_b64 v[24:25], 2, v[2:3]
	v_add_u32_e32 v2, s3, v2
	v_add_co_u32_e32 v44, vcc, s0, v24
	v_addc_co_u32_e32 v45, vcc, v46, v25, vcc
	v_lshlrev_b64 v[24:25], 2, v[2:3]
	global_load_dword v53, v[44:45], off
	v_add_co_u32_e32 v24, vcc, s2, v24
	v_addc_co_u32_e32 v25, vcc, v47, v25, vcc
	global_load_dword v49, v[24:25], off
	s_mul_i32 s3, s1, 0x45
	v_add_u32_e32 v2, s3, v2
	s_waitcnt vmcnt(0)
	v_mul_f32_e32 v53, v53, v49
	global_store_dword v[44:45], v53, off
	v_lshlrev_b64 v[44:45], 2, v[2:3]
	v_add_u32_e32 v2, s1, v2
	v_add_co_u32_e32 v44, vcc, s0, v44
	v_addc_co_u32_e32 v45, vcc, v46, v45, vcc
	global_load_dword v53, v[44:45], off
	s_waitcnt vmcnt(0)
	v_mul_f32_e32 v53, v53, v48
	v_mul_f32_e32 v53, v53, v51
	global_store_dword v[44:45], v53, off
	v_lshlrev_b64 v[44:45], 2, v[2:3]
	v_add_u32_e32 v2, s1, v2
	v_add_co_u32_e32 v44, vcc, s0, v44
	v_addc_co_u32_e32 v45, vcc, v46, v45, vcc
	global_load_dword v53, v[44:45], off
	s_waitcnt vmcnt(0)
	v_mul_f32_e32 v53, v53, v52
	global_store_dword v[44:45], v53, off
	v_lshlrev_b64 v[44:45], 2, v[2:3]
	v_add_u32_e32 v2, s1, v2
	v_add_co_u32_e32 v44, vcc, s0, v44
	v_addc_co_u32_e32 v45, vcc, v46, v45, vcc
	global_load_dword v53, v[44:45], off
	s_waitcnt vmcnt(0)
	v_mul_f32_e32 v52, v53, v52
	global_store_dword v[44:45], v52, off
	v_lshlrev_b64 v[44:45], 2, v[2:3]
	v_add_u32_e32 v2, s1, v2
	v_add_co_u32_e32 v44, vcc, s0, v44
	v_addc_co_u32_e32 v45, vcc, v46, v45, vcc
	global_load_dword v52, v[44:45], off
	global_load_dword v53, v[30:31], off
	s_waitcnt vmcnt(0)
	v_mul_f32_e32 v52, v52, v53
	global_store_dword v[44:45], v52, off
	v_lshlrev_b64 v[44:45], 2, v[2:3]
	v_add_u32_e32 v2, s1, v2
	v_add_co_u32_e32 v44, vcc, s0, v44
	v_addc_co_u32_e32 v45, vcc, v46, v45, vcc
	global_load_dword v52, v[44:45], off
	global_load_dword v53, v[8:9], off
	s_waitcnt vmcnt(0)
	v_mul_f32_e32 v52, v52, v53
	v_mul_f32_e32 v48, v52, v48
	global_store_dword v[44:45], v48, off
	v_lshlrev_b64 v[44:45], 2, v[2:3]
	global_load_dword v52, v[18:19], off
	v_add_co_u32_e32 v44, vcc, s0, v44
	v_addc_co_u32_e32 v45, vcc, v46, v45, vcc
	global_load_dword v48, v[44:45], off
	v_add_u32_e32 v2, s1, v2
	s_waitcnt vmcnt(0)
	v_mul_f32_e32 v48, v48, v49
	v_mul_f32_e32 v48, v48, v52
	global_store_dword v[44:45], v48, off
	v_lshlrev_b64 v[44:45], 2, v[2:3]
	v_add_u32_e32 v2, s1, v2
	v_add_co_u32_e32 v44, vcc, s0, v44
	v_addc_co_u32_e32 v45, vcc, v46, v45, vcc
	global_load_dword v48, v[44:45], off
	s_waitcnt vmcnt(0)
	v_mul_f32_e32 v48, v48, v53
	global_store_dword v[44:45], v48, off
	v_lshlrev_b64 v[44:45], 2, v[2:3]
	v_add_u32_e32 v2, s1, v2
	v_add_co_u32_e32 v44, vcc, s0, v44
	v_addc_co_u32_e32 v45, vcc, v46, v45, vcc
	global_load_dword v48, v[44:45], off
	s_waitcnt vmcnt(0)
	v_mul_f32_e32 v48, v48, v49
	v_mul_f32_e32 v48, v48, v50
	global_store_dword v[44:45], v48, off
	v_lshlrev_b64 v[44:45], 2, v[2:3]
	v_add_u32_e32 v2, s1, v2
	v_add_co_u32_e32 v44, vcc, s0, v44
	v_addc_co_u32_e32 v45, vcc, v46, v45, vcc
	global_load_dword v48, v[44:45], off
	global_load_dword v50, v[22:23], off
	s_waitcnt vmcnt(1)
	v_mul_f32_e32 v48, v48, v51
	global_store_dword v[44:45], v48, off
	v_lshlrev_b64 v[44:45], 2, v[2:3]
	v_add_u32_e32 v2, s1, v2
	v_add_co_u32_e32 v44, vcc, s0, v44
	v_addc_co_u32_e32 v45, vcc, v46, v45, vcc
	global_load_dword v48, v[44:45], off
	s_waitcnt vmcnt(0)
	v_mul_f32_e32 v48, v48, v49
	v_mul_f32_e32 v48, v48, v50
	global_store_dword v[44:45], v48, off
	v_lshlrev_b64 v[44:45], 2, v[2:3]
	v_add_u32_e32 v2, s1, v2
	v_add_co_u32_e32 v44, vcc, s0, v44
	v_addc_co_u32_e32 v45, vcc, v46, v45, vcc
	v_add_co_u32_e32 v38, vcc, s2, v38
	v_addc_co_u32_e32 v39, vcc, v47, v39, vcc
	global_load_dword v48, v[44:45], off
	global_load_dword v51, v[38:39], off
	s_waitcnt vmcnt(0)
	v_mul_f32_e32 v48, v48, v51
	global_store_dword v[44:45], v48, off
	v_lshlrev_b64 v[44:45], 2, v[2:3]
	v_add_u32_e32 v2, s1, v2
	v_add_co_u32_e32 v44, vcc, s0, v44
	v_addc_co_u32_e32 v45, vcc, v46, v45, vcc
	global_load_dword v48, v[44:45], off
	global_load_dword v51, v[10:11], off
	s_waitcnt vmcnt(1)
	v_mul_f32_e32 v48, v48, v49
	global_store_dword v[44:45], v48, off
	v_lshlrev_b64 v[44:45], 2, v[2:3]
	v_add_u32_e32 v2, s1, v2
	v_add_co_u32_e32 v44, vcc, s0, v44
	v_addc_co_u32_e32 v45, vcc, v46, v45, vcc
	v_add_co_u32_e32 v26, vcc, s2, v26
	v_addc_co_u32_e32 v27, vcc, v47, v27, vcc
	global_load_dword v48, v[44:45], off
	global_load_dword v49, v[26:27], off
	s_waitcnt vmcnt(0)
	v_mul_f32_e32 v48, v48, v49
	v_mul_f32_e32 v48, v48, v51
	global_store_dword v[44:45], v48, off
	v_lshlrev_b64 v[44:45], 2, v[2:3]
	v_add_u32_e32 v2, s1, v2
	v_add_co_u32_e32 v44, vcc, s0, v44
	v_addc_co_u32_e32 v45, vcc, v46, v45, vcc
	global_load_dword v48, v[44:45], off
	s_waitcnt vmcnt(0)
	v_mul_f32_e32 v48, v48, v49
	v_mul_f32_e32 v48, v48, v51
	global_store_dword v[44:45], v48, off
	v_lshlrev_b64 v[44:45], 2, v[2:3]
	v_add_u32_e32 v2, s1, v2
	v_add_co_u32_e32 v44, vcc, s0, v44
	v_addc_co_u32_e32 v45, vcc, v46, v45, vcc
	v_add_co_u32_e32 v28, vcc, s2, v28
	v_addc_co_u32_e32 v29, vcc, v47, v29, vcc
	global_load_dword v48, v[44:45], off
	global_load_dword v52, v[28:29], off
	s_waitcnt vmcnt(0)
	v_mul_f32_e32 v48, v48, v52
	global_store_dword v[44:45], v48, off
	v_lshlrev_b64 v[44:45], 2, v[2:3]
	v_add_u32_e32 v2, s1, v2
	v_add_co_u32_e32 v44, vcc, s0, v44
	v_addc_co_u32_e32 v45, vcc, v46, v45, vcc
	global_load_dword v48, v[44:45], off
	s_waitcnt vmcnt(0)
	v_mul_f32_e32 v48, v48, v51
	global_store_dword v[44:45], v48, off
	v_lshlrev_b64 v[44:45], 2, v[2:3]
	v_add_u32_e32 v2, s1, v2
	v_add_co_u32_e32 v44, vcc, s0, v44
	v_addc_co_u32_e32 v45, vcc, v46, v45, vcc
	global_load_dword v48, v[44:45], off
	s_waitcnt vmcnt(0)
	v_mul_f32_e32 v48, v48, v49
	v_mul_f32_e32 v48, v48, v50
	global_store_dword v[44:45], v48, off
	v_lshlrev_b64 v[44:45], 2, v[2:3]
	v_add_u32_e32 v2, s1, v2
	v_add_co_u32_e32 v44, vcc, s0, v44
	v_addc_co_u32_e32 v45, vcc, v46, v45, vcc
	global_load_dword v48, v[44:45], off
	global_load_dword v49, v[6:7], off
	;; [unrolled: 1-line block ×3, first 2 shown]
	s_waitcnt vmcnt(1)
	v_mul_f32_e32 v48, v48, v49
	s_waitcnt vmcnt(0)
	v_mul_f32_e32 v48, v48, v50
	global_store_dword v[44:45], v48, off
	v_lshlrev_b64 v[44:45], 2, v[2:3]
	v_add_u32_e32 v2, s1, v2
	v_add_co_u32_e32 v44, vcc, s0, v44
	v_addc_co_u32_e32 v45, vcc, v46, v45, vcc
	global_load_dword v48, v[44:45], off
	global_load_dword v51, v[0:1], off
	;; [unrolled: 1-line block ×3, first 2 shown]
	s_waitcnt vmcnt(1)
	v_mul_f32_e32 v48, v48, v51
	s_waitcnt vmcnt(0)
	v_mul_f32_e32 v48, v48, v52
	global_store_dword v[44:45], v48, off
	v_lshlrev_b64 v[44:45], 2, v[2:3]
	v_add_u32_e32 v2, s1, v2
	v_add_co_u32_e32 v44, vcc, s0, v44
	v_addc_co_u32_e32 v45, vcc, v46, v45, vcc
	global_load_dword v48, v[44:45], off
	global_load_dword v53, v[16:17], off
	s_waitcnt vmcnt(0)
	v_mul_f32_e32 v48, v48, v53
	global_store_dword v[44:45], v48, off
	v_lshlrev_b64 v[44:45], 2, v[2:3]
	v_add_u32_e32 v2, s1, v2
	v_add_co_u32_e32 v44, vcc, s0, v44
	v_addc_co_u32_e32 v45, vcc, v46, v45, vcc
	global_load_dword v48, v[44:45], off
	s_waitcnt vmcnt(0)
	v_mul_f32_e32 v48, v48, v49
	v_mul_f32_e32 v48, v48, v52
	global_store_dword v[44:45], v48, off
	v_lshlrev_b64 v[44:45], 2, v[2:3]
	v_add_u32_e32 v2, s1, v2
	v_add_co_u32_e32 v44, vcc, s0, v44
	v_addc_co_u32_e32 v45, vcc, v46, v45, vcc
	global_load_dword v48, v[44:45], off
	s_waitcnt vmcnt(0)
	v_mul_f32_e32 v48, v48, v49
	;; [unrolled: 9-line block ×3, first 2 shown]
	global_load_dword v49, v[4:5], off
	s_waitcnt vmcnt(0)
	v_mul_f32_e32 v48, v48, v49
	global_store_dword v[44:45], v48, off
	v_lshlrev_b64 v[44:45], 2, v[2:3]
	v_add_u32_e32 v2, s1, v2
	v_add_co_u32_e32 v44, vcc, s0, v44
	v_addc_co_u32_e32 v45, vcc, v46, v45, vcc
	global_load_dword v48, v[44:45], off
	s_waitcnt vmcnt(0)
	v_mul_f32_e32 v48, v48, v51
	v_mul_f32_e32 v48, v48, v50
	global_store_dword v[44:45], v48, off
	v_lshlrev_b64 v[44:45], 2, v[2:3]
	v_add_u32_e32 v2, s1, v2
	v_add_co_u32_e32 v44, vcc, s0, v44
	v_addc_co_u32_e32 v45, vcc, v46, v45, vcc
	global_load_dword v48, v[44:45], off
	s_waitcnt vmcnt(0)
	v_mul_f32_e32 v48, v48, v51
	;; [unrolled: 9-line block ×3, first 2 shown]
	v_mul_f32_e32 v48, v48, v53
	global_store_dword v[44:45], v48, off
	v_lshlrev_b64 v[44:45], 2, v[2:3]
	v_add_u32_e32 v2, s1, v2
	v_add_co_u32_e32 v48, vcc, s0, v44
	v_addc_co_u32_e32 v49, vcc, v46, v45, vcc
	global_load_dword v44, v[48:49], off
	global_load_dword v45, v[26:27], off
	s_waitcnt vmcnt(0)
	v_mul_f32_e32 v44, v44, v45
	global_load_dword v45, v[10:11], off
	s_waitcnt vmcnt(0)
	v_mul_f32_e32 v44, v44, v45
	global_store_dword v[48:49], v44, off
	v_lshlrev_b64 v[48:49], 2, v[2:3]
	v_add_u32_e32 v2, s1, v2
	v_add_co_u32_e32 v48, vcc, s0, v48
	v_addc_co_u32_e32 v49, vcc, v46, v49, vcc
	global_load_dword v44, v[48:49], off
	s_waitcnt vmcnt(0)
	v_mul_f32_e32 v44, v44, v51
	v_mul_f32_e32 v44, v51, v44
	global_store_dword v[48:49], v44, off
	v_lshlrev_b64 v[48:49], 2, v[2:3]
	v_add_u32_e32 v2, s1, v2
	v_add_co_u32_e32 v48, vcc, s0, v48
	v_addc_co_u32_e32 v49, vcc, v46, v49, vcc
	global_load_dword v44, v[48:49], off
	s_waitcnt vmcnt(0)
	v_mul_f32_e32 v44, v44, v51
	v_mul_f32_e32 v44, v51, v44
	global_store_dword v[48:49], v44, off
	v_lshlrev_b64 v[48:49], 2, v[2:3]
	v_add_u32_e32 v2, s1, v2
	v_add_co_u32_e32 v48, vcc, s0, v48
	v_addc_co_u32_e32 v49, vcc, v46, v49, vcc
	global_load_dword v50, v[48:49], off
	global_load_dword v44, v[22:23], off
	s_waitcnt vmcnt(0)
	v_mul_f32_e32 v50, v50, v44
	global_store_dword v[48:49], v50, off
	v_lshlrev_b64 v[48:49], 2, v[2:3]
	v_add_u32_e32 v2, s1, v2
	v_add_co_u32_e32 v48, vcc, s0, v48
	v_addc_co_u32_e32 v49, vcc, v46, v49, vcc
	global_load_dword v50, v[48:49], off
	s_waitcnt vmcnt(0)
	v_mul_f32_e32 v50, v50, v45
	v_mul_f32_e32 v50, v50, v44
	;; [unrolled: 1-line block ×3, first 2 shown]
	global_store_dword v[48:49], v50, off
	v_lshlrev_b64 v[48:49], 2, v[2:3]
	v_add_u32_e32 v2, s1, v2
	v_add_co_u32_e32 v48, vcc, s0, v48
	v_addc_co_u32_e32 v49, vcc, v46, v49, vcc
	global_load_dword v50, v[48:49], off
	s_waitcnt vmcnt(0)
	v_mul_f32_e32 v50, v50, v52
	v_mul_f32_e32 v50, v50, v44
	;; [unrolled: 1-line block ×3, first 2 shown]
	global_store_dword v[48:49], v50, off
	v_lshlrev_b64 v[48:49], 2, v[2:3]
	v_add_u32_e32 v2, s1, v2
	v_add_co_u32_e32 v48, vcc, s0, v48
	v_addc_co_u32_e32 v49, vcc, v46, v49, vcc
	global_load_dword v50, v[48:49], off
	global_load_dword v51, v[42:43], off
	s_waitcnt vmcnt(0)
	v_mul_f32_e32 v50, v50, v51
	v_mul_f32_e32 v50, v50, v44
	global_store_dword v[48:49], v50, off
	v_lshlrev_b64 v[48:49], 2, v[2:3]
	v_add_u32_e32 v2, s1, v2
	v_add_co_u32_e32 v48, vcc, s0, v48
	v_addc_co_u32_e32 v49, vcc, v46, v49, vcc
	global_load_dword v50, v[48:49], off
	s_waitcnt vmcnt(0)
	v_mul_f32_e32 v50, v50, v44
	global_store_dword v[48:49], v50, off
	v_lshlrev_b64 v[48:49], 2, v[2:3]
	v_add_u32_e32 v2, s4, v2
	v_add_co_u32_e32 v48, vcc, s0, v48
	v_addc_co_u32_e32 v49, vcc, v46, v49, vcc
	global_load_dword v50, v[48:49], off
	s_waitcnt vmcnt(0)
	v_mul_f32_e32 v50, v50, v51
	v_mul_f32_e32 v50, v50, v44
	v_mul_f32_e32 v50, v44, v50
	global_store_dword v[48:49], v50, off
	v_lshlrev_b64 v[48:49], 2, v[2:3]
	v_add_u32_e32 v2, s1, v2
	v_add_co_u32_e32 v48, vcc, s0, v48
	v_addc_co_u32_e32 v49, vcc, v46, v49, vcc
	global_load_dword v50, v[48:49], off
	s_waitcnt vmcnt(0)
	v_mul_f32_e32 v50, v50, v51
	v_mul_f32_e32 v50, v50, v45
	global_store_dword v[48:49], v50, off
	v_lshlrev_b64 v[48:49], 2, v[2:3]
	v_add_u32_e32 v2, s1, v2
	v_add_co_u32_e32 v48, vcc, s0, v48
	v_addc_co_u32_e32 v49, vcc, v46, v49, vcc
	global_load_dword v50, v[48:49], off
	global_load_dword v52, v[40:41], off
	s_waitcnt vmcnt(0)
	v_mul_f32_e32 v40, v50, v52
	v_mul_f32_e32 v40, v40, v45
	global_store_dword v[48:49], v40, off
	v_lshlrev_b64 v[40:41], 2, v[2:3]
	v_add_u32_e32 v2, s1, v2
	v_add_co_u32_e32 v40, vcc, s0, v40
	v_addc_co_u32_e32 v41, vcc, v46, v41, vcc
	global_load_dword v48, v[40:41], off
	s_waitcnt vmcnt(0)
	v_mul_f32_e32 v48, v48, v44
	global_store_dword v[40:41], v48, off
	v_lshlrev_b64 v[40:41], 2, v[2:3]
	v_add_u32_e32 v2, s1, v2
	v_add_co_u32_e32 v40, vcc, s0, v40
	v_addc_co_u32_e32 v41, vcc, v46, v41, vcc
	global_load_dword v48, v[40:41], off
	global_load_dword v49, v[20:21], off
	s_waitcnt vmcnt(0)
	v_mul_f32_e32 v48, v48, v49
	v_mul_f32_e32 v48, v48, v45
	global_store_dword v[40:41], v48, off
	v_lshlrev_b64 v[40:41], 2, v[2:3]
	v_add_u32_e32 v2, s1, v2
	v_add_co_u32_e32 v40, vcc, s0, v40
	v_addc_co_u32_e32 v41, vcc, v46, v41, vcc
	global_load_dword v48, v[40:41], off
	global_load_dword v50, v[0:1], off
	s_waitcnt vmcnt(0)
	v_mul_f32_e32 v48, v48, v50
	v_mul_f32_e32 v48, v48, v44
	global_store_dword v[40:41], v48, off
	v_lshlrev_b64 v[40:41], 2, v[2:3]
	v_add_u32_e32 v2, s4, v2
	v_add_co_u32_e32 v40, vcc, s0, v40
	v_addc_co_u32_e32 v41, vcc, v46, v41, vcc
	global_load_dword v48, v[40:41], off
	s_waitcnt vmcnt(0)
	v_mul_f32_e32 v48, v48, v44
	global_store_dword v[40:41], v48, off
	v_lshlrev_b64 v[40:41], 2, v[2:3]
	v_add_u32_e32 v2, s1, v2
	v_add_co_u32_e32 v40, vcc, s0, v40
	v_addc_co_u32_e32 v41, vcc, v46, v41, vcc
	global_load_dword v48, v[40:41], off
	s_waitcnt vmcnt(0)
	v_mul_f32_e32 v48, v48, v51
	v_mul_f32_e32 v48, v48, v45
	global_store_dword v[40:41], v48, off
	v_lshlrev_b64 v[40:41], 2, v[2:3]
	v_add_u32_e32 v2, s1, v2
	v_add_co_u32_e32 v40, vcc, s0, v40
	v_addc_co_u32_e32 v41, vcc, v46, v41, vcc
	global_load_dword v48, v[40:41], off
	s_waitcnt vmcnt(0)
	v_mul_f32_e32 v48, v48, v44
	global_store_dword v[40:41], v48, off
	v_lshlrev_b64 v[40:41], 2, v[2:3]
	v_add_u32_e32 v2, s1, v2
	v_add_co_u32_e32 v40, vcc, s0, v40
	v_addc_co_u32_e32 v41, vcc, v46, v41, vcc
	global_load_dword v48, v[40:41], off
	s_waitcnt vmcnt(0)
	v_mul_f32_e32 v48, v48, v49
	v_mul_f32_e32 v45, v48, v45
	global_store_dword v[40:41], v45, off
	v_lshlrev_b64 v[40:41], 2, v[2:3]
	v_add_u32_e32 v2, s4, v2
	v_add_co_u32_e32 v40, vcc, s0, v40
	v_addc_co_u32_e32 v41, vcc, v46, v41, vcc
	global_load_dword v45, v[40:41], off
	global_load_dword v48, v[36:37], off
	s_waitcnt vmcnt(0)
	v_mul_f32_e32 v36, v45, v48
	global_store_dword v[40:41], v36, off
	v_lshlrev_b64 v[36:37], 2, v[2:3]
	global_load_dword v41, v[12:13], off
	v_add_co_u32_e32 v36, vcc, s0, v36
	v_addc_co_u32_e32 v37, vcc, v46, v37, vcc
	global_load_dword v40, v[36:37], off
	v_add_u32_e32 v2, s1, v2
	s_waitcnt vmcnt(0)
	v_mul_f32_e32 v40, v40, v52
	v_mul_f32_e32 v40, v40, v41
	global_store_dword v[36:37], v40, off
	v_lshlrev_b64 v[36:37], 2, v[2:3]
	v_add_u32_e32 v2, s1, v2
	v_add_co_u32_e32 v36, vcc, s0, v36
	v_addc_co_u32_e32 v37, vcc, v46, v37, vcc
	global_load_dword v40, v[36:37], off
	s_waitcnt vmcnt(0)
	v_mul_f32_e32 v40, v40, v50
	v_mul_f32_e32 v40, v40, v44
	global_store_dword v[36:37], v40, off
	v_lshlrev_b64 v[36:37], 2, v[2:3]
	v_add_u32_e32 v2, s1, v2
	v_add_co_u32_e32 v36, vcc, s0, v36
	v_addc_co_u32_e32 v37, vcc, v46, v37, vcc
	global_load_dword v40, v[36:37], off
	s_waitcnt vmcnt(0)
	v_mul_f32_e32 v44, v40, v52
	global_load_dword v40, v[8:9], off
	s_waitcnt vmcnt(0)
	v_mul_f32_e32 v44, v44, v40
	global_store_dword v[36:37], v44, off
	v_lshlrev_b64 v[36:37], 2, v[2:3]
	v_add_u32_e32 v2, s1, v2
	v_add_co_u32_e32 v36, vcc, s0, v36
	v_addc_co_u32_e32 v37, vcc, v46, v37, vcc
	global_load_dword v44, v[36:37], off
	s_waitcnt vmcnt(0)
	v_mul_f32_e32 v44, v44, v48
	global_store_dword v[36:37], v44, off
	v_lshlrev_b64 v[36:37], 2, v[2:3]
	global_load_dword v48, v[16:17], off
	v_add_co_u32_e32 v36, vcc, s0, v36
	v_addc_co_u32_e32 v37, vcc, v46, v37, vcc
	global_load_dword v44, v[36:37], off
	v_add_u32_e32 v2, s1, v2
	s_waitcnt vmcnt(0)
	v_mul_f32_e32 v44, v44, v52
	v_mul_f32_e32 v44, v44, v48
	global_store_dword v[36:37], v44, off
	v_lshlrev_b64 v[36:37], 2, v[2:3]
	v_add_u32_e32 v2, s1, v2
	v_add_co_u32_e32 v36, vcc, s0, v36
	v_addc_co_u32_e32 v37, vcc, v46, v37, vcc
	global_load_dword v45, v[36:37], off
	global_load_dword v44, v[26:27], off
	s_waitcnt vmcnt(0)
	v_mul_f32_e32 v45, v45, v44
	global_store_dword v[36:37], v45, off
	v_lshlrev_b64 v[36:37], 2, v[2:3]
	v_add_u32_e32 v2, s1, v2
	v_add_co_u32_e32 v36, vcc, s0, v36
	v_addc_co_u32_e32 v37, vcc, v46, v37, vcc
	global_load_dword v49, v[36:37], off
	global_load_dword v45, v[42:43], off
	s_waitcnt vmcnt(0)
	v_mul_f32_e32 v42, v49, v45
	v_mul_f32_e32 v42, v42, v41
	global_store_dword v[36:37], v42, off
	v_lshlrev_b64 v[36:37], 2, v[2:3]
	v_add_u32_e32 v2, s1, v2
	v_add_co_u32_e32 v36, vcc, s0, v36
	v_addc_co_u32_e32 v37, vcc, v46, v37, vcc
	global_load_dword v42, v[36:37], off
	s_waitcnt vmcnt(0)
	v_mul_f32_e32 v41, v42, v41
	global_store_dword v[36:37], v41, off
	v_lshlrev_b64 v[36:37], 2, v[2:3]
	v_add_u32_e32 v2, s1, v2
	v_add_co_u32_e32 v36, vcc, s0, v36
	v_addc_co_u32_e32 v37, vcc, v46, v37, vcc
	global_load_dword v41, v[36:37], off
	global_load_dword v42, v[20:21], off
	s_waitcnt vmcnt(0)
	v_mul_f32_e32 v41, v41, v42
	global_load_dword v42, v[10:11], off
	s_waitcnt vmcnt(0)
	v_mul_f32_e32 v41, v41, v42
	global_store_dword v[36:37], v41, off
	v_lshlrev_b64 v[36:37], 2, v[2:3]
	v_add_u32_e32 v2, s1, v2
	v_add_co_u32_e32 v36, vcc, s0, v36
	v_addc_co_u32_e32 v37, vcc, v46, v37, vcc
	global_load_dword v43, v[36:37], off
	global_load_dword v41, v[0:1], off
	s_waitcnt vmcnt(0)
	v_mul_f32_e32 v49, v43, v41
	global_load_dword v43, v[22:23], off
	s_waitcnt vmcnt(0)
	v_mul_f32_e32 v49, v49, v43
	global_store_dword v[36:37], v49, off
	v_lshlrev_b64 v[36:37], 2, v[2:3]
	v_add_u32_e32 v2, s1, v2
	v_add_co_u32_e32 v36, vcc, s0, v36
	v_addc_co_u32_e32 v37, vcc, v46, v37, vcc
	global_load_dword v49, v[36:37], off
	s_waitcnt vmcnt(0)
	v_mul_f32_e32 v49, v49, v45
	v_mul_f32_e32 v48, v49, v48
	global_store_dword v[36:37], v48, off
	v_lshlrev_b64 v[36:37], 2, v[2:3]
	v_add_u32_e32 v2, s1, v2
	v_add_co_u32_e32 v36, vcc, s0, v36
	v_addc_co_u32_e32 v37, vcc, v46, v37, vcc
	global_load_dword v48, v[36:37], off
	s_waitcnt vmcnt(0)
	v_mul_f32_e32 v49, v48, v45
	global_load_dword v48, v[4:5], off
	s_waitcnt vmcnt(0)
	v_mul_f32_e32 v49, v49, v48
	global_store_dword v[36:37], v49, off
	v_lshlrev_b64 v[36:37], 2, v[2:3]
	v_add_u32_e32 v2, s1, v2
	v_add_co_u32_e32 v36, vcc, s0, v36
	v_addc_co_u32_e32 v37, vcc, v46, v37, vcc
	global_load_dword v49, v[36:37], off
	s_nop 0
	global_load_dword v30, v[30:31], off
	s_waitcnt vmcnt(0)
	v_mul_f32_e32 v30, v49, v30
	global_store_dword v[36:37], v30, off
	v_lshlrev_b64 v[30:31], 2, v[2:3]
	v_add_u32_e32 v2, s1, v2
	v_add_co_u32_e32 v30, vcc, s0, v30
	v_addc_co_u32_e32 v31, vcc, v46, v31, vcc
	global_load_dword v36, v[30:31], off
	global_load_dword v37, v[6:7], off
	s_waitcnt vmcnt(0)
	v_mul_f32_e32 v36, v36, v37
	global_store_dword v[30:31], v36, off
	v_lshlrev_b64 v[30:31], 2, v[2:3]
	v_add_u32_e32 v2, s1, v2
	v_add_co_u32_e32 v30, vcc, s0, v30
	v_addc_co_u32_e32 v31, vcc, v46, v31, vcc
	global_load_dword v36, v[30:31], off
	;; [unrolled: 9-line block ×3, first 2 shown]
	s_waitcnt vmcnt(0)
	v_mul_f32_e32 v36, v36, v44
	v_mul_f32_e32 v36, v36, v48
	global_store_dword v[30:31], v36, off
	v_lshlrev_b64 v[30:31], 2, v[2:3]
	v_add_u32_e32 v2, s1, v2
	v_add_co_u32_e32 v30, vcc, s0, v30
	v_addc_co_u32_e32 v31, vcc, v46, v31, vcc
	global_load_dword v36, v[30:31], off
	s_waitcnt vmcnt(0)
	v_mul_f32_e32 v36, v36, v44
	v_mul_f32_e32 v36, v36, v43
	global_store_dword v[30:31], v36, off
	v_lshlrev_b64 v[30:31], 2, v[2:3]
	v_add_u32_e32 v2, s1, v2
	v_add_co_u32_e32 v30, vcc, s0, v30
	v_addc_co_u32_e32 v31, vcc, v46, v31, vcc
	global_load_dword v36, v[30:31], off
	s_waitcnt vmcnt(0)
	v_mul_f32_e32 v36, v36, v45
	v_mul_f32_e32 v36, v36, v37
	global_store_dword v[30:31], v36, off
	v_lshlrev_b64 v[30:31], 2, v[2:3]
	v_add_u32_e32 v2, s1, v2
	v_add_co_u32_e32 v30, vcc, s0, v30
	v_addc_co_u32_e32 v31, vcc, v46, v31, vcc
	v_add_co_u32_e32 v34, vcc, s2, v34
	v_addc_co_u32_e32 v35, vcc, v47, v35, vcc
	global_load_dword v36, v[30:31], off
	global_load_dword v37, v[34:35], off
	s_waitcnt vmcnt(0)
	v_mul_f32_e32 v36, v36, v37
	global_store_dword v[30:31], v36, off
	v_lshlrev_b64 v[30:31], 2, v[2:3]
	v_add_u32_e32 v2, s1, v2
	v_add_co_u32_e32 v36, vcc, s0, v30
	v_addc_co_u32_e32 v37, vcc, v46, v31, vcc
	v_add_co_u32_e32 v30, vcc, s2, v32
	v_addc_co_u32_e32 v31, vcc, v47, v33, vcc
	global_load_dword v44, v[36:37], off
	global_load_dword v32, v[30:31], off
	s_waitcnt vmcnt(0)
	v_mul_f32_e32 v32, v44, v32
	v_mul_f32_e32 v32, v32, v42
	global_store_dword v[36:37], v32, off
	v_lshlrev_b64 v[32:33], 2, v[2:3]
	v_add_u32_e32 v2, s1, v2
	v_add_co_u32_e32 v32, vcc, s0, v32
	v_addc_co_u32_e32 v33, vcc, v46, v33, vcc
	global_load_dword v36, v[32:33], off
	s_waitcnt vmcnt(0)
	v_mul_f32_e32 v36, v36, v41
	v_mul_f32_e32 v36, v36, v43
	global_store_dword v[32:33], v36, off
	v_lshlrev_b64 v[32:33], 2, v[2:3]
	v_add_u32_e32 v2, s1, v2
	v_add_co_u32_e32 v32, vcc, s0, v32
	v_addc_co_u32_e32 v33, vcc, v46, v33, vcc
	global_load_dword v37, v[32:33], off
	global_load_dword v36, v[38:39], off
	s_waitcnt vmcnt(0)
	v_mul_f32_e32 v37, v37, v36
	global_store_dword v[32:33], v37, off
	v_lshlrev_b64 v[32:33], 2, v[2:3]
	v_add_u32_e32 v2, s1, v2
	v_add_co_u32_e32 v32, vcc, s0, v32
	v_addc_co_u32_e32 v33, vcc, v46, v33, vcc
	global_load_dword v37, v[32:33], off
	s_waitcnt vmcnt(0)
	v_mul_f32_e32 v37, v37, v41
	global_store_dword v[32:33], v37, off
	v_lshlrev_b64 v[32:33], 2, v[2:3]
	v_add_u32_e32 v2, s1, v2
	v_add_co_u32_e32 v32, vcc, s0, v32
	v_addc_co_u32_e32 v33, vcc, v46, v33, vcc
	global_load_dword v37, v[32:33], off
	global_load_dword v38, v[20:21], off
	;; [unrolled: 1-line block ×3, first 2 shown]
	s_waitcnt vmcnt(1)
	v_mul_f32_e32 v37, v37, v38
	s_waitcnt vmcnt(0)
	v_mul_f32_e32 v37, v37, v39
	global_store_dword v[32:33], v37, off
	v_lshlrev_b64 v[32:33], 2, v[2:3]
	v_add_u32_e32 v2, s1, v2
	v_add_co_u32_e32 v32, vcc, s0, v32
	v_addc_co_u32_e32 v33, vcc, v46, v33, vcc
	global_load_dword v37, v[32:33], off
	s_waitcnt vmcnt(0)
	v_mul_f32_e32 v37, v37, v38
	v_mul_f32_e32 v37, v37, v40
	global_store_dword v[32:33], v37, off
	v_lshlrev_b64 v[32:33], 2, v[2:3]
	global_load_dword v40, v[16:17], off
	v_add_co_u32_e32 v32, vcc, s0, v32
	v_addc_co_u32_e32 v33, vcc, v46, v33, vcc
	global_load_dword v37, v[32:33], off
	v_add_u32_e32 v2, s1, v2
	s_waitcnt vmcnt(0)
	v_mul_f32_e32 v37, v37, v38
	v_mul_f32_e32 v37, v37, v40
	global_store_dword v[32:33], v37, off
	v_lshlrev_b64 v[32:33], 2, v[2:3]
	v_add_u32_e32 v2, s1, v2
	v_add_co_u32_e32 v32, vcc, s0, v32
	v_addc_co_u32_e32 v33, vcc, v46, v33, vcc
	global_load_dword v37, v[32:33], off
	s_waitcnt vmcnt(0)
	v_mul_f32_e32 v37, v37, v38
	global_load_dword v38, v[4:5], off
	s_waitcnt vmcnt(0)
	v_mul_f32_e32 v37, v37, v38
	global_store_dword v[32:33], v37, off
	v_lshlrev_b64 v[32:33], 2, v[2:3]
	v_add_u32_e32 v2, s1, v2
	v_add_co_u32_e32 v32, vcc, s0, v32
	v_addc_co_u32_e32 v33, vcc, v46, v33, vcc
	global_load_dword v37, v[32:33], off
	global_load_dword v42, v[6:7], off
	;; [unrolled: 1-line block ×4, first 2 shown]
	s_waitcnt vmcnt(2)
	v_mul_f32_e32 v37, v37, v42
	s_waitcnt vmcnt(1)
	v_mul_f32_e32 v37, v37, v43
	;; [unrolled: 2-line block ×3, first 2 shown]
	global_store_dword v[32:33], v37, off
	v_lshlrev_b64 v[32:33], 2, v[2:3]
	v_add_u32_e32 v2, s4, v2
	v_add_co_u32_e32 v32, vcc, s0, v32
	v_addc_co_u32_e32 v33, vcc, v46, v33, vcc
	global_load_dword v37, v[32:33], off
	s_waitcnt vmcnt(0)
	v_mul_f32_e32 v37, v37, v39
	global_store_dword v[32:33], v37, off
	v_lshlrev_b64 v[32:33], 2, v[2:3]
	v_add_u32_e32 v2, s1, v2
	v_add_co_u32_e32 v32, vcc, s0, v32
	v_addc_co_u32_e32 v33, vcc, v46, v33, vcc
	global_load_dword v37, v[32:33], off
	s_waitcnt vmcnt(0)
	v_mul_f32_e32 v37, v37, v39
	;; [unrolled: 8-line block ×8, first 2 shown]
	v_mul_f32_e32 v37, v37, v44
	global_store_dword v[32:33], v37, off
	v_lshlrev_b64 v[32:33], 2, v[2:3]
	v_add_u32_e32 v2, s1, v2
	v_add_co_u32_e32 v32, vcc, s0, v32
	v_addc_co_u32_e32 v33, vcc, v46, v33, vcc
	global_load_dword v37, v[32:33], off
	s_waitcnt vmcnt(0)
	v_mul_f32_e32 v37, v37, v43
	global_store_dword v[32:33], v37, off
	v_lshlrev_b64 v[32:33], 2, v[2:3]
	v_add_u32_e32 v2, s1, v2
	v_add_co_u32_e32 v32, vcc, s0, v32
	v_addc_co_u32_e32 v33, vcc, v46, v33, vcc
	global_load_dword v38, v[32:33], off
	global_load_dword v37, v[30:31], off
	;; [unrolled: 1-line block ×3, first 2 shown]
	s_waitcnt vmcnt(1)
	v_mul_f32_e32 v38, v38, v37
	s_waitcnt vmcnt(0)
	v_mul_f32_e32 v38, v38, v39
	global_store_dword v[32:33], v38, off
	v_lshlrev_b64 v[32:33], 2, v[2:3]
	v_add_u32_e32 v2, s1, v2
	v_add_co_u32_e32 v32, vcc, s0, v32
	v_addc_co_u32_e32 v33, vcc, v46, v33, vcc
	global_load_dword v38, v[32:33], off
	global_load_dword v40, v[24:25], off
	s_waitcnt vmcnt(0)
	v_mul_f32_e32 v38, v38, v40
	global_store_dword v[32:33], v38, off
	v_lshlrev_b64 v[32:33], 2, v[2:3]
	v_add_u32_e32 v2, s1, v2
	v_add_co_u32_e32 v32, vcc, s0, v32
	v_addc_co_u32_e32 v33, vcc, v46, v33, vcc
	global_load_dword v38, v[32:33], off
	s_waitcnt vmcnt(0)
	v_mul_f32_e32 v37, v38, v37
	v_mul_f32_e32 v37, v37, v39
	global_store_dword v[32:33], v37, off
	v_lshlrev_b64 v[32:33], 2, v[2:3]
	v_add_u32_e32 v2, s4, v2
	v_add_co_u32_e32 v32, vcc, s0, v32
	v_addc_co_u32_e32 v33, vcc, v46, v33, vcc
	global_load_dword v37, v[32:33], off
	s_waitcnt vmcnt(0)
	v_mul_f32_e32 v37, v37, v40
	global_store_dword v[32:33], v37, off
	v_lshlrev_b64 v[32:33], 2, v[2:3]
	v_add_u32_e32 v2, s1, v2
	v_add_co_u32_e32 v32, vcc, s0, v32
	v_addc_co_u32_e32 v33, vcc, v46, v33, vcc
	global_load_dword v37, v[32:33], off
	global_load_dword v38, v[28:29], off
	s_waitcnt vmcnt(0)
	v_mul_f32_e32 v28, v37, v38
	global_store_dword v[32:33], v28, off
	v_lshlrev_b64 v[28:29], 2, v[2:3]
	v_add_u32_e32 v2, s1, v2
	v_add_co_u32_e32 v28, vcc, s0, v28
	v_addc_co_u32_e32 v29, vcc, v46, v29, vcc
	global_load_dword v32, v[28:29], off
	global_load_dword v37, v[26:27], off
	;; [unrolled: 1-line block ×3, first 2 shown]
	s_waitcnt vmcnt(1)
	v_mul_f32_e32 v32, v32, v37
	s_waitcnt vmcnt(0)
	v_mul_f32_e32 v32, v32, v40
	global_store_dword v[28:29], v32, off
	v_lshlrev_b64 v[28:29], 2, v[2:3]
	v_add_u32_e32 v2, s1, v2
	v_add_co_u32_e32 v32, vcc, s0, v28
	v_addc_co_u32_e32 v33, vcc, v46, v29, vcc
	global_load_dword v28, v[32:33], off
	global_load_dword v29, v[0:1], off
	;; [unrolled: 1-line block ×3, first 2 shown]
	s_waitcnt vmcnt(1)
	v_mul_f32_e32 v28, v28, v29
	s_waitcnt vmcnt(0)
	v_mul_f32_e32 v28, v28, v41
	global_store_dword v[32:33], v28, off
	v_lshlrev_b64 v[32:33], 2, v[2:3]
	v_add_u32_e32 v2, s1, v2
	v_add_co_u32_e32 v32, vcc, s0, v32
	v_addc_co_u32_e32 v33, vcc, v46, v33, vcc
	global_load_dword v28, v[32:33], off
	s_waitcnt vmcnt(0)
	v_mul_f32_e32 v28, v28, v36
	v_mul_f32_e32 v28, v28, v39
	global_store_dword v[32:33], v28, off
	v_lshlrev_b64 v[32:33], 2, v[2:3]
	global_load_dword v36, v[4:5], off
	v_add_co_u32_e32 v32, vcc, s0, v32
	v_addc_co_u32_e32 v33, vcc, v46, v33, vcc
	global_load_dword v28, v[32:33], off
	v_add_u32_e32 v2, s1, v2
	global_load_dword v22, v[22:23], off
	s_waitcnt vmcnt(1)
	v_mul_f32_e32 v28, v28, v37
	v_mul_f32_e32 v28, v28, v36
	global_store_dword v[32:33], v28, off
	v_lshlrev_b64 v[32:33], 2, v[2:3]
	v_add_u32_e32 v2, s1, v2
	v_add_co_u32_e32 v32, vcc, s0, v32
	v_addc_co_u32_e32 v33, vcc, v46, v33, vcc
	global_load_dword v28, v[32:33], off
	s_waitcnt vmcnt(0)
	v_mul_f32_e32 v39, v28, v38
	global_load_dword v28, v[18:19], off
	s_waitcnt vmcnt(0)
	v_mul_f32_e32 v18, v39, v28
	global_store_dword v[32:33], v18, off
	v_lshlrev_b64 v[18:19], 2, v[2:3]
	global_load_dword v33, v[14:15], off
	v_add_co_u32_e32 v18, vcc, s0, v18
	v_addc_co_u32_e32 v19, vcc, v46, v19, vcc
	global_load_dword v32, v[18:19], off
	v_add_u32_e32 v2, s1, v2
	s_waitcnt vmcnt(0)
	v_mul_f32_e32 v32, v32, v37
	v_mul_f32_e32 v32, v32, v33
	global_store_dword v[18:19], v32, off
	v_lshlrev_b64 v[18:19], 2, v[2:3]
	v_add_u32_e32 v2, s1, v2
	v_add_co_u32_e32 v18, vcc, s0, v18
	v_addc_co_u32_e32 v19, vcc, v46, v19, vcc
	global_load_dword v32, v[18:19], off
	s_waitcnt vmcnt(0)
	v_mul_f32_e32 v32, v32, v29
	v_mul_f32_e32 v33, v32, v41
	global_load_dword v32, v[8:9], off
	s_waitcnt vmcnt(0)
	v_mul_f32_e32 v33, v33, v32
	global_store_dword v[18:19], v33, off
	v_lshlrev_b64 v[18:19], 2, v[2:3]
	v_add_u32_e32 v2, s1, v2
	v_add_co_u32_e32 v18, vcc, s0, v18
	v_addc_co_u32_e32 v19, vcc, v46, v19, vcc
	global_load_dword v33, v[18:19], off
	s_waitcnt vmcnt(0)
	v_mul_f32_e32 v33, v33, v38
	v_mul_f32_e32 v33, v33, v36
	global_store_dword v[18:19], v33, off
	v_lshlrev_b64 v[18:19], 2, v[2:3]
	v_add_u32_e32 v2, s1, v2
	v_add_co_u32_e32 v18, vcc, s0, v18
	v_addc_co_u32_e32 v19, vcc, v46, v19, vcc
	global_load_dword v33, v[18:19], off
	s_waitcnt vmcnt(0)
	v_mul_f32_e32 v33, v33, v38
	;; [unrolled: 9-line block ×3, first 2 shown]
	global_store_dword v[18:19], v23, off
	v_lshlrev_b64 v[18:19], 2, v[2:3]
	v_add_u32_e32 v2, s1, v2
	v_add_co_u32_e32 v18, vcc, s0, v18
	v_addc_co_u32_e32 v19, vcc, v46, v19, vcc
	global_load_dword v23, v[18:19], off
	s_waitcnt vmcnt(0)
	v_mul_f32_e32 v23, v23, v32
	global_store_dword v[18:19], v23, off
	v_lshlrev_b64 v[18:19], 2, v[2:3]
	v_add_u32_e32 v2, s1, v2
	v_add_co_u32_e32 v18, vcc, s0, v18
	v_addc_co_u32_e32 v19, vcc, v46, v19, vcc
	global_load_dword v23, v[18:19], off
	global_load_dword v33, v[16:17], off
	s_waitcnt vmcnt(0)
	v_mul_f32_e32 v16, v23, v33
	global_store_dword v[18:19], v16, off
	v_lshlrev_b64 v[16:17], 2, v[2:3]
	v_add_u32_e32 v2, s1, v2
	v_add_co_u32_e32 v16, vcc, s0, v16
	v_addc_co_u32_e32 v17, vcc, v46, v17, vcc
	global_load_dword v18, v[16:17], off
	s_waitcnt vmcnt(0)
	v_mul_f32_e32 v18, v18, v29
	global_store_dword v[16:17], v18, off
	v_lshlrev_b64 v[16:17], 2, v[2:3]
	v_add_u32_e32 v2, s1, v2
	v_add_co_u32_e32 v18, vcc, s0, v16
	v_addc_co_u32_e32 v19, vcc, v46, v17, vcc
	global_load_dword v17, v[18:19], off
	global_load_dword v16, v[24:25], off
	s_waitcnt vmcnt(0)
	v_mul_f32_e32 v17, v17, v16
	global_store_dword v[18:19], v17, off
	v_lshlrev_b64 v[17:18], 2, v[2:3]
	v_add_u32_e32 v2, s1, v2
	v_add_co_u32_e32 v23, vcc, s0, v17
	v_addc_co_u32_e32 v24, vcc, v46, v18, vcc
	global_load_dword v18, v[23:24], off
	global_load_dword v17, v[34:35], off
	s_waitcnt vmcnt(0)
	v_mul_f32_e32 v18, v18, v17
	global_store_dword v[23:24], v18, off
	v_lshlrev_b64 v[18:19], 2, v[2:3]
	v_add_u32_e32 v2, s1, v2
	v_add_co_u32_e32 v18, vcc, s0, v18
	v_addc_co_u32_e32 v19, vcc, v46, v19, vcc
	global_load_dword v23, v[18:19], off
	global_load_dword v24, v[6:7], off
	s_waitcnt vmcnt(1)
	v_mul_f32_e32 v23, v23, v16
	global_store_dword v[18:19], v23, off
	v_lshlrev_b64 v[18:19], 2, v[2:3]
	v_add_u32_e32 v2, s1, v2
	v_add_co_u32_e32 v18, vcc, s0, v18
	v_addc_co_u32_e32 v19, vcc, v46, v19, vcc
	global_load_dword v23, v[18:19], off
	s_waitcnt vmcnt(0)
	v_mul_f32_e32 v23, v23, v17
	v_mul_f32_e32 v23, v23, v28
	global_store_dword v[18:19], v23, off
	v_lshlrev_b64 v[18:19], 2, v[2:3]
	v_add_u32_e32 v2, s1, v2
	v_add_co_u32_e32 v18, vcc, s0, v18
	v_addc_co_u32_e32 v19, vcc, v46, v19, vcc
	global_load_dword v23, v[18:19], off
	s_waitcnt vmcnt(0)
	v_mul_f32_e32 v23, v23, v32
	v_mul_f32_e32 v23, v23, v24
	global_store_dword v[18:19], v23, off
	v_lshlrev_b64 v[18:19], 2, v[2:3]
	v_add_u32_e32 v2, s4, v2
	v_add_co_u32_e32 v18, vcc, s0, v18
	v_addc_co_u32_e32 v19, vcc, v46, v19, vcc
	global_load_dword v23, v[18:19], off
	;; [unrolled: 9-line block ×3, first 2 shown]
	global_load_dword v23, v[26:27], off
	global_load_dword v25, v[0:1], off
	s_waitcnt vmcnt(1)
	v_mul_f32_e32 v22, v22, v23
	s_waitcnt vmcnt(0)
	v_mul_f32_e32 v22, v22, v25
	global_store_dword v[18:19], v22, off
	v_lshlrev_b64 v[18:19], 2, v[2:3]
	v_add_u32_e32 v2, s1, v2
	v_add_co_u32_e32 v22, vcc, s0, v18
	v_addc_co_u32_e32 v23, vcc, v46, v19, vcc
	global_load_dword v19, v[22:23], off
	global_load_dword v18, v[30:31], off
	;; [unrolled: 1-line block ×3, first 2 shown]
	s_waitcnt vmcnt(1)
	v_mul_f32_e32 v19, v19, v18
	s_waitcnt vmcnt(0)
	v_mul_f32_e32 v12, v19, v26
	global_store_dword v[22:23], v12, off
	v_lshlrev_b64 v[12:13], 2, v[2:3]
	v_add_u32_e32 v2, s4, v2
	v_add_co_u32_e32 v12, vcc, s0, v12
	v_addc_co_u32_e32 v13, vcc, v46, v13, vcc
	global_load_dword v19, v[12:13], off
	global_load_dword v22, v[20:21], off
	s_waitcnt vmcnt(0)
	v_mul_f32_e32 v19, v19, v22
	global_load_dword v10, v[10:11], off
	v_mul_f32_e32 v19, v19, v25
	global_load_dword v4, v[4:5], off
	s_waitcnt vmcnt(1)
	v_mul_f32_e32 v10, v19, v10
	global_store_dword v[12:13], v10, off
	v_lshlrev_b64 v[10:11], 2, v[2:3]
	v_add_u32_e32 v2, s1, v2
	v_add_co_u32_e32 v12, vcc, s0, v10
	v_addc_co_u32_e32 v13, vcc, v46, v11, vcc
	global_load_dword v10, v[12:13], off
	s_waitcnt vmcnt(0)
	v_mul_f32_e32 v11, v10, v18
	global_load_dword v10, v[8:9], off
	s_nop 0
	global_load_dword v6, v[6:7], off
	s_waitcnt vmcnt(1)
	v_mul_f32_e32 v8, v11, v10
	global_store_dword v[12:13], v8, off
	v_lshlrev_b64 v[8:9], 2, v[2:3]
	v_add_u32_e32 v2, s1, v2
	v_add_co_u32_e32 v8, vcc, s0, v8
	v_addc_co_u32_e32 v9, vcc, v46, v9, vcc
	global_load_dword v11, v[8:9], off
	global_load_dword v12, v[14:15], off
	s_waitcnt vmcnt(1)
	v_mul_f32_e32 v11, v11, v18
	v_mul_f32_e32 v11, v11, v33
	global_store_dword v[8:9], v11, off
	v_lshlrev_b64 v[8:9], 2, v[2:3]
	v_add_u32_e32 v2, s1, v2
	v_add_co_u32_e32 v8, vcc, s0, v8
	v_addc_co_u32_e32 v9, vcc, v46, v9, vcc
	global_load_dword v11, v[8:9], off
	s_waitcnt vmcnt(0)
	v_mul_f32_e32 v11, v11, v18
	v_mul_f32_e32 v11, v11, v12
	global_store_dword v[8:9], v11, off
	v_lshlrev_b64 v[8:9], 2, v[2:3]
	v_add_u32_e32 v2, s1, v2
	v_add_co_u32_e32 v8, vcc, s0, v8
	v_addc_co_u32_e32 v9, vcc, v46, v9, vcc
	;; [unrolled: 9-line block ×3, first 2 shown]
	global_load_dword v11, v[8:9], off
	s_waitcnt vmcnt(0)
	v_mul_f32_e32 v11, v11, v25
	global_store_dword v[8:9], v11, off
	v_lshlrev_b64 v[8:9], 2, v[2:3]
	v_add_u32_e32 v2, s1, v2
	v_add_co_u32_e32 v8, vcc, s0, v8
	v_addc_co_u32_e32 v9, vcc, v46, v9, vcc
	global_load_dword v11, v[8:9], off
	s_waitcnt vmcnt(0)
	v_mul_f32_e32 v11, v11, v17
	v_mul_f32_e32 v11, v11, v26
	global_store_dword v[8:9], v11, off
	v_lshlrev_b64 v[8:9], 2, v[2:3]
	v_add_u32_e32 v2, s1, v2
	v_add_co_u32_e32 v8, vcc, s0, v8
	v_addc_co_u32_e32 v9, vcc, v46, v9, vcc
	global_load_dword v11, v[8:9], off
	s_waitcnt vmcnt(0)
	v_mul_f32_e32 v11, v11, v24
	global_store_dword v[8:9], v11, off
	v_lshlrev_b64 v[8:9], 2, v[2:3]
	v_add_u32_e32 v2, s1, v2
	v_add_co_u32_e32 v8, vcc, s0, v8
	v_addc_co_u32_e32 v9, vcc, v46, v9, vcc
	global_load_dword v11, v[8:9], off
	s_waitcnt vmcnt(0)
	v_mul_f32_e32 v11, v11, v17
	v_mul_f32_e32 v11, v11, v33
	global_store_dword v[8:9], v11, off
	v_lshlrev_b64 v[8:9], 2, v[2:3]
	v_add_u32_e32 v2, s1, v2
	v_add_co_u32_e32 v8, vcc, s0, v8
	v_addc_co_u32_e32 v9, vcc, v46, v9, vcc
	global_load_dword v11, v[8:9], off
	s_waitcnt vmcnt(0)
	v_mul_f32_e32 v11, v11, v17
	;; [unrolled: 9-line block ×3, first 2 shown]
	v_mul_f32_e32 v6, v8, v6
	global_store_dword v[4:5], v6, off
	v_lshlrev_b64 v[4:5], 2, v[2:3]
	v_add_u32_e32 v2, s1, v2
	v_add_co_u32_e32 v4, vcc, s0, v4
	v_addc_co_u32_e32 v5, vcc, v46, v5, vcc
	global_load_dword v6, v[4:5], off
	v_lshlrev_b64 v[2:3], 2, v[2:3]
	global_load_dword v0, v[0:1], off
	v_add_co_u32_e32 v2, vcc, s0, v2
	v_addc_co_u32_e32 v3, vcc, v46, v3, vcc
	s_waitcnt vmcnt(1)
	v_mul_f32_e32 v6, v6, v16
	v_mul_f32_e32 v6, v6, v17
	global_store_dword v[4:5], v6, off
	global_load_dword v4, v[2:3], off
	s_waitcnt vmcnt(0)
	v_mul_f32_e32 v4, v4, v18
	v_mul_f32_e32 v0, v4, v0
	global_store_dword v[2:3], v0, off
	s_endpgm
	.section	.rodata,"a",@progbits
	.p2align	6, 0x0
	.amdhsa_kernel _Z12ratx4_kernelIfEvPKT_PS0_S3_
		.amdhsa_group_segment_fixed_size 0
		.amdhsa_private_segment_fixed_size 0
		.amdhsa_kernarg_size 280
		.amdhsa_user_sgpr_count 6
		.amdhsa_user_sgpr_private_segment_buffer 1
		.amdhsa_user_sgpr_dispatch_ptr 0
		.amdhsa_user_sgpr_queue_ptr 0
		.amdhsa_user_sgpr_kernarg_segment_ptr 1
		.amdhsa_user_sgpr_dispatch_id 0
		.amdhsa_user_sgpr_flat_scratch_init 0
		.amdhsa_user_sgpr_private_segment_size 0
		.amdhsa_uses_dynamic_stack 0
		.amdhsa_system_sgpr_private_segment_wavefront_offset 0
		.amdhsa_system_sgpr_workgroup_id_x 1
		.amdhsa_system_sgpr_workgroup_id_y 0
		.amdhsa_system_sgpr_workgroup_id_z 0
		.amdhsa_system_sgpr_workgroup_info 0
		.amdhsa_system_vgpr_workitem_id 0
		.amdhsa_next_free_vgpr 55
		.amdhsa_next_free_sgpr 9
		.amdhsa_reserve_vcc 1
		.amdhsa_reserve_flat_scratch 0
		.amdhsa_float_round_mode_32 0
		.amdhsa_float_round_mode_16_64 0
		.amdhsa_float_denorm_mode_32 3
		.amdhsa_float_denorm_mode_16_64 3
		.amdhsa_dx10_clamp 1
		.amdhsa_ieee_mode 1
		.amdhsa_fp16_overflow 0
		.amdhsa_exception_fp_ieee_invalid_op 0
		.amdhsa_exception_fp_denorm_src 0
		.amdhsa_exception_fp_ieee_div_zero 0
		.amdhsa_exception_fp_ieee_overflow 0
		.amdhsa_exception_fp_ieee_underflow 0
		.amdhsa_exception_fp_ieee_inexact 0
		.amdhsa_exception_int_div_zero 0
	.end_amdhsa_kernel
	.section	.text._Z12ratx4_kernelIfEvPKT_PS0_S3_,"axG",@progbits,_Z12ratx4_kernelIfEvPKT_PS0_S3_,comdat
.Lfunc_end15:
	.size	_Z12ratx4_kernelIfEvPKT_PS0_S3_, .Lfunc_end15-_Z12ratx4_kernelIfEvPKT_PS0_S3_
                                        ; -- End function
	.set _Z12ratx4_kernelIfEvPKT_PS0_S3_.num_vgpr, 55
	.set _Z12ratx4_kernelIfEvPKT_PS0_S3_.num_agpr, 0
	.set _Z12ratx4_kernelIfEvPKT_PS0_S3_.numbered_sgpr, 9
	.set _Z12ratx4_kernelIfEvPKT_PS0_S3_.num_named_barrier, 0
	.set _Z12ratx4_kernelIfEvPKT_PS0_S3_.private_seg_size, 0
	.set _Z12ratx4_kernelIfEvPKT_PS0_S3_.uses_vcc, 1
	.set _Z12ratx4_kernelIfEvPKT_PS0_S3_.uses_flat_scratch, 0
	.set _Z12ratx4_kernelIfEvPKT_PS0_S3_.has_dyn_sized_stack, 0
	.set _Z12ratx4_kernelIfEvPKT_PS0_S3_.has_recursion, 0
	.set _Z12ratx4_kernelIfEvPKT_PS0_S3_.has_indirect_call, 0
	.section	.AMDGPU.csdata,"",@progbits
; Kernel info:
; codeLenInByte = 10336
; TotalNumSgprs: 13
; NumVgprs: 55
; ScratchSize: 0
; MemoryBound: 0
; FloatMode: 240
; IeeeMode: 1
; LDSByteSize: 0 bytes/workgroup (compile time only)
; SGPRBlocks: 1
; VGPRBlocks: 13
; NumSGPRsForWavesPerEU: 13
; NumVGPRsForWavesPerEU: 55
; Occupancy: 4
; WaveLimiterHint : 0
; COMPUTE_PGM_RSRC2:SCRATCH_EN: 0
; COMPUTE_PGM_RSRC2:USER_SGPR: 6
; COMPUTE_PGM_RSRC2:TRAP_HANDLER: 0
; COMPUTE_PGM_RSRC2:TGID_X_EN: 1
; COMPUTE_PGM_RSRC2:TGID_Y_EN: 0
; COMPUTE_PGM_RSRC2:TGID_Z_EN: 0
; COMPUTE_PGM_RSRC2:TIDIG_COMP_CNT: 0
	.section	.text._Z11qssa_kernelIfEvPT_S1_S1_,"axG",@progbits,_Z11qssa_kernelIfEvPT_S1_S1_,comdat
	.protected	_Z11qssa_kernelIfEvPT_S1_S1_ ; -- Begin function _Z11qssa_kernelIfEvPT_S1_S1_
	.globl	_Z11qssa_kernelIfEvPT_S1_S1_
	.p2align	8
	.type	_Z11qssa_kernelIfEvPT_S1_S1_,@function
_Z11qssa_kernelIfEvPT_S1_S1_:           ; @_Z11qssa_kernelIfEvPT_S1_S1_
; %bb.0:
	s_mov_b64 s[22:23], s[2:3]
	s_mov_b64 s[20:21], s[0:1]
	s_add_u32 s20, s20, s7
	s_load_dword s7, s[4:5], 0x24
	s_load_dword s10, s[4:5], 0x18
	s_load_dwordx4 s[0:3], s[4:5], 0x0
	s_load_dwordx2 s[8:9], s[4:5], 0x10
	s_addc_u32 s21, s21, 0
	s_waitcnt lgkmcnt(0)
	s_and_b32 s5, s7, 0xffff
	s_mul_i32 s4, s10, s5
	s_mul_i32 s7, s4, 56
	;; [unrolled: 1-line block ×3, first 2 shown]
	s_add_i32 s7, s7, s6
	v_add_u32_e32 v0, s7, v0
	v_mov_b32_e32 v1, 0
	v_lshlrev_b64 v[2:3], 2, v[0:1]
	v_mov_b32_e32 v57, s1
	v_add_co_u32_e32 v4, vcc, s0, v2
	v_addc_co_u32_e32 v5, vcc, v57, v3, vcc
	v_add_u32_e32 v0, s4, v0
	global_store_dword v[4:5], v1, off
	v_lshlrev_b64 v[4:5], 2, v[0:1]
	buffer_store_dword v4, off, s[20:23], 0 ; 4-byte Folded Spill
	s_nop 0
	buffer_store_dword v5, off, s[20:23], 0 offset:4 ; 4-byte Folded Spill
	s_mul_i32 s1, s4, 0x55
	v_add_u32_e32 v0, s1, v0
	v_lshlrev_b64 v[6:7], 2, v[0:1]
	s_mul_i32 s1, s4, 15
	v_mov_b32_e32 v39, s3
	s_mul_i32 s3, s4, 0xffffff54
	s_mul_i32 s5, s4, 37
	v_mov_b32_e32 v56, s9
	s_lshl_b32 s9, s4, 1
	s_mul_i32 s16, s4, 30
	s_mul_i32 s18, s4, 0xffffff8b
	v_add_co_u32_e32 v4, vcc, s0, v4
	v_addc_co_u32_e32 v5, vcc, v57, v5, vcc
	global_store_dword v[4:5], v1, off
	buffer_store_dword v6, off, s[20:23], 0 offset:48 ; 4-byte Folded Spill
	s_nop 0
	buffer_store_dword v7, off, s[20:23], 0 offset:52 ; 4-byte Folded Spill
	v_mad_u64_u32 v[4:5], s[6:7], s4, 36, v[0:1]
	v_add_u32_e32 v0, s1, v4
	v_add_co_u32_e32 v5, vcc, s0, v6
	v_addc_co_u32_e32 v6, vcc, v57, v7, vcc
	global_store_dword v[5:6], v1, off
	v_mov_b32_e32 v5, v1
	v_lshlrev_b64 v[5:6], 2, v[4:5]
	buffer_store_dword v5, off, s[20:23], 0 offset:40 ; 4-byte Folded Spill
	s_nop 0
	buffer_store_dword v6, off, s[20:23], 0 offset:44 ; 4-byte Folded Spill
	v_add_co_u32_e32 v5, vcc, s0, v5
	v_addc_co_u32_e32 v6, vcc, v57, v6, vcc
	global_store_dword v[5:6], v1, off
	v_lshlrev_b64 v[6:7], 2, v[0:1]
	buffer_store_dword v6, off, s[20:23], 0 offset:56 ; 4-byte Folded Spill
	s_nop 0
	buffer_store_dword v7, off, s[20:23], 0 offset:60 ; 4-byte Folded Spill
	v_mad_u64_u32 v[4:5], s[6:7], s4, 12, v[0:1]
	s_mul_i32 s6, s4, 10
	s_mul_i32 s7, s4, 0xffffffcf
	v_add_u32_e32 v0, s3, v4
	v_lshlrev_b64 v[18:19], 2, v[0:1]
	v_add_u32_e32 v0, s4, v0
	v_lshlrev_b64 v[42:43], 2, v[0:1]
	;; [unrolled: 2-line block ×8, first 2 shown]
	v_add_u32_e32 v0, s6, v0
	s_mul_i32 s3, s4, 6
	v_lshlrev_b64 v[8:9], 2, v[0:1]
	v_mov_b32_e32 v45, v14
	v_mov_b32_e32 v44, v13
	v_add_co_u32_e32 v5, vcc, s2, v6
	v_addc_co_u32_e32 v6, vcc, v39, v7, vcc
	global_store_dword v[5:6], v1, off
	v_mov_b32_e32 v5, v1
	v_lshlrev_b64 v[5:6], 2, v[4:5]
	buffer_store_dword v5, off, s[20:23], 0 offset:24 ; 4-byte Folded Spill
	s_nop 0
	buffer_store_dword v6, off, s[20:23], 0 offset:28 ; 4-byte Folded Spill
	v_add_co_u32_e32 v5, vcc, s0, v5
	v_addc_co_u32_e32 v6, vcc, v57, v6, vcc
	v_add_co_u32_e32 v28, vcc, s2, v2
	v_addc_co_u32_e32 v29, vcc, v39, v3, vcc
	v_mad_u64_u32 v[2:3], s[10:11], s4, 18, v[0:1]
	v_mov_b32_e32 v3, v1
	global_store_dword v[5:6], v1, off
	v_add_u32_e32 v0, s3, v2
	v_lshlrev_b64 v[2:3], 2, v[2:3]
	s_mul_i32 s10, s4, 0xffffffc7
	v_add_co_u32_e32 v36, vcc, s0, v2
	v_addc_co_u32_e32 v37, vcc, v57, v3, vcc
	v_add_co_u32_e32 v30, vcc, s2, v2
	v_addc_co_u32_e32 v31, vcc, v39, v3, vcc
	v_lshlrev_b64 v[2:3], 2, v[0:1]
	v_add_u32_e32 v0, s10, v0
	v_add_co_u32_e32 v10, vcc, s0, v2
	v_addc_co_u32_e32 v11, vcc, v57, v3, vcc
	v_add_co_u32_e32 v32, vcc, s2, v2
	v_addc_co_u32_e32 v33, vcc, v39, v3, vcc
	;; [unrolled: 2-line block ×3, first 2 shown]
	global_load_dword v2, v[2:3], off
	v_add_co_u32_e32 v3, vcc, s0, v34
	v_addc_co_u32_e32 v4, vcc, v57, v35, vcc
	global_load_dword v17, v[3:4], off
	v_add_co_u32_e32 v3, vcc, s0, v23
	v_addc_co_u32_e32 v4, vcc, v57, v24, vcc
	;; [unrolled: 3-line block ×3, first 2 shown]
	v_add_co_u32_e32 v6, vcc, s0, v21
	v_addc_co_u32_e32 v7, vcc, v57, v22, vcc
	global_load_dword v4, v[4:5], off
	s_mul_i32 s11, s4, 3
	s_waitcnt vmcnt(2)
	buffer_store_dword v17, off, s[20:23], 0 offset:100 ; 4-byte Folded Spill
	global_load_dword v5, v[6:7], off
	s_nop 0
	global_load_dword v6, v[6:7], off
	s_waitcnt vmcnt(0)
	buffer_store_dword v6, off, s[20:23], 0 offset:32 ; 4-byte Folded Spill
	v_add_co_u32_e32 v6, vcc, s0, v42
	v_addc_co_u32_e32 v7, vcc, v57, v43, vcc
	global_load_dword v12, v[6:7], off
	s_nop 0
	global_load_dword v6, v[6:7], off
	s_waitcnt vmcnt(1)
	v_add_f32_e32 v2, v2, v12
	v_add_f32_e32 v2, v2, v17
	;; [unrolled: 1-line block ×4, first 2 shown]
	v_add_co_u32_e32 v3, vcc, s0, v13
	s_waitcnt vmcnt(0)
	buffer_store_dword v6, off, s[20:23], 0 offset:80 ; 4-byte Folded Spill
	v_add_f32_e32 v2, v2, v4
	v_addc_co_u32_e32 v4, vcc, v57, v14, vcc
	global_load_dword v5, v[3:4], off
	s_nop 0
	global_load_dword v3, v[36:37], off
	global_load_dword v4, v[10:11], off
	v_add_co_u32_e32 v10, vcc, s0, v8
	v_addc_co_u32_e32 v11, vcc, v57, v9, vcc
	global_load_dword v6, v[10:11], off
	global_load_dword v7, v[10:11], off
	v_add_co_u32_e32 v10, vcc, s0, v26
	v_addc_co_u32_e32 v11, vcc, v57, v27, vcc
	s_waitcnt vmcnt(0)
	buffer_store_dword v7, off, s[20:23], 0 offset:64 ; 4-byte Folded Spill
	global_load_dword v7, v[10:11], off
	s_nop 0
	global_load_dword v10, v[10:11], off
	s_waitcnt vmcnt(1)
	v_add_f32_e32 v2, v2, v7
	v_add_f32_e32 v2, v2, v5
	v_add_f32_e32 v2, v2, v6
	v_add_f32_e32 v2, v2, v3
	v_add_f32_e32 v13, v2, v4
	v_lshlrev_b64 v[2:3], 2, v[0:1]
	s_waitcnt vmcnt(0)
	buffer_store_dword v10, off, s[20:23], 0 offset:112 ; 4-byte Folded Spill
	v_add_co_u32_e32 v4, vcc, s2, v2
	v_addc_co_u32_e32 v5, vcc, v39, v3, vcc
	global_load_dword v17, v[4:5], off
	v_add_u32_e32 v0, s3, v0
	s_waitcnt vmcnt(0)
	buffer_store_dword v17, off, s[20:23], 0 offset:116 ; 4-byte Folded Spill
	buffer_store_dword v23, off, s[20:23], 0 offset:208 ; 4-byte Folded Spill
	s_nop 0
	buffer_store_dword v24, off, s[20:23], 0 offset:212 ; 4-byte Folded Spill
	v_add_co_u32_e32 v4, vcc, s2, v23
	v_addc_co_u32_e32 v5, vcc, v39, v24, vcc
	global_load_dword v6, v[4:5], off
	s_nop 0
	buffer_store_dword v15, off, s[20:23], 0 offset:156 ; 4-byte Folded Spill
	s_nop 0
	buffer_store_dword v16, off, s[20:23], 0 offset:160 ; 4-byte Folded Spill
	v_add_co_u32_e32 v4, vcc, s2, v15
	v_addc_co_u32_e32 v5, vcc, v39, v16, vcc
	global_load_dword v7, v[4:5], off
	global_load_dword v41, v[28:29], off
	s_nop 0
	buffer_store_dword v44, off, s[20:23], 0 offset:92 ; 4-byte Folded Spill
	s_nop 0
	buffer_store_dword v45, off, s[20:23], 0 offset:96 ; 4-byte Folded Spill
	v_add_co_u32_e32 v4, vcc, s2, v44
	v_addc_co_u32_e32 v5, vcc, v39, v45, vcc
	global_load_dword v10, v[4:5], off
	v_lshlrev_b64 v[4:5], 2, v[0:1]
	v_add_u32_e32 v0, s7, v0
	v_add_co_u32_e32 v11, vcc, s2, v4
	v_addc_co_u32_e32 v12, vcc, v39, v5, vcc
	global_load_dword v14, v[11:12], off
	s_nop 0
	global_load_dword v11, v[11:12], off
	s_mul_i32 s7, s4, 0xffffff96
	s_waitcnt vmcnt(0)
	buffer_store_dword v11, off, s[20:23], 0 offset:248 ; 4-byte Folded Spill
	buffer_store_dword v18, off, s[20:23], 0 offset:260 ; 4-byte Folded Spill
	s_nop 0
	buffer_store_dword v19, off, s[20:23], 0 offset:264 ; 4-byte Folded Spill
	v_add_f32_e32 v11, v13, v17
	v_add_f32_e32 v16, v11, v14
	v_div_scale_f32 v11, s[12:13], v16, v16, 1.0
	v_rcp_f32_e32 v12, v11
	v_fma_f32 v13, -v11, v12, 1.0
	v_fmac_f32_e32 v12, v13, v12
	v_div_scale_f32 v13, vcc, 1.0, v16, 1.0
	v_mul_f32_e32 v14, v13, v12
	v_fma_f32 v17, -v11, v14, v13
	v_fmac_f32_e32 v14, v17, v12
	v_fma_f32 v11, -v11, v14, v13
	v_div_fmas_f32 v17, v11, v12, v14
	v_lshlrev_b64 v[11:12], 2, v[0:1]
	v_add_u32_e32 v0, s9, v0
	v_add_co_u32_e32 v11, vcc, s8, v11
	v_addc_co_u32_e32 v12, vcc, v56, v12, vcc
	v_add_co_u32_e32 v13, vcc, s2, v34
	v_addc_co_u32_e32 v14, vcc, v39, v35, vcc
	;; [unrolled: 2-line block ×3, first 2 shown]
	global_load_dword v18, v[28:29], off
	global_load_dword v19, v[30:31], off
	global_load_dword v20, v[32:33], off
	v_add_co_u32_e32 v2, vcc, s0, v2
	v_addc_co_u32_e32 v3, vcc, v57, v3, vcc
	global_load_dword v24, v[13:14], off
	s_waitcnt vmcnt(3)
	v_add_f32_e32 v6, v18, v6
	v_add_f32_e32 v6, v6, v7
	;; [unrolled: 1-line block ×4, first 2 shown]
	s_waitcnt vmcnt(2)
	v_add_f32_e32 v6, v6, v19
	s_waitcnt vmcnt(1)
	v_add_f32_e32 v7, v6, v20
	v_div_fixup_f32 v6, v17, v16, 1.0
	v_mul_f32_e32 v7, v6, v7
	global_store_dword v[11:12], v7, off
	v_lshlrev_b64 v[10:11], 2, v[0:1]
	v_add_u32_e32 v0, s4, v0
	v_add_co_u32_e32 v10, vcc, s8, v10
	v_addc_co_u32_e32 v11, vcc, v56, v11, vcc
	v_add_co_u32_e32 v4, vcc, s0, v4
	v_addc_co_u32_e32 v5, vcc, v57, v5, vcc
	global_load_dword v40, v[2:3], off
	s_nop 0
	global_load_dword v4, v[4:5], off
	s_waitcnt vmcnt(1)
	v_add_f32_e32 v2, v24, v40
	v_mul_f32_e32 v2, v6, v2
	global_store_dword v[10:11], v2, off
	v_lshlrev_b64 v[2:3], 2, v[0:1]
	s_waitcnt vmcnt(1)
	buffer_store_dword v4, off, s[20:23], 0 offset:196 ; 4-byte Folded Spill
	v_add_co_u32_e32 v2, vcc, s8, v2
	v_addc_co_u32_e32 v3, vcc, v56, v3, vcc
	v_mul_f32_e32 v4, v6, v4
	v_add_u32_e32 v0, s4, v0
	global_store_dword v[2:3], v4, off
	v_add_co_u32_e32 v2, vcc, s2, v26
	v_lshlrev_b64 v[4:5], 2, v[0:1]
	v_addc_co_u32_e32 v3, vcc, v39, v27, vcc
	v_add_co_u32_e32 v4, vcc, s8, v4
	v_addc_co_u32_e32 v5, vcc, v56, v5, vcc
	v_add_co_u32_e32 v10, vcc, s2, v8
	v_addc_co_u32_e32 v11, vcc, v39, v9, vcc
	global_load_dword v7, v[2:3], off
	global_load_dword v8, v[10:11], off
	v_add_u32_e32 v0, s11, v0
	global_load_dword v2, v[2:3], off
	s_waitcnt vmcnt(1)
	buffer_store_dword v8, off, s[20:23], 0 offset:104 ; 4-byte Folded Spill
	s_waitcnt vmcnt(1)
	buffer_store_dword v2, off, s[20:23], 0 offset:240 ; 4-byte Folded Spill
	buffer_store_dword v21, off, s[20:23], 0 offset:272 ; 4-byte Folded Spill
	s_nop 0
	buffer_store_dword v22, off, s[20:23], 0 offset:276 ; 4-byte Folded Spill
	v_add_co_u32_e32 v2, vcc, s2, v21
	v_addc_co_u32_e32 v3, vcc, v39, v22, vcc
	global_load_dword v8, v[2:3], off
	s_nop 0
	global_load_dword v2, v[2:3], off
	s_waitcnt vmcnt(0)
	buffer_store_dword v2, off, s[20:23], 0 offset:244 ; 4-byte Folded Spill
	buffer_store_dword v42, off, s[20:23], 0 offset:280 ; 4-byte Folded Spill
	s_nop 0
	buffer_store_dword v43, off, s[20:23], 0 offset:284 ; 4-byte Folded Spill
	v_add_co_u32_e32 v2, vcc, s2, v42
	v_addc_co_u32_e32 v3, vcc, v39, v43, vcc
	global_load_dword v9, v[2:3], off
	s_nop 0
	global_load_dword v2, v[2:3], off
	s_waitcnt vmcnt(0)
	buffer_store_dword v2, off, s[20:23], 0 offset:256 ; 4-byte Folded Spill
	v_add_f32_e32 v2, v9, v8
	v_add_f32_e32 v2, v2, v7
	v_mul_f32_e32 v2, v6, v2
	global_store_dword v[4:5], v2, off
	global_load_dword v4, v[10:11], off
	v_lshlrev_b64 v[2:3], 2, v[0:1]
	v_add_u32_e32 v0, s16, v0
	v_add_co_u32_e32 v2, vcc, s8, v2
	v_addc_co_u32_e32 v3, vcc, v56, v3, vcc
	s_waitcnt vmcnt(0)
	v_mul_f32_e32 v4, v6, v4
	global_store_dword v[2:3], v4, off
	v_lshlrev_b64 v[2:3], 2, v[0:1]
	v_add_u32_e32 v0, s4, v0
	v_add_co_u32_e32 v42, vcc, s0, v2
	v_addc_co_u32_e32 v43, vcc, v57, v3, vcc
	v_add_co_u32_e32 v2, vcc, s2, v2
	v_addc_co_u32_e32 v3, vcc, v39, v3, vcc
	buffer_store_dword v2, off, s[20:23], 0 offset:124 ; 4-byte Folded Spill
	s_nop 0
	buffer_store_dword v3, off, s[20:23], 0 offset:128 ; 4-byte Folded Spill
	v_lshlrev_b64 v[2:3], 2, v[0:1]
	v_add_u32_e32 v0, s4, v0
	v_lshlrev_b64 v[14:15], 2, v[0:1]
	v_add_u32_e32 v0, s4, v0
	;; [unrolled: 2-line block ×5, first 2 shown]
	v_add_co_u32_e32 v44, vcc, s0, v2
	v_lshlrev_b64 v[17:18], 2, v[0:1]
	v_add_u32_e32 v0, s4, v0
	v_addc_co_u32_e32 v45, vcc, v57, v3, vcc
	v_mad_u64_u32 v[62:63], s[12:13], s4, 35, v[0:1]
	v_add_co_u32_e32 v2, vcc, s2, v2
	v_addc_co_u32_e32 v3, vcc, v39, v3, vcc
	buffer_store_dword v2, off, s[20:23], 0 offset:132 ; 4-byte Folded Spill
	s_nop 0
	buffer_store_dword v3, off, s[20:23], 0 offset:136 ; 4-byte Folded Spill
	v_lshlrev_b64 v[2:3], 2, v[0:1]
	v_add_u32_e32 v0, s1, v62
	v_lshlrev_b64 v[22:23], 2, v[0:1]
	v_add_u32_e32 v0, s3, v0
	v_mad_u64_u32 v[50:51], s[12:13], s4, 53, v[0:1]
	v_add_co_u32_e32 v60, vcc, s0, v2
	v_lshlrev_b64 v[26:27], 2, v[0:1]
	v_add_u32_e32 v0, s7, v50
	s_lshl_b32 s7, s4, 3
	v_addc_co_u32_e32 v61, vcc, v57, v3, vcc
	v_lshlrev_b64 v[36:37], 2, v[0:1]
	v_add_u32_e32 v0, s7, v0
	v_add_co_u32_e32 v30, vcc, s2, v2
	v_lshlrev_b64 v[20:21], 2, v[0:1]
	v_add_u32_e32 v0, s4, v0
	v_addc_co_u32_e32 v31, vcc, v39, v3, vcc
	v_lshlrev_b64 v[2:3], 2, v[0:1]
	v_add_u32_e32 v0, s4, v0
	s_mul_i32 s12, s4, 11
	v_lshlrev_b64 v[58:59], 2, v[0:1]
	v_add_u32_e32 v0, s12, v0
	v_lshlrev_b64 v[6:7], 2, v[0:1]
	v_add_u32_e32 v0, s5, v0
	v_add_co_u32_e32 v52, vcc, s2, v6
	v_addc_co_u32_e32 v53, vcc, v39, v7, vcc
	v_add_co_u32_e32 v46, vcc, s0, v6
	v_addc_co_u32_e32 v47, vcc, v57, v7, vcc
	v_lshlrev_b64 v[6:7], 2, v[0:1]
	buffer_store_dword v2, off, s[20:23], 0 offset:8 ; 4-byte Folded Spill
	s_nop 0
	buffer_store_dword v3, off, s[20:23], 0 offset:12 ; 4-byte Folded Spill
	v_add_co_u32_e32 v54, vcc, s2, v6
	v_addc_co_u32_e32 v55, vcc, v39, v7, vcc
	v_add_co_u32_e32 v2, vcc, s0, v6
	v_addc_co_u32_e32 v3, vcc, v57, v7, vcc
	buffer_store_dword v2, off, s[20:23], 0 offset:188 ; 4-byte Folded Spill
	s_nop 0
	buffer_store_dword v3, off, s[20:23], 0 offset:192 ; 4-byte Folded Spill
	v_add_u32_e32 v0, s3, v0
	v_lshlrev_b64 v[2:3], 2, v[0:1]
	v_add_u32_e32 v0, s9, v0
	v_mad_u64_u32 v[10:11], s[14:15], s4, 5, v[0:1]
	v_mov_b32_e32 v11, v1
	v_lshlrev_b64 v[6:7], 2, v[0:1]
	v_add_u32_e32 v0, s16, v10
	v_lshlrev_b64 v[10:11], 2, v[10:11]
	v_lshlrev_b64 v[48:49], 2, v[0:1]
	v_add_co_u32_e32 v32, vcc, s2, v10
	v_addc_co_u32_e32 v33, vcc, v39, v11, vcc
	v_add_co_u32_e32 v10, vcc, s0, v10
	v_addc_co_u32_e32 v11, vcc, v57, v11, vcc
	;; [unrolled: 2-line block ×3, first 2 shown]
	v_mov_b32_e32 v51, v1
	v_add_co_u32_e32 v48, vcc, s0, v48
	v_lshlrev_b64 v[50:51], 2, v[50:51]
	buffer_store_dword v2, off, s[20:23], 0 offset:216 ; 4-byte Folded Spill
	s_nop 0
	buffer_store_dword v3, off, s[20:23], 0 offset:220 ; 4-byte Folded Spill
	v_addc_co_u32_e32 v49, vcc, v57, v49, vcc
	v_add_co_u32_e32 v3, vcc, s0, v50
	v_addc_co_u32_e32 v4, vcc, v57, v51, vcc
	v_add_co_u32_e32 v50, vcc, s2, v50
	v_addc_co_u32_e32 v51, vcc, v39, v51, vcc
	global_load_dword v16, v[42:43], off
	global_load_dword v38, v[44:45], off
	v_add_co_u32_e32 v42, vcc, s0, v8
	v_addc_co_u32_e32 v43, vcc, v57, v9, vcc
	global_load_dword v19, v[42:43], off
	v_add_co_u32_e32 v42, vcc, s0, v28
	v_addc_co_u32_e32 v43, vcc, v57, v29, vcc
	global_load_dword v25, v[42:43], off
	s_nop 0
	buffer_store_dword v12, off, s[20:23], 0 offset:16 ; 4-byte Folded Spill
	s_nop 0
	buffer_store_dword v13, off, s[20:23], 0 offset:20 ; 4-byte Folded Spill
	s_mul_i32 s13, s4, 0xffffff76
	v_add_u32_e32 v0, s13, v0
	s_lshl_b32 s13, s4, 2
	v_add_co_u32_e32 v42, vcc, s0, v12
	v_addc_co_u32_e32 v43, vcc, v57, v13, vcc
	global_load_dword v63, v[42:43], off
	global_load_dword v2, v[42:43], off
	s_waitcnt vmcnt(0)
	buffer_store_dword v2, off, s[20:23], 0 offset:200 ; 4-byte Folded Spill
	buffer_store_dword v14, off, s[20:23], 0 offset:180 ; 4-byte Folded Spill
	s_nop 0
	buffer_store_dword v15, off, s[20:23], 0 offset:184 ; 4-byte Folded Spill
	v_add_co_u32_e32 v42, vcc, s0, v14
	v_addc_co_u32_e32 v43, vcc, v57, v15, vcc
	global_load_dword v2, v[42:43], off
	global_load_dword v5, v[42:43], off
	v_add_co_u32_e32 v42, vcc, s0, v17
	v_addc_co_u32_e32 v43, vcc, v57, v18, vcc
	s_waitcnt vmcnt(0)
	buffer_store_dword v5, off, s[20:23], 0 offset:204 ; 4-byte Folded Spill
	v_add_f32_e32 v5, v16, v38
	v_add_f32_e32 v2, v5, v2
	v_add_f32_e32 v2, v2, v63
	v_mov_b32_e32 v63, v1
	v_lshlrev_b64 v[44:45], 2, v[62:63]
	v_add_f32_e32 v2, v2, v19
	global_load_dword v16, v[42:43], off
	global_load_dword v19, v[60:61], off
	v_add_co_u32_e32 v42, vcc, s0, v44
	v_addc_co_u32_e32 v43, vcc, v57, v45, vcc
	v_add_f32_e32 v2, v2, v25
	global_load_dword v25, v[42:43], off
	v_add_co_u32_e32 v42, vcc, s0, v22
	v_addc_co_u32_e32 v43, vcc, v57, v23, vcc
	v_add_f32_e32 v5, v40, v2
	v_add_co_u32_e32 v2, vcc, s0, v26
	global_load_dword v38, v[42:43], off
	s_nop 0
	global_load_dword v4, v[3:4], off
	v_addc_co_u32_e32 v3, vcc, v57, v27, vcc
	global_load_dword v40, v[2:3], off
	s_nop 0
	global_load_dword v2, v[2:3], off
	v_mov_b32_e32 v43, v27
	v_mov_b32_e32 v42, v26
	;; [unrolled: 1-line block ×6, first 2 shown]
	s_waitcnt vmcnt(0)
	buffer_store_dword v2, off, s[20:23], 0 offset:108 ; 4-byte Folded Spill
	v_add_f32_e32 v2, v16, v5
	v_add_f32_e32 v2, v19, v2
	;; [unrolled: 1-line block ×7, first 2 shown]
	v_add_co_u32_e32 v2, vcc, s2, v58
	v_addc_co_u32_e32 v3, vcc, v39, v59, vcc
	global_load_dword v5, v[2:3], off
	s_nop 0
	global_load_dword v2, v[2:3], off
	s_waitcnt vmcnt(0)
	buffer_store_dword v2, off, s[20:23], 0 offset:308 ; 4-byte Folded Spill
	buffer_load_dword v14, off, s[20:23], 0 offset:8 ; 4-byte Folded Reload
	buffer_load_dword v15, off, s[20:23], 0 offset:12 ; 4-byte Folded Reload
	s_waitcnt vmcnt(1)
	v_add_co_u32_e32 v2, vcc, s2, v14
	s_waitcnt vmcnt(0)
	v_addc_co_u32_e32 v3, vcc, v39, v15, vcc
	global_load_dword v16, v[2:3], off
	s_nop 0
	global_load_dword v2, v[2:3], off
	v_mov_b32_e32 v63, v15
	v_mov_b32_e32 v62, v14
	s_waitcnt vmcnt(0)
	buffer_store_dword v2, off, s[20:23], 0 offset:316 ; 4-byte Folded Spill
	v_add_co_u32_e32 v2, vcc, s2, v20
	v_addc_co_u32_e32 v3, vcc, v39, v21, vcc
	global_load_dword v19, v[2:3], off
	s_nop 0
	global_load_dword v2, v[2:3], off
	s_waitcnt vmcnt(0)
	buffer_store_dword v2, off, s[20:23], 0 offset:324 ; 4-byte Folded Spill
	v_add_co_u32_e32 v2, vcc, s2, v36
	v_addc_co_u32_e32 v3, vcc, v39, v37, vcc
	global_load_dword v25, v[2:3], off
	global_load_dword v14, v[2:3], off
	s_waitcnt vmcnt(1)
	v_add_f32_e32 v2, v25, v4
	v_add_f32_e32 v2, v19, v2
	;; [unrolled: 1-line block ×4, first 2 shown]
	v_add_co_u32_e32 v2, vcc, s2, v6
	v_addc_co_u32_e32 v3, vcc, v39, v7, vcc
	global_load_dword v5, v[52:53], off
	global_load_dword v16, v[54:55], off
	;; [unrolled: 1-line block ×4, first 2 shown]
	s_nop 0
	global_load_dword v32, v[2:3], off
	s_nop 0
	global_load_dword v2, v[2:3], off
	s_waitcnt vmcnt(0)
	buffer_store_dword v2, off, s[20:23], 0 offset:140 ; 4-byte Folded Spill
	buffer_load_dword v52, off, s[20:23], 0 offset:216 ; 4-byte Folded Reload
	buffer_load_dword v53, off, s[20:23], 0 offset:220 ; 4-byte Folded Reload
	s_waitcnt vmcnt(1)
	v_add_co_u32_e32 v2, vcc, s2, v52
	s_waitcnt vmcnt(0)
	v_addc_co_u32_e32 v3, vcc, v39, v53, vcc
	global_load_dword v33, v[2:3], off
	s_nop 0
	global_load_dword v2, v[2:3], off
	s_waitcnt vmcnt(0)
	buffer_store_dword v2, off, s[20:23], 0 offset:148 ; 4-byte Folded Spill
	buffer_load_dword v12, off, s[20:23], 0 offset:124 ; 4-byte Folded Reload
	buffer_load_dword v13, off, s[20:23], 0 offset:128 ; 4-byte Folded Reload
	v_add_f32_e32 v2, v5, v4
	v_add_f32_e32 v2, v16, v2
	;; [unrolled: 1-line block ×6, first 2 shown]
	v_div_scale_f32 v2, s[14:15], v4, v4, 1.0
	v_rcp_f32_e32 v3, v2
	v_fma_f32 v5, -v2, v3, 1.0
	v_fmac_f32_e32 v3, v5, v3
	v_div_scale_f32 v5, vcc, 1.0, v4, 1.0
	v_mul_f32_e32 v16, v5, v3
	v_fma_f32 v19, -v2, v16, v5
	v_fmac_f32_e32 v16, v19, v3
	v_fma_f32 v2, -v2, v16, v5
	v_div_fmas_f32 v5, v2, v3, v16
	v_lshlrev_b64 v[2:3], 2, v[0:1]
	v_add_u32_e32 v0, s4, v0
	v_add_co_u32_e32 v2, vcc, s8, v2
	v_addc_co_u32_e32 v3, vcc, v56, v3, vcc
	s_waitcnt vmcnt(0)
	global_load_dword v16, v[12:13], off
	s_nop 0
	buffer_load_dword v12, off, s[20:23], 0 offset:132 ; 4-byte Folded Reload
	buffer_load_dword v13, off, s[20:23], 0 offset:136 ; 4-byte Folded Reload
	s_waitcnt vmcnt(0)
	global_load_dword v19, v[12:13], off
	s_nop 0
	buffer_store_dword v8, off, s[20:23], 0 offset:232 ; 4-byte Folded Spill
	s_nop 0
	buffer_store_dword v9, off, s[20:23], 0 offset:236 ; 4-byte Folded Spill
	v_add_co_u32_e32 v26, vcc, s2, v8
	v_addc_co_u32_e32 v27, vcc, v39, v9, vcc
	global_load_dword v25, v[26:27], off
	s_nop 0
	buffer_store_dword v28, off, s[20:23], 0 offset:224 ; 4-byte Folded Spill
	s_nop 0
	buffer_store_dword v29, off, s[20:23], 0 offset:228 ; 4-byte Folded Spill
	s_waitcnt vmcnt(5)
	v_add_f32_e32 v16, v16, v19
	v_div_fixup_f32 v19, v5, v4, 1.0
	v_add_co_u32_e32 v26, vcc, s2, v28
	v_addc_co_u32_e32 v27, vcc, v39, v29, vcc
	global_load_dword v28, v[26:27], off
	s_nop 0
	buffer_store_dword v17, off, s[20:23], 0 offset:172 ; 4-byte Folded Spill
	s_nop 0
	buffer_store_dword v18, off, s[20:23], 0 offset:176 ; 4-byte Folded Spill
	s_waitcnt vmcnt(5)
	v_add_f32_e32 v16, v16, v25
	v_add_co_u32_e32 v26, vcc, s2, v17
	v_addc_co_u32_e32 v27, vcc, v39, v18, vcc
	global_load_dword v29, v[26:27], off
	s_nop 0
	global_load_dword v30, v[30:31], off
	s_nop 0
	buffer_load_dword v8, off, s[20:23], 0  ; 4-byte Folded Reload
	buffer_load_dword v9, off, s[20:23], 0 offset:4 ; 4-byte Folded Reload
	s_waitcnt vmcnt(6)
	v_add_f32_e32 v16, v16, v28
	s_waitcnt vmcnt(3)
	v_add_f32_e32 v16, v16, v29
	s_waitcnt vmcnt(1)
	v_add_co_u32_e32 v26, vcc, s2, v8
	s_waitcnt vmcnt(0)
	v_addc_co_u32_e32 v27, vcc, v39, v9, vcc
	global_load_dword v31, v[26:27], off
	global_load_dword v32, v[46:47], off
	s_nop 0
	buffer_store_dword v60, off, s[20:23], 0 offset:84 ; 4-byte Folded Spill
	s_nop 0
	buffer_store_dword v61, off, s[20:23], 0 offset:88 ; 4-byte Folded Spill
	v_add_f32_e32 v16, v16, v30
	v_add_f32_e32 v16, v41, v16
	s_waitcnt vmcnt(3)
	v_add_f32_e32 v16, v31, v16
	v_add_co_u32_e32 v26, vcc, s2, v60
	v_addc_co_u32_e32 v27, vcc, v39, v61, vcc
	global_load_dword v33, v[26:27], off
	s_nop 0
	buffer_store_dword v44, off, s[20:23], 0 offset:72 ; 4-byte Folded Spill
	s_nop 0
	buffer_store_dword v45, off, s[20:23], 0 offset:76 ; 4-byte Folded Spill
	v_add_f32_e32 v16, v31, v16
	s_waitcnt vmcnt(5)
	v_add_f32_e32 v16, v32, v16
	v_add_co_u32_e32 v26, vcc, s2, v44
	v_addc_co_u32_e32 v27, vcc, v39, v45, vcc
	global_load_dword v26, v[26:27], off
	s_nop 0
	buffer_load_dword v8, off, s[20:23], 0 offset:188 ; 4-byte Folded Reload
	buffer_load_dword v9, off, s[20:23], 0 offset:192 ; 4-byte Folded Reload
	s_waitcnt vmcnt(0)
	global_load_dword v27, v[8:9], off
	s_nop 0
	global_load_dword v10, v[10:11], off
	s_nop 0
	global_load_dword v11, v[48:49], off
	global_load_dword v34, v[50:51], off
	v_add_f32_e32 v16, v33, v16
	v_add_f32_e32 v16, v26, v16
	s_waitcnt vmcnt(3)
	v_add_f32_e32 v16, v27, v16
	s_waitcnt vmcnt(2)
	;; [unrolled: 2-line block ×4, first 2 shown]
	v_add_f32_e32 v10, v34, v10
	v_mul_f32_e32 v4, v19, v10
	global_store_dword v[2:3], v4, off
	buffer_load_dword v4, off, s[20:23], 0 offset:100 ; 4-byte Folded Reload
	s_nop 0
	buffer_load_dword v5, off, s[20:23], 0 offset:116 ; 4-byte Folded Reload
	v_lshlrev_b64 v[2:3], 2, v[0:1]
	v_add_u32_e32 v0, s9, v0
	v_add_co_u32_e32 v2, vcc, s8, v2
	v_addc_co_u32_e32 v3, vcc, v56, v3, vcc
	v_lshlrev_b64 v[12:13], 2, v[0:1]
	v_add_u32_e32 v0, s4, v0
	s_waitcnt vmcnt(0)
	v_add_f32_e32 v4, v4, v5
	v_mul_f32_e32 v4, v4, v19
	global_store_dword v[2:3], v4, off
	v_add_co_u32_e32 v2, vcc, s0, v36
	v_addc_co_u32_e32 v3, vcc, v57, v37, vcc
	v_add_co_u32_e32 v10, vcc, s0, v20
	v_addc_co_u32_e32 v11, vcc, v57, v21, vcc
	;; [unrolled: 2-line block ×3, first 2 shown]
	global_load_dword v9, v[2:3], off
	global_load_dword v15, v[10:11], off
	v_add_co_u32_e32 v2, vcc, s0, v62
	v_addc_co_u32_e32 v3, vcc, v57, v63, vcc
	global_load_dword v16, v[2:3], off
	s_nop 0
	buffer_store_dword v58, off, s[20:23], 0 offset:164 ; 4-byte Folded Spill
	s_nop 0
	buffer_store_dword v59, off, s[20:23], 0 offset:168 ; 4-byte Folded Spill
	v_lshlrev_b64 v[4:5], 2, v[0:1]
	v_add_u32_e32 v0, s9, v0
	v_add_co_u32_e32 v2, vcc, s0, v58
	v_addc_co_u32_e32 v3, vcc, v57, v59, vcc
	global_load_dword v8, v[2:3], off
	s_waitcnt vmcnt(4)
	v_add_f32_e32 v2, v9, v15
	s_waitcnt vmcnt(3)
	v_add_f32_e32 v2, v2, v16
	;; [unrolled: 2-line block ×3, first 2 shown]
	v_mul_f32_e32 v2, v19, v2
	global_store_dword v[12:13], v2, off
	buffer_load_dword v2, off, s[20:23], 0 offset:180 ; 4-byte Folded Reload
	s_nop 0
	buffer_load_dword v3, off, s[20:23], 0 offset:184 ; 4-byte Folded Reload
	buffer_load_dword v10, off, s[20:23], 0 offset:16 ; 4-byte Folded Reload
	;; [unrolled: 1-line block ×3, first 2 shown]
	s_waitcnt vmcnt(3)
	v_add_co_u32_e32 v2, vcc, s2, v2
	s_waitcnt vmcnt(2)
	v_addc_co_u32_e32 v3, vcc, v39, v3, vcc
	v_add_co_u32_e32 v4, vcc, s8, v4
	v_addc_co_u32_e32 v5, vcc, v56, v5, vcc
	s_waitcnt vmcnt(1)
	v_add_co_u32_e32 v10, vcc, s2, v10
	s_waitcnt vmcnt(0)
	v_addc_co_u32_e32 v11, vcc, v39, v11, vcc
	global_load_dword v12, v[10:11], off
	s_nop 0
	global_load_dword v10, v[10:11], off
	s_waitcnt vmcnt(0)
	buffer_store_dword v10, off, s[20:23], 0 offset:300 ; 4-byte Folded Spill
	global_load_dword v10, v[2:3], off
	s_nop 0
	global_load_dword v2, v[2:3], off
	s_waitcnt vmcnt(0)
	buffer_store_dword v2, off, s[20:23], 0 offset:304 ; 4-byte Folded Spill
	v_add_f32_e32 v2, v10, v12
	v_mul_f32_e32 v2, v19, v2
	global_store_dword v[4:5], v2, off
	v_add_co_u32_e32 v2, vcc, s0, v52
	v_addc_co_u32_e32 v3, vcc, v57, v53, vcc
	v_add_co_u32_e32 v4, vcc, s0, v6
	v_addc_co_u32_e32 v5, vcc, v57, v7, vcc
	global_load_dword v10, v[4:5], off
	s_nop 0
	global_load_dword v4, v[4:5], off
	v_lshlrev_b64 v[6:7], 2, v[0:1]
	v_add_u32_e32 v0, s4, v0
	v_add_co_u32_e32 v6, vcc, s8, v6
	v_addc_co_u32_e32 v7, vcc, v56, v7, vcc
	s_waitcnt vmcnt(0)
	buffer_store_dword v4, off, s[20:23], 0 offset:180 ; 4-byte Folded Spill
	global_load_dword v4, v[2:3], off
	s_nop 0
	global_load_dword v2, v[2:3], off
	s_waitcnt vmcnt(0)
	buffer_store_dword v2, off, s[20:23], 0 offset:188 ; 4-byte Folded Spill
	v_add_f32_e32 v2, v4, v10
	v_mul_f32_e32 v2, v19, v2
	global_store_dword v[6:7], v2, off
	v_add_co_u32_e32 v2, vcc, s2, v42
	v_addc_co_u32_e32 v3, vcc, v39, v43, vcc
	global_load_dword v6, v[2:3], off
	s_nop 0
	global_load_dword v2, v[2:3], off
	v_lshlrev_b64 v[4:5], 2, v[0:1]
	v_lshl_add_u32 v0, s4, 5, v0
	v_add_co_u32_e32 v4, vcc, s8, v4
	v_addc_co_u32_e32 v5, vcc, v56, v5, vcc
	s_waitcnt vmcnt(0)
	buffer_store_dword v2, off, s[20:23], 0 offset:132 ; 4-byte Folded Spill
	v_mul_f32_e32 v2, v19, v6
	global_store_dword v[4:5], v2, off
	v_lshlrev_b64 v[2:3], 2, v[0:1]
	v_add_u32_e32 v0, s4, v0
	v_add_co_u32_e32 v18, vcc, s0, v2
	v_addc_co_u32_e32 v19, vcc, v57, v3, vcc
	v_add_co_u32_e32 v60, vcc, s2, v2
	v_lshlrev_b64 v[50:51], 2, v[0:1]
	v_add_u32_e32 v0, s4, v0
	v_addc_co_u32_e32 v61, vcc, v39, v3, vcc
	v_lshlrev_b64 v[2:3], 2, v[0:1]
	v_add_u32_e32 v0, s4, v0
	v_add_co_u32_e32 v26, vcc, s0, v2
	v_addc_co_u32_e32 v27, vcc, v57, v3, vcc
	v_add_co_u32_e32 v62, vcc, s2, v2
	v_addc_co_u32_e32 v63, vcc, v39, v3, vcc
	v_lshlrev_b64 v[2:3], 2, v[0:1]
	v_add_u32_e32 v0, s4, v0
	v_add_co_u32_e32 v28, vcc, s0, v2
	v_addc_co_u32_e32 v29, vcc, v57, v3, vcc
	v_add_co_u32_e32 v10, vcc, s2, v2
	;; [unrolled: 6-line block ×3, first 2 shown]
	v_lshlrev_b64 v[42:43], 2, v[0:1]
	v_add_u32_e32 v0, s13, v0
	v_addc_co_u32_e32 v7, vcc, v39, v3, vcc
	v_lshlrev_b64 v[2:3], 2, v[0:1]
	v_add_co_u32_e32 v32, vcc, s0, v2
	v_addc_co_u32_e32 v33, vcc, v57, v3, vcc
	v_add_co_u32_e32 v52, vcc, s2, v2
	v_addc_co_u32_e32 v53, vcc, v39, v3, vcc
	v_mad_u64_u32 v[2:3], s[14:15], s4, 22, v[0:1]
	v_add_u32_e32 v0, s1, v2
	v_lshlrev_b64 v[3:4], 2, v[0:1]
	v_mad_u64_u32 v[36:37], s[14:15], s4, 59, v[0:1]
	v_add_co_u32_e32 v34, vcc, s0, v3
	v_addc_co_u32_e32 v35, vcc, v57, v4, vcc
	v_add_co_u32_e32 v54, vcc, s2, v3
	buffer_load_dword v3, off, s[20:23], 0 offset:196 ; 4-byte Folded Reload
	v_add_u32_e32 v0, s4, v36
	v_lshlrev_b64 v[37:38], 2, v[0:1]
	v_lshl_add_u32 v0, s4, 4, v0
	s_mul_i32 s14, s4, 0xffffff9a
	v_lshlrev_b64 v[48:49], 2, v[0:1]
	v_add_u32_e32 v0, s14, v0
	s_mul_i32 s14, s4, 17
	v_lshlrev_b64 v[40:41], 2, v[0:1]
	v_add_u32_e32 v0, s14, v0
	v_lshlrev_b64 v[46:47], 2, v[0:1]
	v_add_u32_e32 v0, s6, v0
	v_lshlrev_b64 v[12:13], 2, v[0:1]
	v_addc_co_u32_e32 v55, vcc, v39, v4, vcc
	v_add_co_u32_e32 v4, vcc, s2, v12
	v_addc_co_u32_e32 v5, vcc, v39, v13, vcc
	v_add_co_u32_e32 v12, vcc, s0, v12
	;; [unrolled: 2-line block ×4, first 2 shown]
	v_addc_co_u32_e32 v59, vcc, v39, v38, vcc
	v_mov_b32_e32 v37, v1
	s_mul_i32 s15, s4, 0xffffffb5
	v_add_u32_e32 v0, s15, v0
	s_mul_i32 s15, s4, 31
	s_waitcnt vmcnt(0)
	v_add_f32_e32 v3, v3, v9
	global_load_dword v9, v[18:19], off
	global_load_dword v17, v[26:27], off
	;; [unrolled: 1-line block ×4, first 2 shown]
	v_add_co_u32_e32 v18, vcc, s0, v42
	v_addc_co_u32_e32 v19, vcc, v57, v43, vcc
	global_load_dword v22, v[18:19], off
	global_load_dword v23, v[32:33], off
	v_add_co_u32_e32 v18, vcc, s0, v50
	v_addc_co_u32_e32 v19, vcc, v57, v51, vcc
	global_load_dword v24, v[18:19], off
	s_nop 0
	global_load_dword v18, v[18:19], off
	s_waitcnt vmcnt(7)
	v_add_f32_e32 v3, v3, v9
	s_waitcnt vmcnt(1)
	v_add_f32_e32 v3, v3, v24
	v_add_f32_e32 v3, v3, v17
	;; [unrolled: 1-line block ×9, first 2 shown]
	v_mov_b32_e32 v3, v1
	v_lshlrev_b64 v[22:23], 2, v[2:3]
	s_waitcnt vmcnt(0)
	buffer_store_dword v18, off, s[20:23], 0 offset:268 ; 4-byte Folded Spill
	v_add_co_u32_e32 v2, vcc, s0, v22
	v_addc_co_u32_e32 v3, vcc, v57, v23, vcc
	global_load_dword v16, v[2:3], off
	global_load_dword v8, v[34:35], off
	;; [unrolled: 1-line block ×3, first 2 shown]
	v_add_co_u32_e32 v2, vcc, s0, v48
	v_addc_co_u32_e32 v3, vcc, v57, v49, vcc
	global_load_dword v27, v[2:3], off
	s_nop 0
	global_load_dword v2, v[2:3], off
	s_waitcnt vmcnt(0)
	buffer_store_dword v2, off, s[20:23], 0 offset:100 ; 4-byte Folded Spill
	v_lshlrev_b64 v[2:3], 2, v[36:37]
	v_add_co_u32_e32 v18, vcc, s0, v2
	v_addc_co_u32_e32 v19, vcc, v57, v3, vcc
	global_load_dword v28, v[18:19], off
	global_load_dword v9, v[18:19], off
	s_waitcnt vmcnt(0)
	buffer_store_dword v9, off, s[20:23], 0 offset:196 ; 4-byte Folded Spill
	v_add_f32_e32 v9, v15, v16
	v_add_co_u32_e32 v15, vcc, s2, v40
	v_addc_co_u32_e32 v16, vcc, v39, v41, vcc
	v_add_f32_e32 v8, v9, v8
	global_load_dword v9, v[15:16], off
	s_nop 0
	global_load_dword v15, v[4:5], off
	global_load_dword v16, v[60:61], off
	;; [unrolled: 1-line block ×5, first 2 shown]
	v_add_co_u32_e32 v4, vcc, s2, v46
	v_addc_co_u32_e32 v5, vcc, v39, v47, vcc
	global_load_dword v6, v[4:5], off
	s_nop 0
	global_load_dword v4, v[4:5], off
	v_add_f32_e32 v8, v8, v28
	v_add_f32_e32 v8, v8, v26
	;; [unrolled: 1-line block ×3, first 2 shown]
	s_waitcnt vmcnt(0)
	buffer_store_dword v4, off, s[20:23], 0 offset:296 ; 4-byte Folded Spill
	buffer_store_dword v42, off, s[20:23], 0 offset:288 ; 4-byte Folded Spill
	s_nop 0
	buffer_store_dword v43, off, s[20:23], 0 offset:292 ; 4-byte Folded Spill
	v_add_f32_e32 v4, v8, v9
	v_add_f32_e32 v4, v4, v6
	;; [unrolled: 1-line block ×3, first 2 shown]
	v_div_scale_f32 v4, s[16:17], v8, v8, 1.0
	v_rcp_f32_e32 v5, v4
	v_fma_f32 v6, -v4, v5, 1.0
	v_fmac_f32_e32 v5, v6, v5
	v_div_scale_f32 v6, vcc, 1.0, v8, 1.0
	v_mul_f32_e32 v7, v6, v5
	v_fma_f32 v9, -v4, v7, v6
	v_fmac_f32_e32 v7, v9, v5
	v_fma_f32 v4, -v4, v7, v6
	v_div_fmas_f32 v9, v4, v5, v7
	v_lshlrev_b64 v[4:5], 2, v[0:1]
	v_add_u32_e32 v0, s7, v0
	v_add_co_u32_e32 v4, vcc, s8, v4
	v_addc_co_u32_e32 v5, vcc, v56, v5, vcc
	v_add_co_u32_e32 v6, vcc, s2, v50
	v_addc_co_u32_e32 v7, vcc, v39, v51, vcc
	v_div_fixup_f32 v8, v9, v8, 1.0
	v_add_co_u32_e32 v10, vcc, s2, v42
	v_addc_co_u32_e32 v11, vcc, v39, v43, vcc
	global_load_dword v15, v[10:11], off
	global_load_dword v20, v[52:53], off
	s_nop 0
	buffer_store_dword v40, off, s[20:23], 0 offset:216 ; 4-byte Folded Spill
	s_nop 0
	buffer_store_dword v41, off, s[20:23], 0 offset:220 ; 4-byte Folded Spill
	v_add_co_u32_e32 v10, vcc, s0, v40
	v_addc_co_u32_e32 v11, vcc, v57, v41, vcc
	global_load_dword v21, v[10:11], off
	s_nop 0
	buffer_store_dword v22, off, s[20:23], 0 offset:116 ; 4-byte Folded Spill
	s_nop 0
	buffer_store_dword v23, off, s[20:23], 0 offset:120 ; 4-byte Folded Spill
	v_add_co_u32_e32 v10, vcc, s2, v22
	v_addc_co_u32_e32 v11, vcc, v39, v23, vcc
	global_load_dword v10, v[10:11], off
	s_nop 0
	global_load_dword v11, v[54:55], off
	s_nop 0
	;; [unrolled: 2-line block ×3, first 2 shown]
	global_load_dword v13, v[58:59], off
	global_load_dword v38, v[6:7], off
	v_add_f32_e32 v6, v16, v17
	v_add_f32_e32 v6, v6, v18
	;; [unrolled: 1-line block ×3, first 2 shown]
	s_waitcnt vmcnt(11)
	v_add_f32_e32 v6, v6, v15
	s_waitcnt vmcnt(10)
	v_add_f32_e32 v6, v6, v20
	;; [unrolled: 2-line block ×7, first 2 shown]
	v_mul_f32_e32 v6, v8, v6
	global_store_dword v[4:5], v6, off
	buffer_load_dword v4, off, s[20:23], 0 offset:260 ; 4-byte Folded Reload
	s_nop 0
	buffer_load_dword v5, off, s[20:23], 0 offset:264 ; 4-byte Folded Reload
	buffer_load_dword v6, off, s[20:23], 0 offset:248 ; 4-byte Folded Reload
	s_waitcnt vmcnt(2)
	v_add_co_u32_e32 v4, vcc, s8, v4
	s_waitcnt vmcnt(1)
	v_addc_co_u32_e32 v5, vcc, v56, v5, vcc
	s_waitcnt vmcnt(0)
	v_mul_f32_e32 v6, v8, v6
	global_store_dword v[4:5], v6, off
	buffer_load_dword v4, off, s[20:23], 0 offset:280 ; 4-byte Folded Reload
	s_nop 0
	buffer_load_dword v5, off, s[20:23], 0 offset:284 ; 4-byte Folded Reload
	buffer_load_dword v6, off, s[20:23], 0 offset:324 ; 4-byte Folded Reload
	;; [unrolled: 1-line block ×3, first 2 shown]
	s_waitcnt vmcnt(3)
	v_add_co_u32_e32 v4, vcc, s8, v4
	s_waitcnt vmcnt(1)
	v_add_f32_e32 v6, v14, v6
	s_waitcnt vmcnt(0)
	v_add_f32_e32 v6, v6, v7
	buffer_load_dword v7, off, s[20:23], 0 offset:308 ; 4-byte Folded Reload
	v_addc_co_u32_e32 v5, vcc, v56, v5, vcc
	s_waitcnt vmcnt(0)
	v_add_f32_e32 v6, v6, v7
	v_mul_f32_e32 v6, v8, v6
	global_store_dword v[4:5], v6, off
	buffer_load_dword v4, off, s[20:23], 0 offset:208 ; 4-byte Folded Reload
	s_nop 0
	buffer_load_dword v5, off, s[20:23], 0 offset:212 ; 4-byte Folded Reload
	v_mul_f32_e32 v6, v8, v38
	s_waitcnt vmcnt(1)
	v_add_co_u32_e32 v4, vcc, s8, v4
	s_waitcnt vmcnt(0)
	v_addc_co_u32_e32 v5, vcc, v56, v5, vcc
	global_store_dword v[4:5], v6, off
	buffer_load_dword v4, off, s[20:23], 0 offset:272 ; 4-byte Folded Reload
	s_nop 0
	buffer_load_dword v5, off, s[20:23], 0 offset:276 ; 4-byte Folded Reload
	s_nop 0
	buffer_store_dword v46, off, s[20:23], 0 offset:124 ; 4-byte Folded Spill
	s_nop 0
	buffer_store_dword v47, off, s[20:23], 0 offset:128 ; 4-byte Folded Spill
	s_waitcnt vmcnt(3)
	v_add_co_u32_e32 v4, vcc, s8, v4
	s_waitcnt vmcnt(2)
	v_addc_co_u32_e32 v5, vcc, v56, v5, vcc
	v_add_co_u32_e32 v6, vcc, s0, v46
	v_addc_co_u32_e32 v7, vcc, v57, v47, vcc
	global_load_dword v9, v[6:7], off
	s_nop 0
	global_load_dword v6, v[6:7], off
	v_add_co_u32_e32 v2, vcc, s2, v2
	v_addc_co_u32_e32 v3, vcc, v39, v3, vcc
	s_waitcnt vmcnt(0)
	buffer_store_dword v6, off, s[20:23], 0 offset:280 ; 4-byte Folded Spill
	v_mul_f32_e32 v6, v8, v9
	global_store_dword v[4:5], v6, off
	buffer_load_dword v4, off, s[20:23], 0 offset:156 ; 4-byte Folded Reload
	s_nop 0
	buffer_load_dword v5, off, s[20:23], 0 offset:160 ; 4-byte Folded Reload
	s_waitcnt vmcnt(1)
	v_add_co_u32_e32 v4, vcc, s8, v4
	s_waitcnt vmcnt(0)
	v_addc_co_u32_e32 v5, vcc, v56, v5, vcc
	v_add_co_u32_e32 v6, vcc, s2, v48
	v_addc_co_u32_e32 v7, vcc, v39, v49, vcc
	global_load_dword v9, v[2:3], off
	global_load_dword v10, v[6:7], off
	s_nop 0
	global_load_dword v2, v[2:3], off
	s_waitcnt vmcnt(1)
	buffer_store_dword v10, off, s[20:23], 0 offset:156 ; 4-byte Folded Spill
	s_waitcnt vmcnt(1)
	buffer_store_dword v2, off, s[20:23], 0 offset:272 ; 4-byte Folded Spill
	v_mul_f32_e32 v2, v8, v9
	global_store_dword v[4:5], v2, off
	global_load_dword v2, v[6:7], off
	s_waitcnt vmcnt(0)
	v_mul_f32_e32 v6, v8, v2
	v_lshlrev_b64 v[2:3], 2, v[0:1]
	v_add_u32_e32 v0, s4, v0
	v_add_co_u32_e32 v4, vcc, s8, v2
	v_addc_co_u32_e32 v5, vcc, v56, v3, vcc
	v_add_co_u32_e32 v62, vcc, s0, v2
	v_addc_co_u32_e32 v63, vcc, v57, v3, vcc
	;; [unrolled: 2-line block ×3, first 2 shown]
	v_lshlrev_b64 v[2:3], 2, v[0:1]
	v_add_u32_e32 v0, s4, v0
	v_add_co_u32_e32 v14, vcc, s0, v2
	v_addc_co_u32_e32 v15, vcc, v57, v3, vcc
	v_add_co_u32_e32 v32, vcc, s2, v2
	v_addc_co_u32_e32 v33, vcc, v39, v3, vcc
	v_lshlrev_b64 v[2:3], 2, v[0:1]
	v_add_u32_e32 v0, s4, v0
	v_lshlrev_b64 v[40:41], 2, v[0:1]
	v_add_u32_e32 v0, s4, v0
	;; [unrolled: 2-line block ×4, first 2 shown]
	global_store_dword v[4:5], v6, off
	v_mad_u64_u32 v[4:5], s[16:17], s4, 41, v[0:1]
	v_lshlrev_b64 v[48:49], 2, v[0:1]
	v_add_co_u32_e32 v46, vcc, s0, v2
	v_add_u32_e32 v0, s4, v4
	v_lshlrev_b64 v[6:7], 2, v[0:1]
	v_add_u32_e32 v0, s15, v0
	v_mad_u64_u32 v[12:13], s[16:17], s4, 44, v[0:1]
	v_mov_b32_e32 v13, v1
	v_addc_co_u32_e32 v47, vcc, v57, v3, vcc
	v_mad_u64_u32 v[36:37], s[16:17], s4, 25, v[12:13]
	v_lshlrev_b64 v[60:61], 2, v[0:1]
	v_add_co_u32_e32 v30, vcc, s2, v2
	v_add_u32_e32 v0, s18, v36
	v_lshlrev_b64 v[10:11], 2, v[0:1]
	v_addc_co_u32_e32 v31, vcc, v39, v3, vcc
	v_add_co_u32_e32 v28, vcc, s2, v10
	v_addc_co_u32_e32 v29, vcc, v39, v11, vcc
	v_add_u32_e32 v0, s4, v0
	v_add_co_u32_e32 v2, vcc, s0, v10
	v_lshlrev_b64 v[50:51], 2, v[0:1]
	v_add_u32_e32 v0, s4, v0
	v_addc_co_u32_e32 v3, vcc, v57, v11, vcc
	v_lshlrev_b64 v[10:11], 2, v[0:1]
	buffer_store_dword v2, off, s[20:23], 0 offset:208 ; 4-byte Folded Spill
	s_nop 0
	buffer_store_dword v3, off, s[20:23], 0 offset:212 ; 4-byte Folded Spill
	v_add_co_u32_e32 v26, vcc, s2, v10
	v_addc_co_u32_e32 v27, vcc, v39, v11, vcc
	v_add_co_u32_e32 v2, vcc, s0, v10
	v_add_u32_e32 v0, s4, v0
	v_addc_co_u32_e32 v3, vcc, v57, v11, vcc
	v_lshlrev_b64 v[10:11], 2, v[0:1]
	buffer_store_dword v2, off, s[20:23], 0 offset:308 ; 4-byte Folded Spill
	s_nop 0
	buffer_store_dword v3, off, s[20:23], 0 offset:312 ; 4-byte Folded Spill
	v_add_co_u32_e32 v24, vcc, s2, v10
	v_addc_co_u32_e32 v25, vcc, v39, v11, vcc
	v_add_u32_e32 v0, s4, v0
	v_add_co_u32_e32 v2, vcc, s0, v10
	v_lshlrev_b64 v[18:19], 2, v[0:1]
	v_addc_co_u32_e32 v3, vcc, v57, v11, vcc
	v_add_co_u32_e32 v22, vcc, s2, v18
	buffer_store_dword v2, off, s[20:23], 0 offset:316 ; 4-byte Folded Spill
	s_nop 0
	buffer_store_dword v3, off, s[20:23], 0 offset:320 ; 4-byte Folded Spill
	v_addc_co_u32_e32 v23, vcc, v39, v19, vcc
	v_add_co_u32_e32 v2, vcc, s0, v18
	v_addc_co_u32_e32 v3, vcc, v57, v19, vcc
	v_add_co_u32_e32 v8, vcc, s0, v6
	buffer_store_dword v2, off, s[20:23], 0 offset:324 ; 4-byte Folded Spill
	s_nop 0
	buffer_store_dword v3, off, s[20:23], 0 offset:328 ; 4-byte Folded Spill
	v_addc_co_u32_e32 v9, vcc, v57, v7, vcc
	v_add_co_u32_e32 v2, vcc, s2, v6
	v_addc_co_u32_e32 v3, vcc, v39, v7, vcc
	v_mad_u64_u32 v[6:7], s[16:17], s4, 14, v[0:1]
	v_mov_b32_e32 v7, v1
	buffer_store_dword v2, off, s[20:23], 0 offset:332 ; 4-byte Folded Spill
	s_nop 0
	buffer_store_dword v3, off, s[20:23], 0 offset:336 ; 4-byte Folded Spill
	v_lshlrev_b64 v[18:19], 2, v[6:7]
	v_mad_u64_u32 v[10:11], s[16:17], s4, 50, v[6:7]
	v_add_co_u32_e32 v20, vcc, s2, v18
	v_addc_co_u32_e32 v21, vcc, v39, v19, vcc
	v_add_co_u32_e32 v2, vcc, s0, v18
	v_addc_co_u32_e32 v3, vcc, v57, v19, vcc
	buffer_store_dword v2, off, s[20:23], 0 offset:356 ; 4-byte Folded Spill
	s_nop 0
	buffer_store_dword v3, off, s[20:23], 0 offset:360 ; 4-byte Folded Spill
	buffer_load_dword v2, off, s[20:23], 0 offset:48 ; 4-byte Folded Reload
	s_nop 0
	buffer_load_dword v3, off, s[20:23], 0 offset:52 ; 4-byte Folded Reload
	v_mov_b32_e32 v11, v1
	v_mad_u64_u32 v[16:17], s[16:17], s4, 9, v[10:11]
	v_mov_b32_e32 v37, v1
	v_lshlrev_b64 v[36:37], 2, v[36:37]
	v_add_u32_e32 v0, s6, v16
	v_lshlrev_b64 v[52:53], 2, v[0:1]
	v_mov_b32_e32 v5, v1
	v_lshlrev_b64 v[54:55], 2, v[4:5]
	s_mul_i32 s6, s4, 0xffffffc1
	v_add_u32_e32 v0, s6, v0
	s_mul_i32 s6, s4, 0xffffffe2
	s_waitcnt vmcnt(1)
	v_add_co_u32_e32 v58, vcc, s2, v2
	s_waitcnt vmcnt(0)
	v_addc_co_u32_e32 v59, vcc, v39, v3, vcc
	v_add_co_u32_e32 v18, vcc, s2, v52
	v_addc_co_u32_e32 v19, vcc, v39, v53, vcc
	v_add_co_u32_e32 v2, vcc, s0, v52
	v_addc_co_u32_e32 v3, vcc, v57, v53, vcc
	buffer_store_dword v2, off, s[20:23], 0 offset:340 ; 4-byte Folded Spill
	s_nop 0
	buffer_store_dword v3, off, s[20:23], 0 offset:344 ; 4-byte Folded Spill
	buffer_load_dword v2, off, s[20:23], 0 offset:40 ; 4-byte Folded Reload
	s_nop 0
	buffer_load_dword v3, off, s[20:23], 0 offset:44 ; 4-byte Folded Reload
	s_waitcnt vmcnt(1)
	v_add_co_u32_e32 v52, vcc, s2, v2
	s_waitcnt vmcnt(0)
	v_addc_co_u32_e32 v53, vcc, v39, v3, vcc
	v_add_co_u32_e32 v6, vcc, s0, v36
	v_addc_co_u32_e32 v7, vcc, v57, v37, vcc
	v_add_co_u32_e32 v2, vcc, s2, v36
	v_addc_co_u32_e32 v3, vcc, v39, v37, vcc
	buffer_store_dword v2, off, s[20:23], 0 offset:348 ; 4-byte Folded Spill
	s_nop 0
	buffer_store_dword v3, off, s[20:23], 0 offset:352 ; 4-byte Folded Spill
	buffer_load_dword v2, off, s[20:23], 0 offset:56 ; 4-byte Folded Reload
	s_nop 0
	buffer_load_dword v3, off, s[20:23], 0 offset:60 ; 4-byte Folded Reload
	global_load_dword v17, v[62:63], off
	s_nop 0
	global_load_dword v62, v[14:15], off
	s_nop 0
	global_load_dword v46, v[46:47], off
	s_waitcnt vmcnt(4)
	v_add_co_u32_e32 v36, vcc, s0, v2
	s_waitcnt vmcnt(3)
	v_addc_co_u32_e32 v37, vcc, v57, v3, vcc
	v_add_co_u32_e32 v14, vcc, s0, v40
	v_addc_co_u32_e32 v15, vcc, v57, v41, vcc
	global_load_dword v47, v[14:15], off
	v_add_co_u32_e32 v14, vcc, s0, v42
	v_addc_co_u32_e32 v15, vcc, v57, v43, vcc
	global_load_dword v63, v[14:15], off
	;; [unrolled: 3-line block ×3, first 2 shown]
	v_add_co_u32_e32 v14, vcc, s0, v48
	v_addc_co_u32_e32 v15, vcc, v57, v49, vcc
	v_add_co_u32_e32 v4, vcc, s0, v54
	global_load_dword v3, v[14:15], off
	v_addc_co_u32_e32 v5, vcc, v57, v55, vcc
	global_load_dword v4, v[4:5], off
	s_waitcnt vmcnt(6)
	v_add_f32_e32 v5, v17, v62
	s_waitcnt vmcnt(5)
	v_add_f32_e32 v5, v5, v46
	v_mov_b32_e32 v17, v1
	s_waitcnt vmcnt(4)
	v_add_f32_e32 v5, v5, v47
	s_waitcnt vmcnt(3)
	v_add_f32_e32 v5, v5, v63
	v_lshlrev_b64 v[62:63], 2, v[12:13]
	s_waitcnt vmcnt(2)
	v_add_f32_e32 v2, v5, v2
	global_load_dword v5, v[8:9], off
	s_nop 0
	global_load_dword v6, v[6:7], off
	s_waitcnt vmcnt(3)
	v_add_f32_e32 v2, v2, v3
	s_waitcnt vmcnt(2)
	v_add_f32_e32 v4, v2, v4
	v_add_co_u32_e32 v2, vcc, s0, v62
	v_addc_co_u32_e32 v3, vcc, v57, v63, vcc
	global_load_dword v7, v[2:3], off
	s_nop 0
	global_load_dword v2, v[2:3], off
	s_waitcnt vmcnt(0)
	buffer_store_dword v2, off, s[20:23], 0 offset:48 ; 4-byte Folded Spill
	v_add_co_u32_e32 v2, vcc, s0, v60
	v_addc_co_u32_e32 v3, vcc, v57, v61, vcc
	global_load_dword v8, v[2:3], off
	s_nop 0
	global_load_dword v2, v[2:3], off
	s_nop 0
	buffer_load_dword v3, off, s[20:23], 0 offset:256 ; 4-byte Folded Reload
	s_waitcnt vmcnt(1)
	buffer_store_dword v2, off, s[20:23], 0 offset:260 ; 4-byte Folded Spill
	v_add_f32_e32 v2, v4, v5
	v_add_f32_e32 v2, v2, v8
	;; [unrolled: 1-line block ×4, first 2 shown]
	s_waitcnt vmcnt(1)
	v_add_f32_e32 v2, v2, v3
	buffer_load_dword v3, off, s[20:23], 0 offset:244 ; 4-byte Folded Reload
	v_lshlrev_b64 v[4:5], 2, v[10:11]
	global_load_dword v7, v[28:29], off
	s_waitcnt vmcnt(1)
	v_add_f32_e32 v2, v2, v3
	buffer_load_dword v3, off, s[20:23], 0 offset:240 ; 4-byte Folded Reload
	s_waitcnt vmcnt(0)
	v_add_f32_e32 v2, v2, v3
	buffer_load_dword v3, off, s[20:23], 0 offset:304 ; 4-byte Folded Reload
	;; [unrolled: 3-line block ×3, first 2 shown]
	s_waitcnt vmcnt(0)
	v_add_f32_e32 v2, v2, v3
	v_add_f32_e32 v6, v2, v38
	v_add_co_u32_e32 v2, vcc, s2, v50
	v_addc_co_u32_e32 v3, vcc, v39, v51, vcc
	global_load_dword v8, v[2:3], off
	global_load_dword v9, v[26:27], off
	;; [unrolled: 1-line block ×5, first 2 shown]
	v_add_co_u32_e32 v2, vcc, s2, v4
	v_addc_co_u32_e32 v3, vcc, v39, v5, vcc
	global_load_dword v10, v[2:3], off
	s_nop 0
	global_load_dword v2, v[2:3], off
	s_waitcnt vmcnt(0)
	buffer_store_dword v2, off, s[20:23], 0 offset:240 ; 4-byte Folded Spill
	v_add_f32_e32 v2, v6, v7
	v_add_f32_e32 v2, v2, v8
	;; [unrolled: 1-line block ×7, first 2 shown]
	v_add_co_u32_e32 v2, vcc, s2, v40
	v_addc_co_u32_e32 v3, vcc, v39, v41, vcc
	global_load_dword v13, v[18:19], off
	global_load_dword v8, v[34:35], off
	;; [unrolled: 1-line block ×5, first 2 shown]
	v_add_co_u32_e32 v2, vcc, s2, v42
	v_addc_co_u32_e32 v3, vcc, v39, v43, vcc
	global_load_dword v12, v[2:3], off
	v_lshlrev_b64 v[2:3], 2, v[16:17]
	v_add_co_u32_e32 v16, vcc, s2, v2
	v_addc_co_u32_e32 v17, vcc, v39, v3, vcc
	global_load_dword v15, v[16:17], off
	global_load_dword v7, v[16:17], off
	s_waitcnt vmcnt(5)
	v_add_f32_e32 v8, v8, v9
	s_waitcnt vmcnt(4)
	v_add_f32_e32 v8, v8, v10
	;; [unrolled: 2-line block ×5, first 2 shown]
	v_add_f32_e32 v15, v6, v13
	v_div_scale_f32 v6, s[16:17], v15, v15, 1.0
	s_waitcnt vmcnt(0)
	buffer_store_dword v7, off, s[20:23], 0 offset:40 ; 4-byte Folded Spill
	v_rcp_f32_e32 v7, v6
	v_fma_f32 v13, -v6, v7, 1.0
	v_fmac_f32_e32 v7, v13, v7
	v_div_scale_f32 v13, vcc, 1.0, v15, 1.0
	v_mul_f32_e32 v14, v13, v7
	v_fma_f32 v16, -v6, v14, v13
	v_fmac_f32_e32 v14, v16, v7
	v_fma_f32 v6, -v6, v14, v13
	v_div_fmas_f32 v16, v6, v7, v14
	v_add_co_u32_e32 v6, vcc, s8, v40
	v_addc_co_u32_e32 v7, vcc, v56, v41, vcc
	v_add_co_u32_e32 v13, vcc, s2, v44
	v_addc_co_u32_e32 v14, vcc, v39, v45, vcc
	global_load_dword v17, v[13:14], off
	v_add_co_u32_e32 v13, vcc, s2, v48
	v_addc_co_u32_e32 v14, vcc, v39, v49, vcc
	global_load_dword v18, v[13:14], off
	s_nop 0
	buffer_load_dword v13, off, s[20:23], 0 offset:208 ; 4-byte Folded Reload
	buffer_load_dword v14, off, s[20:23], 0 offset:212 ; 4-byte Folded Reload
	s_waitcnt vmcnt(3)
	v_add_f32_e32 v8, v8, v17
	s_waitcnt vmcnt(2)
	v_add_f32_e32 v8, v8, v18
	s_waitcnt vmcnt(0)
	global_load_dword v19, v[13:14], off
	v_add_co_u32_e32 v13, vcc, s0, v50
	v_addc_co_u32_e32 v14, vcc, v57, v51, vcc
	global_load_dword v20, v[13:14], off
	s_nop 0
	buffer_load_dword v13, off, s[20:23], 0 offset:308 ; 4-byte Folded Reload
	buffer_load_dword v14, off, s[20:23], 0 offset:312 ; 4-byte Folded Reload
	s_waitcnt vmcnt(3)
	v_add_f32_e32 v8, v8, v19
	s_waitcnt vmcnt(2)
	v_add_f32_e32 v8, v8, v20
	s_waitcnt vmcnt(0)
	global_load_dword v21, v[13:14], off
	s_nop 0
	buffer_load_dword v13, off, s[20:23], 0 offset:316 ; 4-byte Folded Reload
	buffer_load_dword v14, off, s[20:23], 0 offset:320 ; 4-byte Folded Reload
	s_waitcnt vmcnt(2)
	v_add_f32_e32 v8, v8, v21
	s_waitcnt vmcnt(0)
	global_load_dword v22, v[13:14], off
	s_nop 0
	buffer_load_dword v13, off, s[20:23], 0 offset:324 ; 4-byte Folded Reload
	buffer_load_dword v14, off, s[20:23], 0 offset:328 ; 4-byte Folded Reload
	s_waitcnt vmcnt(2)
	v_add_f32_e32 v8, v8, v22
	s_waitcnt vmcnt(0)
	global_load_dword v23, v[13:14], off
	s_nop 0
	buffer_store_dword v54, off, s[20:23], 0 offset:248 ; 4-byte Folded Spill
	s_nop 0
	buffer_store_dword v55, off, s[20:23], 0 offset:252 ; 4-byte Folded Spill
	v_add_co_u32_e32 v13, vcc, s2, v54
	v_addc_co_u32_e32 v14, vcc, v39, v55, vcc
	global_load_dword v13, v[13:14], off
	s_nop 0
	buffer_load_dword v24, off, s[20:23], 0 offset:332 ; 4-byte Folded Reload
	buffer_load_dword v25, off, s[20:23], 0 offset:336 ; 4-byte Folded Reload
	s_waitcnt vmcnt(5)
	v_add_f32_e32 v8, v8, v23
	s_waitcnt vmcnt(2)
	v_add_f32_e32 v8, v8, v13
	s_waitcnt vmcnt(0)
	global_load_dword v14, v[24:25], off
	s_nop 0
	buffer_load_dword v24, off, s[20:23], 0 offset:356 ; 4-byte Folded Reload
	buffer_load_dword v25, off, s[20:23], 0 offset:360 ; 4-byte Folded Reload
	s_waitcnt vmcnt(2)
	v_add_f32_e32 v8, v8, v14
	s_waitcnt vmcnt(0)
	global_load_dword v24, v[24:25], off
	s_nop 0
	buffer_load_dword v9, off, s[20:23], 0 offset:340 ; 4-byte Folded Reload
	buffer_load_dword v10, off, s[20:23], 0 offset:344 ; 4-byte Folded Reload
	s_waitcnt vmcnt(0)
	global_load_dword v9, v[9:10], off
	s_nop 0
	global_load_dword v10, v[58:59], off
	global_load_dword v11, v[58:59], off
	v_add_f32_e32 v8, v8, v24
	s_waitcnt vmcnt(1)
	v_add_f32_e32 v8, v8, v10
	s_waitcnt vmcnt(0)
	buffer_store_dword v11, off, s[20:23], 0 offset:244 ; 4-byte Folded Spill
	v_add_f32_e32 v8, v8, v9
	buffer_load_dword v9, off, s[20:23], 0 offset:348 ; 4-byte Folded Reload
	buffer_load_dword v10, off, s[20:23], 0 offset:352 ; 4-byte Folded Reload
	s_waitcnt vmcnt(0)
	global_load_dword v9, v[9:10], off
	s_nop 0
	global_load_dword v10, v[52:53], off
	global_load_dword v11, v[52:53], off
	s_waitcnt vmcnt(1)
	v_add_f32_e32 v8, v8, v10
	s_waitcnt vmcnt(0)
	buffer_store_dword v11, off, s[20:23], 0 offset:208 ; 4-byte Folded Spill
	v_add_f32_e32 v8, v8, v9
	global_load_dword v9, v[36:37], off
	global_load_dword v10, v[36:37], off
	s_waitcnt vmcnt(1)
	v_add_f32_e32 v8, v8, v9
	s_waitcnt vmcnt(0)
	buffer_store_dword v10, off, s[20:23], 0 offset:56 ; 4-byte Folded Spill
	v_div_fixup_f32 v10, v16, v15, 1.0
	v_mul_f32_e32 v8, v10, v8
	global_store_dword v[6:7], v8, off
	buffer_load_dword v8, off, s[20:23], 0 offset:32 ; 4-byte Folded Reload
	s_nop 0
	buffer_load_dword v9, off, s[20:23], 0 offset:80 ; 4-byte Folded Reload
	v_add_co_u32_e32 v6, vcc, s8, v42
	v_addc_co_u32_e32 v7, vcc, v56, v43, vcc
	s_waitcnt vmcnt(0)
	v_add_f32_e32 v8, v9, v8
	buffer_load_dword v9, off, s[20:23], 0 offset:112 ; 4-byte Folded Reload
	s_waitcnt vmcnt(0)
	v_add_f32_e32 v8, v8, v9
	v_mul_f32_e32 v8, v10, v8
	global_store_dword v[6:7], v8, off
	buffer_load_dword v8, off, s[20:23], 0 offset:200 ; 4-byte Folded Reload
	s_nop 0
	buffer_load_dword v9, off, s[20:23], 0 offset:204 ; 4-byte Folded Reload
	v_add_co_u32_e32 v6, vcc, s8, v44
	v_addc_co_u32_e32 v7, vcc, v56, v45, vcc
	s_waitcnt vmcnt(0)
	v_add_f32_e32 v8, v9, v8
	v_mul_f32_e32 v8, v10, v8
	global_store_dword v[6:7], v8, off
	buffer_load_dword v8, off, s[20:23], 0 offset:268 ; 4-byte Folded Reload
	v_add_co_u32_e32 v6, vcc, s8, v48
	v_addc_co_u32_e32 v7, vcc, v56, v49, vcc
	s_waitcnt vmcnt(0)
	v_mul_f32_e32 v8, v10, v8
	global_store_dword v[6:7], v8, off
	v_add_co_u32_e32 v6, vcc, s2, v60
	v_addc_co_u32_e32 v7, vcc, v39, v61, vcc
	v_add_co_u32_e32 v4, vcc, s0, v4
	v_addc_co_u32_e32 v5, vcc, v57, v5, vcc
	buffer_load_dword v8, off, s[20:23], 0 offset:16 ; 4-byte Folded Reload
	buffer_load_dword v9, off, s[20:23], 0 offset:20 ; 4-byte Folded Reload
	global_load_dword v11, v[4:5], off
	s_nop 0
	global_load_dword v4, v[4:5], off
	s_waitcnt vmcnt(3)
	v_add_co_u32_e32 v8, vcc, s8, v8
	s_waitcnt vmcnt(0)
	buffer_store_dword v4, off, s[20:23], 0 offset:200 ; 4-byte Folded Spill
	global_load_dword v4, v[6:7], off
	s_nop 0
	global_load_dword v5, v[6:7], off
	v_addc_co_u32_e32 v9, vcc, v56, v9, vcc
	s_waitcnt vmcnt(1)
	v_add_f32_e32 v4, v4, v11
	v_mul_f32_e32 v4, v10, v4
	global_store_dword v[8:9], v4, off
	v_add_co_u32_e32 v4, vcc, s2, v62
	s_waitcnt vmcnt(1)
	buffer_store_dword v5, off, s[20:23], 0 offset:112 ; 4-byte Folded Spill
	v_addc_co_u32_e32 v5, vcc, v39, v63, vcc
	buffer_load_dword v6, off, s[20:23], 0 offset:232 ; 4-byte Folded Reload
	buffer_load_dword v7, off, s[20:23], 0 offset:236 ; 4-byte Folded Reload
	global_load_dword v8, v[4:5], off
	s_nop 0
	global_load_dword v4, v[4:5], off
	s_waitcnt vmcnt(3)
	v_add_co_u32_e32 v6, vcc, s8, v6
	s_waitcnt vmcnt(2)
	v_addc_co_u32_e32 v7, vcc, v56, v7, vcc
	s_waitcnt vmcnt(0)
	buffer_store_dword v4, off, s[20:23], 0 offset:80 ; 4-byte Folded Spill
	v_mul_f32_e32 v4, v10, v8
	global_store_dword v[6:7], v4, off
	buffer_load_dword v4, off, s[20:23], 0 offset:224 ; 4-byte Folded Reload
	s_nop 0
	buffer_load_dword v5, off, s[20:23], 0 offset:228 ; 4-byte Folded Reload
	v_add_co_u32_e32 v2, vcc, s0, v2
	v_addc_co_u32_e32 v3, vcc, v57, v3, vcc
	v_lshlrev_b64 v[8:9], 2, v[0:1]
	v_add_u32_e32 v0, s4, v0
	v_lshlrev_b64 v[14:15], 2, v[0:1]
	v_add_u32_e32 v0, s9, v0
	;; [unrolled: 2-line block ×3, first 2 shown]
	v_mov_b32_e32 v31, v17
	v_mov_b32_e32 v30, v16
	s_waitcnt vmcnt(1)
	v_add_co_u32_e32 v4, vcc, s8, v4
	s_waitcnt vmcnt(0)
	v_addc_co_u32_e32 v5, vcc, v56, v5, vcc
	v_add_co_u32_e32 v6, vcc, s0, v14
	v_addc_co_u32_e32 v7, vcc, v57, v15, vcc
	v_add_co_u32_e32 v12, vcc, s0, v16
	v_addc_co_u32_e32 v13, vcc, v57, v17, vcc
	v_lshlrev_b64 v[16:17], 2, v[0:1]
	v_add_u32_e32 v0, s4, v0
	global_load_dword v6, v[6:7], off
	v_lshlrev_b64 v[18:19], 2, v[0:1]
	global_load_dword v7, v[12:13], off
	v_add_co_u32_e32 v12, vcc, s0, v16
	v_addc_co_u32_e32 v13, vcc, v57, v17, vcc
	v_add_co_u32_e32 v20, vcc, s0, v18
	v_addc_co_u32_e32 v21, vcc, v57, v19, vcc
	global_load_dword v12, v[12:13], off
	s_nop 0
	global_load_dword v13, v[20:21], off
	global_load_dword v11, v[2:3], off
	s_nop 0
	global_load_dword v2, v[2:3], off
	v_add_u32_e32 v0, s6, v0
	s_mul_i32 s6, s4, 20
	s_waitcnt vmcnt(0)
	buffer_store_dword v2, off, s[20:23], 0 offset:16 ; 4-byte Folded Spill
	v_mul_f32_e32 v2, v10, v11
	global_store_dword v[4:5], v2, off
	v_lshlrev_b64 v[2:3], 2, v[0:1]
	v_add_u32_e32 v0, s12, v0
	v_add_co_u32_e32 v20, vcc, s2, v2
	v_addc_co_u32_e32 v21, vcc, v39, v3, vcc
	v_add_co_u32_e32 v2, vcc, s0, v2
	v_lshlrev_b64 v[4:5], 2, v[0:1]
	v_addc_co_u32_e32 v3, vcc, v57, v3, vcc
	v_add_co_u32_e32 v22, vcc, s2, v4
	v_addc_co_u32_e32 v23, vcc, v39, v5, vcc
	v_add_u32_e32 v0, s11, v0
	v_add_co_u32_e32 v4, vcc, s0, v4
	v_lshlrev_b64 v[24:25], 2, v[0:1]
	v_addc_co_u32_e32 v5, vcc, v57, v5, vcc
	v_add_co_u32_e32 v26, vcc, s2, v24
	v_addc_co_u32_e32 v27, vcc, v39, v25, vcc
	v_add_co_u32_e32 v24, vcc, s0, v24
	;; [unrolled: 2-line block ×3, first 2 shown]
	v_addc_co_u32_e32 v29, vcc, v57, v9, vcc
	global_load_dword v10, v[28:29], off
	global_load_dword v11, v[20:21], off
	s_nop 0
	global_load_dword v20, v[22:23], off
	global_load_dword v21, v[26:27], off
	v_add_co_u32_e32 v8, vcc, s2, v8
	v_addc_co_u32_e32 v9, vcc, v39, v9, vcc
	v_add_co_u32_e32 v14, vcc, s2, v14
	v_addc_co_u32_e32 v15, vcc, v39, v15, vcc
	;; [unrolled: 2-line block ×4, first 2 shown]
	v_add_u32_e32 v0, s5, v0
	s_mul_i32 s5, s4, 21
	s_waitcnt vmcnt(3)
	v_add_f32_e32 v6, v10, v6
	buffer_load_dword v10, off, s[20:23], 0 offset:280 ; 4-byte Folded Reload
	s_waitcnt vmcnt(0)
	v_add_f32_e32 v6, v6, v10
	v_add_f32_e32 v6, v6, v7
	;; [unrolled: 1-line block ×7, first 2 shown]
	v_div_scale_f32 v6, s[16:17], v10, v10, 1.0
	v_rcp_f32_e32 v7, v6
	v_fma_f32 v11, -v6, v7, 1.0
	v_fmac_f32_e32 v7, v11, v7
	v_div_scale_f32 v11, vcc, 1.0, v10, 1.0
	v_mul_f32_e32 v12, v11, v7
	v_fma_f32 v13, -v6, v12, v11
	v_fmac_f32_e32 v12, v13, v7
	v_fma_f32 v6, -v6, v12, v11
	v_div_fmas_f32 v11, v6, v7, v12
	buffer_load_dword v6, off, s[20:23], 0 offset:172 ; 4-byte Folded Reload
	buffer_load_dword v7, off, s[20:23], 0 offset:176 ; 4-byte Folded Reload
	global_load_dword v12, v[2:3], off
	s_nop 0
	global_load_dword v4, v[4:5], off
	s_nop 0
	;; [unrolled: 2-line block ×5, first 2 shown]
	buffer_store_dword v30, off, s[20:23], 0 offset:32 ; 4-byte Folded Spill
	s_nop 0
	buffer_store_dword v31, off, s[20:23], 0 offset:36 ; 4-byte Folded Spill
	s_waitcnt vmcnt(5)
	v_add_f32_e32 v4, v12, v4
	v_add_co_u32_e32 v6, vcc, s8, v6
	v_addc_co_u32_e32 v7, vcc, v56, v7, vcc
	v_add_co_u32_e32 v2, vcc, s2, v30
	v_addc_co_u32_e32 v3, vcc, v39, v31, vcc
	global_load_dword v2, v[2:3], off
	s_nop 0
	global_load_dword v3, v[16:17], off
	global_load_dword v13, v[18:19], off
	s_waitcnt vmcnt(7)
	v_add_f32_e32 v4, v4, v5
	s_waitcnt vmcnt(6)
	v_add_f32_e32 v4, v4, v8
	;; [unrolled: 2-line block ×6, first 2 shown]
	v_div_fixup_f32 v4, v11, v10, 1.0
	v_mul_f32_e32 v2, v4, v2
	global_store_dword v[6:7], v2, off
	buffer_load_dword v2, off, s[20:23], 0  ; 4-byte Folded Reload
	s_nop 0
	buffer_load_dword v3, off, s[20:23], 0 offset:4 ; 4-byte Folded Reload
	buffer_load_dword v5, off, s[20:23], 0 offset:296 ; 4-byte Folded Reload
	s_waitcnt vmcnt(2)
	v_add_co_u32_e32 v2, vcc, s8, v2
	s_waitcnt vmcnt(1)
	v_addc_co_u32_e32 v3, vcc, v56, v3, vcc
	s_waitcnt vmcnt(0)
	v_mul_f32_e32 v4, v4, v5
	global_store_dword v[2:3], v4, off
	v_lshlrev_b64 v[2:3], 2, v[0:1]
	v_add_u32_e32 v0, s9, v0
	v_mad_u64_u32 v[4:5], s[16:17], s4, -10, v[0:1]
	v_mov_b32_e32 v5, v1
	v_lshlrev_b64 v[6:7], 2, v[0:1]
	v_add_u32_e32 v0, s6, v4
	v_lshlrev_b64 v[4:5], 2, v[4:5]
	v_lshlrev_b64 v[16:17], 2, v[0:1]
	v_add_co_u32_e32 v8, vcc, s2, v4
	v_addc_co_u32_e32 v9, vcc, v39, v5, vcc
	v_add_co_u32_e32 v4, vcc, s0, v4
	v_addc_co_u32_e32 v5, vcc, v57, v5, vcc
	;; [unrolled: 2-line block ×5, first 2 shown]
	global_load_dword v10, v[12:13], off
	global_load_dword v11, v[14:15], off
	v_add_u32_e32 v0, s5, v0
	buffer_load_dword v12, off, s[20:23], 0 offset:188 ; 4-byte Folded Reload
	v_add_co_u32_e32 v6, vcc, s2, v6
	v_lshlrev_b64 v[18:19], 2, v[0:1]
	v_addc_co_u32_e32 v7, vcc, v39, v7, vcc
	v_add_co_u32_e32 v20, vcc, s2, v18
	v_addc_co_u32_e32 v21, vcc, v39, v19, vcc
	v_add_u32_e32 v0, s15, v0
	v_add_co_u32_e32 v18, vcc, s0, v18
	v_lshlrev_b64 v[22:23], 2, v[0:1]
	v_addc_co_u32_e32 v19, vcc, v57, v19, vcc
	v_add_co_u32_e32 v24, vcc, s2, v22
	v_addc_co_u32_e32 v25, vcc, v39, v23, vcc
	v_add_co_u32_e32 v22, vcc, s0, v22
	v_addc_co_u32_e32 v23, vcc, v57, v23, vcc
	s_mul_i32 s15, s4, 0xffffffb9
	v_add_u32_e32 v0, s15, v0
	s_waitcnt vmcnt(0)
	v_add_f32_e32 v10, v10, v12
	v_add_f32_e32 v10, v10, v11
	buffer_load_dword v11, off, s[20:23], 0 offset:180 ; 4-byte Folded Reload
	s_waitcnt vmcnt(0)
	v_add_f32_e32 v10, v10, v11
	global_load_dword v11, v[8:9], off
	global_load_dword v12, v[20:21], off
	;; [unrolled: 1-line block ×3, first 2 shown]
	v_add_co_u32_e32 v8, vcc, s2, v16
	v_addc_co_u32_e32 v9, vcc, v39, v17, vcc
	global_load_dword v14, v[8:9], off
	s_nop 0
	global_load_dword v8, v[8:9], off
	s_nop 0
	buffer_load_dword v9, off, s[20:23], 0 offset:272 ; 4-byte Folded Reload
	s_waitcnt vmcnt(1)
	buffer_store_dword v8, off, s[20:23], 0 offset:172 ; 4-byte Folded Spill
	v_add_f32_e32 v8, v10, v11
	v_add_f32_e32 v8, v8, v14
	;; [unrolled: 1-line block ×3, first 2 shown]
	s_waitcnt vmcnt(1)
	v_add_f32_e32 v8, v8, v9
	v_add_f32_e32 v10, v8, v13
	v_div_scale_f32 v8, s[16:17], v10, v10, 1.0
	v_rcp_f32_e32 v9, v8
	v_fma_f32 v11, -v8, v9, 1.0
	v_fmac_f32_e32 v9, v11, v9
	v_div_scale_f32 v11, vcc, 1.0, v10, 1.0
	v_mul_f32_e32 v12, v11, v9
	v_fma_f32 v13, -v8, v12, v11
	v_fmac_f32_e32 v12, v13, v9
	v_fma_f32 v8, -v8, v12, v11
	v_div_fmas_f32 v11, v8, v9, v12
	buffer_load_dword v8, off, s[20:23], 0 offset:288 ; 4-byte Folded Reload
	buffer_load_dword v9, off, s[20:23], 0 offset:292 ; 4-byte Folded Reload
	v_div_fixup_f32 v10, v11, v10, 1.0
	s_waitcnt vmcnt(1)
	v_add_co_u32_e32 v8, vcc, s8, v8
	s_waitcnt vmcnt(0)
	v_addc_co_u32_e32 v9, vcc, v56, v9, vcc
	v_add_co_u32_e32 v12, vcc, s0, v16
	v_addc_co_u32_e32 v13, vcc, v57, v17, vcc
	global_load_dword v4, v[4:5], off
	s_nop 0
	global_load_dword v2, v[2:3], off
	s_nop 0
	global_load_dword v3, v[6:7], off
	global_load_dword v16, v[18:19], off
	s_nop 0
	global_load_dword v19, v[22:23], off
	global_load_dword v38, v[12:13], off
	s_waitcnt vmcnt(4)
	v_add_f32_e32 v2, v4, v2
	s_waitcnt vmcnt(3)
	v_add_f32_e32 v20, v2, v3
	v_lshlrev_b64 v[2:3], 2, v[0:1]
	v_add_u32_e32 v0, s14, v0
	v_add_co_u32_e32 v4, vcc, s0, v2
	v_addc_co_u32_e32 v5, vcc, v57, v3, vcc
	global_load_dword v4, v[4:5], off
	s_waitcnt vmcnt(0)
	buffer_store_dword v4, off, s[20:23], 0 offset:188 ; 4-byte Folded Spill
	v_lshlrev_b64 v[4:5], 2, v[0:1]
	v_add_u32_e32 v0, s4, v0
	v_add_co_u32_e32 v6, vcc, s0, v4
	v_addc_co_u32_e32 v7, vcc, v57, v5, vcc
	global_load_dword v6, v[6:7], off
	s_waitcnt vmcnt(0)
	buffer_store_dword v6, off, s[20:23], 0 ; 4-byte Folded Spill
	v_lshlrev_b64 v[6:7], 2, v[0:1]
	v_add_u32_e32 v0, s9, v0
	v_add_co_u32_e32 v12, vcc, s0, v6
	v_addc_co_u32_e32 v13, vcc, v57, v7, vcc
	global_load_dword v12, v[12:13], off
	s_waitcnt vmcnt(0)
	buffer_store_dword v12, off, s[20:23], 0 offset:204 ; 4-byte Folded Spill
	v_lshlrev_b64 v[12:13], 2, v[0:1]
	v_add_u32_e32 v0, s4, v0
	v_add_co_u32_e32 v14, vcc, s0, v12
	v_addc_co_u32_e32 v15, vcc, v57, v13, vcc
	global_load_dword v14, v[14:15], off
	v_lshlrev_b64 v[17:18], 2, v[0:1]
	v_add_u32_e32 v0, s4, v0
	s_waitcnt vmcnt(0)
	buffer_store_dword v14, off, s[20:23], 0 offset:224 ; 4-byte Folded Spill
	v_add_co_u32_e32 v14, vcc, s0, v17
	v_addc_co_u32_e32 v15, vcc, v57, v18, vcc
	global_load_dword v14, v[14:15], off
	s_waitcnt vmcnt(0)
	buffer_store_dword v14, off, s[20:23], 0 offset:232 ; 4-byte Folded Spill
	v_add_f32_e32 v14, v20, v16
	v_add_f32_e32 v14, v14, v19
	v_mul_f32_e32 v11, v10, v14
	global_store_dword v[8:9], v11, off
	buffer_load_dword v8, off, s[20:23], 0 offset:8 ; 4-byte Folded Reload
	s_nop 0
	buffer_load_dword v9, off, s[20:23], 0 offset:12 ; 4-byte Folded Reload
	buffer_load_dword v11, off, s[20:23], 0 offset:140 ; 4-byte Folded Reload
	buffer_load_dword v14, off, s[20:23], 0 offset:148 ; 4-byte Folded Reload
	s_waitcnt vmcnt(3)
	v_add_co_u32_e32 v8, vcc, s8, v8
	s_waitcnt vmcnt(0)
	v_add_f32_e32 v11, v14, v11
	v_addc_co_u32_e32 v9, vcc, v56, v9, vcc
	v_mul_f32_e32 v11, v10, v11
	global_store_dword v[8:9], v11, off
	buffer_load_dword v8, off, s[20:23], 0 offset:164 ; 4-byte Folded Reload
	s_nop 0
	buffer_load_dword v9, off, s[20:23], 0 offset:168 ; 4-byte Folded Reload
	buffer_load_dword v11, off, s[20:23], 0 offset:196 ; 4-byte Folded Reload
	s_waitcnt vmcnt(2)
	v_add_co_u32_e32 v8, vcc, s8, v8
	s_waitcnt vmcnt(1)
	v_addc_co_u32_e32 v9, vcc, v56, v9, vcc
	s_waitcnt vmcnt(0)
	v_mul_f32_e32 v11, v10, v11
	global_store_dword v[8:9], v11, off
	v_add_co_u32_e32 v8, vcc, s8, v50
	v_addc_co_u32_e32 v9, vcc, v56, v51, vcc
	v_add_co_u32_e32 v54, vcc, s2, v2
	v_addc_co_u32_e32 v55, vcc, v39, v3, vcc
	;; [unrolled: 2-line block ×3, first 2 shown]
	v_add_co_u32_e32 v2, vcc, s2, v6
	v_mul_f32_e32 v10, v10, v38
	v_addc_co_u32_e32 v3, vcc, v39, v7, vcc
	global_store_dword v[8:9], v10, off
	buffer_store_dword v2, off, s[20:23], 0 offset:140 ; 4-byte Folded Spill
	s_nop 0
	buffer_store_dword v3, off, s[20:23], 0 offset:144 ; 4-byte Folded Spill
	v_add_co_u32_e32 v2, vcc, s2, v12
	v_addc_co_u32_e32 v3, vcc, v39, v13, vcc
	buffer_store_dword v2, off, s[20:23], 0 offset:148 ; 4-byte Folded Spill
	s_nop 0
	buffer_store_dword v3, off, s[20:23], 0 offset:152 ; 4-byte Folded Spill
	v_add_co_u32_e32 v2, vcc, s2, v17
	v_lshlrev_b64 v[12:13], 2, v[0:1]
	v_addc_co_u32_e32 v3, vcc, v39, v18, vcc
	v_add_co_u32_e32 v50, vcc, s0, v12
	buffer_store_dword v2, off, s[20:23], 0 offset:164 ; 4-byte Folded Spill
	s_nop 0
	buffer_store_dword v3, off, s[20:23], 0 offset:168 ; 4-byte Folded Spill
	v_addc_co_u32_e32 v51, vcc, v57, v13, vcc
	v_add_co_u32_e32 v2, vcc, s2, v12
	v_add_u32_e32 v0, s4, v0
	v_addc_co_u32_e32 v3, vcc, v39, v13, vcc
	v_lshlrev_b64 v[12:13], 2, v[0:1]
	v_add_u32_e32 v0, s4, v0
	v_add_co_u32_e32 v22, vcc, s0, v12
	v_lshlrev_b64 v[26:27], 2, v[0:1]
	v_add_u32_e32 v0, s9, v0
	v_addc_co_u32_e32 v23, vcc, v57, v13, vcc
	v_lshlrev_b64 v[30:31], 2, v[0:1]
	v_add_u32_e32 v0, s4, v0
	v_add_co_u32_e32 v58, vcc, s2, v12
	v_lshlrev_b64 v[18:19], 2, v[0:1]
	v_addc_co_u32_e32 v59, vcc, v39, v13, vcc
	v_add_co_u32_e32 v24, vcc, s0, v18
	v_addc_co_u32_e32 v25, vcc, v57, v19, vcc
	v_add_u32_e32 v0, s9, v0
	v_add_co_u32_e32 v46, vcc, s2, v18
	v_lshlrev_b64 v[20:21], 2, v[0:1]
	v_addc_co_u32_e32 v47, vcc, v39, v19, vcc
	v_add_co_u32_e32 v52, vcc, s0, v20
	v_addc_co_u32_e32 v53, vcc, v57, v21, vcc
	v_add_co_u32_e32 v61, vcc, s2, v20
	v_add_u32_e32 v0, s4, v0
	v_addc_co_u32_e32 v62, vcc, v39, v21, vcc
	v_lshlrev_b64 v[20:21], 2, v[0:1]
	v_add_u32_e32 v0, s4, v0
	v_add_co_u32_e32 v16, vcc, s0, v20
	v_addc_co_u32_e32 v17, vcc, v57, v21, vcc
	v_add_co_u32_e32 v44, vcc, s2, v20
	v_addc_co_u32_e32 v45, vcc, v39, v21, vcc
	v_lshlrev_b64 v[20:21], 2, v[0:1]
	v_add_u32_e32 v0, s12, v0
	v_add_co_u32_e32 v14, vcc, s0, v20
	v_addc_co_u32_e32 v15, vcc, v57, v21, vcc
	v_add_co_u32_e32 v18, vcc, s2, v20
	;; [unrolled: 6-line block ×5, first 2 shown]
	v_lshlrev_b64 v[28:29], 2, v[0:1]
	v_addc_co_u32_e32 v21, vcc, v57, v21, vcc
	v_add_co_u32_e32 v6, vcc, s2, v28
	v_addc_co_u32_e32 v7, vcc, v39, v29, vcc
	v_add_co_u32_e32 v40, vcc, s0, v28
	v_add_u32_e32 v0, s3, v0
	v_addc_co_u32_e32 v41, vcc, v57, v29, vcc
	v_lshlrev_b64 v[28:29], 2, v[0:1]
	v_add_u32_e32 v0, s6, v0
	v_add_co_u32_e32 v4, vcc, s2, v28
	v_addc_co_u32_e32 v5, vcc, v39, v29, vcc
	v_add_co_u32_e32 v36, vcc, s0, v28
	v_addc_co_u32_e32 v37, vcc, v57, v29, vcc
	v_lshlrev_b64 v[28:29], 2, v[0:1]
	buffer_store_dword v2, off, s[20:23], 0 offset:180 ; 4-byte Folded Spill
	s_nop 0
	buffer_store_dword v3, off, s[20:23], 0 offset:184 ; 4-byte Folded Spill
	v_add_co_u32_e32 v2, vcc, s2, v28
	v_addc_co_u32_e32 v3, vcc, v39, v29, vcc
	v_add_co_u32_e32 v42, vcc, s0, v28
	v_addc_co_u32_e32 v43, vcc, v57, v29, vcc
	buffer_load_dword v28, off, s[20:23], 0 offset:24 ; 4-byte Folded Reload
	buffer_load_dword v29, off, s[20:23], 0 offset:28 ; 4-byte Folded Reload
	buffer_load_dword v63, off, s[20:23], 0 ; 4-byte Folded Reload
	buffer_load_dword v60, off, s[20:23], 0 offset:188 ; 4-byte Folded Reload
	s_mul_i32 s3, s4, 0xffffff92
	v_add_u32_e32 v0, s3, v0
	s_mul_i32 s3, s4, 0x54
	s_waitcnt vmcnt(3)
	v_add_co_u32_e32 v28, vcc, s2, v28
	s_waitcnt vmcnt(0)
	v_add_f32_e32 v63, v60, v63
	buffer_load_dword v60, off, s[20:23], 0 offset:204 ; 4-byte Folded Reload
	v_addc_co_u32_e32 v29, vcc, v39, v29, vcc
	s_waitcnt vmcnt(0)
	v_add_f32_e32 v63, v63, v60
	buffer_load_dword v60, off, s[20:23], 0 offset:224 ; 4-byte Folded Reload
	v_add_f32_e32 v38, v63, v38
	s_waitcnt vmcnt(0)
	v_add_f32_e32 v38, v38, v60
	buffer_load_dword v60, off, s[20:23], 0 offset:232 ; 4-byte Folded Reload
	s_nop 0
	global_load_dword v50, v[50:51], off
	s_nop 0
	global_load_dword v22, v[22:23], off
	;; [unrolled: 2-line block ×12, first 2 shown]
	v_add_co_u32_e32 v2, vcc, s0, v30
	v_addc_co_u32_e32 v3, vcc, v57, v31, vcc
	global_load_dword v7, v[2:3], off
	s_nop 0
	global_load_dword v2, v[2:3], off
	s_waitcnt vmcnt(14)
	v_add_f32_e32 v38, v38, v60
	s_waitcnt vmcnt(0)
	buffer_store_dword v2, off, s[20:23], 0 ; 4-byte Folded Spill
	v_add_co_u32_e32 v2, vcc, s0, v26
	v_addc_co_u32_e32 v3, vcc, v57, v27, vcc
	global_load_dword v9, v[2:3], off
	s_nop 0
	global_load_dword v2, v[2:3], off
	s_nop 0
	buffer_load_dword v3, off, s[20:23], 0 offset:200 ; 4-byte Folded Reload
	s_waitcnt vmcnt(1)
	buffer_store_dword v2, off, s[20:23], 0 offset:8 ; 4-byte Folded Spill
	v_add_f32_e32 v2, v38, v50
	v_add_f32_e32 v2, v2, v22
	v_add_f32_e32 v2, v2, v9
	s_waitcnt vmcnt(1)
	v_add_f32_e32 v2, v2, v3
	buffer_load_dword v3, off, s[20:23], 0 offset:104 ; 4-byte Folded Reload
	v_add_f32_e32 v2, v2, v7
	v_add_f32_e32 v2, v2, v23
	;; [unrolled: 1-line block ×5, first 2 shown]
	s_waitcnt vmcnt(0)
	v_add_f32_e32 v2, v2, v3
	buffer_load_dword v3, off, s[20:23], 0 offset:132 ; 4-byte Folded Reload
	s_waitcnt vmcnt(0)
	v_add_f32_e32 v2, v2, v3
	buffer_load_dword v3, off, s[20:23], 0 offset:112 ; 4-byte Folded Reload
	global_load_dword v7, v[54:55], off
	global_load_dword v9, v[48:49], off
	s_waitcnt vmcnt(2)
	v_add_f32_e32 v2, v2, v3
	v_add_f32_e32 v2, v2, v12
	;; [unrolled: 1-line block ×7, first 2 shown]
	v_div_scale_f32 v2, s[14:15], v6, v6, 1.0
	s_waitcnt vmcnt(0)
	v_add_f32_e32 v7, v7, v9
	v_rcp_f32_e32 v3, v2
	v_fma_f32 v4, -v2, v3, 1.0
	v_fmac_f32_e32 v3, v4, v3
	v_div_scale_f32 v4, vcc, 1.0, v6, 1.0
	v_mul_f32_e32 v5, v4, v3
	v_fma_f32 v8, -v2, v5, v4
	v_fmac_f32_e32 v5, v8, v3
	v_fma_f32 v2, -v2, v5, v4
	v_div_fmas_f32 v8, v2, v3, v5
	buffer_load_dword v2, off, s[20:23], 0 offset:92 ; 4-byte Folded Reload
	buffer_load_dword v3, off, s[20:23], 0 offset:96 ; 4-byte Folded Reload
	;; [unrolled: 1-line block ×4, first 2 shown]
	v_div_fixup_f32 v6, v8, v6, 1.0
	s_waitcnt vmcnt(3)
	v_add_co_u32_e32 v2, vcc, s8, v2
	s_waitcnt vmcnt(0)
	global_load_dword v10, v[10:11], off
	s_nop 0
	buffer_load_dword v11, off, s[20:23], 0 offset:148 ; 4-byte Folded Reload
	buffer_load_dword v12, off, s[20:23], 0 offset:152 ; 4-byte Folded Reload
	v_addc_co_u32_e32 v3, vcc, v56, v3, vcc
	v_add_co_u32_e32 v4, vcc, s2, v26
	v_addc_co_u32_e32 v5, vcc, v39, v27, vcc
	v_add_co_u32_e32 v14, vcc, s2, v30
	v_addc_co_u32_e32 v15, vcc, v39, v31, vcc
	s_waitcnt vmcnt(2)
	v_add_f32_e32 v7, v7, v10
	s_waitcnt vmcnt(0)
	global_load_dword v11, v[11:12], off
	s_nop 0
	buffer_load_dword v12, off, s[20:23], 0 offset:164 ; 4-byte Folded Reload
	buffer_load_dword v13, off, s[20:23], 0 offset:168 ; 4-byte Folded Reload
	s_waitcnt vmcnt(2)
	v_add_f32_e32 v7, v7, v11
	s_waitcnt vmcnt(0)
	global_load_dword v12, v[12:13], off
	s_nop 0
	buffer_load_dword v16, off, s[20:23], 0 offset:180 ; 4-byte Folded Reload
	buffer_load_dword v17, off, s[20:23], 0 offset:184 ; 4-byte Folded Reload
	s_waitcnt vmcnt(0)
	global_load_dword v13, v[16:17], off
	s_nop 0
	global_load_dword v16, v[58:59], off
	global_load_dword v17, v[46:47], off
	;; [unrolled: 1-line block ×4, first 2 shown]
	s_nop 0
	global_load_dword v18, v[18:19], off
	s_nop 0
	global_load_dword v19, v[32:33], off
	global_load_dword v24, v[34:35], off
	s_nop 0
	global_load_dword v20, v[20:21], off
	s_nop 0
	global_load_dword v21, v[40:41], off
	global_load_dword v25, v[36:37], off
	;; [unrolled: 1-line block ×3, first 2 shown]
	buffer_load_dword v9, off, s[20:23], 0 offset:244 ; 4-byte Folded Reload
	v_add_f32_e32 v7, v7, v12
	s_waitcnt vmcnt(12)
	v_add_f32_e32 v7, v7, v13
	s_waitcnt vmcnt(11)
	;; [unrolled: 2-line block ×4, first 2 shown]
	v_add_f32_e32 v7, v7, v9
	global_load_dword v9, v[28:29], off
	global_load_dword v10, v[14:15], off
	v_add_f32_e32 v7, v7, v22
	v_add_f32_e32 v7, v7, v23
	;; [unrolled: 1-line block ×9, first 2 shown]
	s_waitcnt vmcnt(1)
	v_add_f32_e32 v7, v7, v9
	s_waitcnt vmcnt(0)
	buffer_store_dword v10, off, s[20:23], 0 offset:24 ; 4-byte Folded Spill
	v_mul_f32_e32 v7, v6, v7
	global_load_dword v38, v[4:5], off
	global_load_dword v10, v[28:29], off
	s_nop 0
	global_store_dword v[2:3], v7, off
	buffer_load_dword v7, off, s[20:23], 0 offset:64 ; 4-byte Folded Reload
	v_lshlrev_b64 v[2:3], 2, v[0:1]
	v_add_u32_e32 v0, s4, v0
	v_add_co_u32_e32 v2, vcc, s8, v2
	v_addc_co_u32_e32 v3, vcc, v56, v3, vcc
	s_waitcnt vmcnt(2)
	buffer_store_dword v10, off, s[20:23], 0 offset:92 ; 4-byte Folded Spill
	s_waitcnt vmcnt(1)
	v_mul_f32_e32 v7, v6, v7
	global_store_dword v[2:3], v7, off
	buffer_load_dword v7, off, s[20:23], 0 offset:108 ; 4-byte Folded Reload
	v_lshlrev_b64 v[2:3], 2, v[0:1]
	v_add_u32_e32 v0, s13, v0
	v_add_co_u32_e32 v2, vcc, s8, v2
	v_addc_co_u32_e32 v3, vcc, v56, v3, vcc
	s_waitcnt vmcnt(0)
	v_mul_f32_e32 v7, v6, v7
	global_store_dword v[2:3], v7, off
	buffer_load_dword v2, off, s[20:23], 0 offset:216 ; 4-byte Folded Reload
	s_nop 0
	buffer_load_dword v3, off, s[20:23], 0 offset:220 ; 4-byte Folded Reload
	buffer_load_dword v7, off, s[20:23], 0 offset:260 ; 4-byte Folded Reload
	;; [unrolled: 1-line block ×3, first 2 shown]
	s_waitcnt vmcnt(3)
	v_add_co_u32_e32 v2, vcc, s8, v2
	s_waitcnt vmcnt(0)
	v_add_f32_e32 v7, v7, v8
	v_addc_co_u32_e32 v3, vcc, v56, v3, vcc
	v_mul_f32_e32 v7, v6, v7
	global_store_dword v[2:3], v7, off
	buffer_load_dword v7, off, s[20:23], 0 offset:172 ; 4-byte Folded Reload
	v_lshlrev_b64 v[2:3], 2, v[0:1]
	v_add_u32_e32 v0, s11, v0
	v_add_co_u32_e32 v2, vcc, s8, v2
	v_addc_co_u32_e32 v3, vcc, v56, v3, vcc
	s_waitcnt vmcnt(0)
	v_mul_f32_e32 v7, v6, v7
	global_store_dword v[2:3], v7, off
	global_load_dword v4, v[4:5], off
	s_nop 0
	global_load_dword v5, v[14:15], off
	v_lshlrev_b64 v[2:3], 2, v[0:1]
	v_add_u32_e32 v0, s3, v0
	v_add_co_u32_e32 v2, vcc, s8, v2
	s_mul_i32 s3, s4, 0xffffffac
	v_addc_co_u32_e32 v3, vcc, v56, v3, vcc
	s_waitcnt vmcnt(0)
	v_add_f32_e32 v4, v4, v5
	v_mul_f32_e32 v4, v6, v4
	v_lshlrev_b64 v[6:7], 2, v[0:1]
	v_add_u32_e32 v0, s4, v0
	v_lshlrev_b64 v[8:9], 2, v[0:1]
	v_add_u32_e32 v0, s4, v0
	;; [unrolled: 2-line block ×9, first 2 shown]
	global_store_dword v[2:3], v4, off
	v_lshlrev_b64 v[2:3], 2, v[0:1]
	v_mad_u64_u32 v[28:29], s[12:13], s4, 62, v[0:1]
	v_add_co_u32_e32 v40, vcc, s2, v2
	v_addc_co_u32_e32 v41, vcc, v39, v3, vcc
	v_mov_b32_e32 v29, v1
	v_add_co_u32_e32 v2, vcc, s0, v2
	v_lshlrev_b64 v[4:5], 2, v[28:29]
	v_addc_co_u32_e32 v3, vcc, v57, v3, vcc
	v_add_co_u32_e32 v46, vcc, s2, v4
	v_addc_co_u32_e32 v47, vcc, v39, v5, vcc
	v_add_co_u32_e32 v44, vcc, s0, v4
	;; [unrolled: 2-line block ×18, first 2 shown]
	buffer_store_dword v2, off, s[20:23], 0 offset:64 ; 4-byte Folded Spill
	s_nop 0
	buffer_store_dword v3, off, s[20:23], 0 offset:68 ; 4-byte Folded Spill
	v_addc_co_u32_e32 v25, vcc, v39, v25, vcc
	v_add_co_u32_e32 v2, vcc, s0, v26
	v_addc_co_u32_e32 v3, vcc, v57, v27, vcc
	global_load_dword v48, v[48:49], off
	s_nop 0
	global_load_dword v49, v[52:53], off
	s_nop 0
	;; [unrolled: 2-line block ×4, first 2 shown]
	global_load_dword v11, v[58:59], off
	global_load_dword v53, v[60:61], off
	;; [unrolled: 1-line block ×3, first 2 shown]
	s_nop 0
	global_load_dword v50, v[50:51], off
	s_nop 0
	global_load_dword v2, v[2:3], off
	v_mad_u64_u32 v[20:21], s[12:13], s4, 24, v[28:29]
	v_mov_b32_e32 v21, v1
	v_add_co_u32_e32 v8, vcc, s2, v26
	v_add_u32_e32 v0, s4, v20
	v_lshlrev_b64 v[20:21], 2, v[20:21]
	v_addc_co_u32_e32 v9, vcc, v39, v27, vcc
	v_add_co_u32_e32 v26, vcc, s2, v20
	v_addc_co_u32_e32 v27, vcc, v39, v21, vcc
	v_add_co_u32_e32 v32, vcc, s0, v20
	v_addc_co_u32_e32 v33, vcc, v57, v21, vcc
	v_lshlrev_b64 v[20:21], 2, v[0:1]
	v_add_u32_e32 v0, s4, v0
	v_add_co_u32_e32 v28, vcc, s2, v20
	v_addc_co_u32_e32 v29, vcc, v39, v21, vcc
	v_add_co_u32_e32 v34, vcc, s0, v20
	v_addc_co_u32_e32 v35, vcc, v57, v21, vcc
	v_lshlrev_b64 v[20:21], 2, v[0:1]
	v_add_u32_e32 v0, s9, v0
	;; [unrolled: 6-line block ×3, first 2 shown]
	v_add_co_u32_e32 v4, vcc, s2, v20
	v_addc_co_u32_e32 v5, vcc, v39, v21, vcc
	v_add_co_u32_e32 v20, vcc, s0, v20
	v_addc_co_u32_e32 v21, vcc, v57, v21, vcc
	s_mul_i32 s1, s4, 0xffffffe4
	s_waitcnt vmcnt(7)
	v_add_f32_e32 v3, v48, v49
	s_waitcnt vmcnt(6)
	v_add_f32_e32 v3, v3, v52
	;; [unrolled: 2-line block ×8, first 2 shown]
	global_load_dword v41, v[40:41], off
	s_nop 0
	global_load_dword v2, v[46:47], off
	global_load_dword v52, v[26:27], off
	;; [unrolled: 1-line block ×5, first 2 shown]
	v_lshlrev_b64 v[26:27], 2, v[0:1]
	v_add_u32_e32 v0, s9, v0
	v_add_co_u32_e32 v4, vcc, s2, v26
	v_addc_co_u32_e32 v5, vcc, v39, v27, vcc
	global_load_dword v29, v[4:5], off
	global_load_dword v40, v[4:5], off
	s_waitcnt vmcnt(7)
	v_add_f32_e32 v3, v3, v41
	s_waitcnt vmcnt(6)
	v_add_f32_e32 v2, v3, v2
	buffer_load_dword v3, off, s[20:23], 0 offset:80 ; 4-byte Folded Reload
	s_waitcnt vmcnt(0)
	v_add_f32_e32 v2, v2, v3
	buffer_load_dword v3, off, s[20:23], 0 offset:156 ; 4-byte Folded Reload
	v_add_f32_e32 v2, v2, v52
	v_add_f32_e32 v2, v2, v53
	;; [unrolled: 1-line block ×3, first 2 shown]
	s_waitcnt vmcnt(0)
	v_add_f32_e32 v2, v2, v3
	v_add_f32_e32 v2, v2, v55
	;; [unrolled: 1-line block ×3, first 2 shown]
	v_lshlrev_b64 v[2:3], 2, v[0:1]
	v_add_u32_e32 v0, s11, v0
	v_lshlrev_b64 v[28:29], 2, v[0:1]
	v_add_u32_e32 v0, s10, v0
	v_add_co_u32_e32 v4, vcc, s2, v28
	v_addc_co_u32_e32 v5, vcc, v39, v29, vcc
	global_load_dword v7, v[4:5], off
	global_load_dword v41, v[4:5], off
	v_add_co_u32_e32 v4, vcc, s2, v2
	v_addc_co_u32_e32 v5, vcc, v39, v3, vcc
	global_load_dword v10, v[4:5], off
	global_load_dword v46, v[4:5], off
	s_waitcnt vmcnt(1)
	v_add_f32_e32 v4, v6, v10
	v_add_f32_e32 v10, v4, v7
	v_div_scale_f32 v4, s[12:13], v10, v10, 1.0
	v_rcp_f32_e32 v5, v4
	v_fma_f32 v6, -v4, v5, 1.0
	v_fmac_f32_e32 v5, v6, v5
	v_div_scale_f32 v6, vcc, 1.0, v10, 1.0
	v_mul_f32_e32 v7, v6, v5
	v_fma_f32 v11, -v4, v7, v6
	v_fmac_f32_e32 v7, v11, v5
	v_fma_f32 v4, -v4, v7, v6
	v_div_fmas_f32 v11, v4, v5, v7
	buffer_load_dword v4, off, s[20:23], 0 offset:248 ; 4-byte Folded Reload
	buffer_load_dword v5, off, s[20:23], 0 offset:252 ; 4-byte Folded Reload
	s_waitcnt vmcnt(1)
	v_add_co_u32_e32 v4, vcc, s8, v4
	s_waitcnt vmcnt(0)
	v_addc_co_u32_e32 v5, vcc, v56, v5, vcc
	v_add_co_u32_e32 v6, vcc, s0, v26
	v_addc_co_u32_e32 v7, vcc, v57, v27, vcc
	buffer_load_dword v26, off, s[20:23], 0 offset:64 ; 4-byte Folded Reload
	buffer_load_dword v27, off, s[20:23], 0 offset:68 ; 4-byte Folded Reload
	s_waitcnt vmcnt(0)
	global_load_dword v26, v[26:27], off
	s_nop 0
	global_load_dword v27, v[44:45], off
	s_nop 0
	;; [unrolled: 2-line block ×6, first 2 shown]
	global_load_dword v14, v[18:19], off
	global_load_dword v15, v[16:17], off
	s_nop 0
	global_load_dword v16, v[22:23], off
	global_load_dword v17, v[24:25], off
	s_nop 0
	global_load_dword v8, v[8:9], off
	s_nop 0
	global_load_dword v9, v[32:33], off
	global_load_dword v18, v[34:35], off
	;; [unrolled: 1-line block ×3, first 2 shown]
	s_nop 0
	global_load_dword v20, v[20:21], off
	v_add_co_u32_e32 v2, vcc, s0, v2
	v_addc_co_u32_e32 v3, vcc, v57, v3, vcc
	s_waitcnt vmcnt(13)
	v_add_f32_e32 v21, v26, v27
	s_waitcnt vmcnt(12)
	v_add_f32_e32 v21, v21, v42
	;; [unrolled: 2-line block ×10, first 2 shown]
	buffer_load_dword v12, off, s[20:23], 0 offset:208 ; 4-byte Folded Reload
	s_waitcnt vmcnt(0)
	v_add_f32_e32 v12, v8, v12
	global_load_dword v16, v[6:7], off
	s_nop 0
	global_load_dword v6, v[2:3], off
	global_load_dword v8, v[2:3], off
	v_add_f32_e32 v2, v12, v9
	buffer_load_dword v3, off, s[20:23], 0 offset:56 ; 4-byte Folded Reload
	v_add_f32_e32 v2, v2, v18
	v_add_f32_e32 v2, v2, v19
	;; [unrolled: 1-line block ×3, first 2 shown]
	v_div_fixup_f32 v7, v11, v10, 1.0
	s_waitcnt vmcnt(2)
	v_add_f32_e32 v6, v16, v6
	s_waitcnt vmcnt(0)
	v_add_f32_e32 v2, v2, v3
	buffer_load_dword v3, off, s[20:23], 0 offset:92 ; 4-byte Folded Reload
	s_waitcnt vmcnt(0)
	v_add_f32_e32 v2, v2, v3
	v_mul_f32_e32 v2, v7, v2
	global_store_dword v[4:5], v2, off
	buffer_load_dword v2, off, s[20:23], 0 offset:84 ; 4-byte Folded Reload
	s_nop 0
	buffer_load_dword v3, off, s[20:23], 0 offset:88 ; 4-byte Folded Reload
	buffer_load_dword v4, off, s[20:23], 0 offset:100 ; 4-byte Folded Reload
	s_waitcnt vmcnt(2)
	v_add_co_u32_e32 v2, vcc, s8, v2
	s_waitcnt vmcnt(1)
	v_addc_co_u32_e32 v3, vcc, v56, v3, vcc
	s_waitcnt vmcnt(0)
	v_mul_f32_e32 v4, v7, v4
	global_store_dword v[2:3], v4, off
	buffer_load_dword v2, off, s[20:23], 0 offset:116 ; 4-byte Folded Reload
	s_nop 0
	buffer_load_dword v3, off, s[20:23], 0 offset:120 ; 4-byte Folded Reload
	buffer_load_dword v4, off, s[20:23], 0 offset:48 ; 4-byte Folded Reload
	s_waitcnt vmcnt(2)
	v_add_co_u32_e32 v2, vcc, s8, v2
	s_waitcnt vmcnt(1)
	v_addc_co_u32_e32 v3, vcc, v56, v3, vcc
	s_waitcnt vmcnt(0)
	v_mul_f32_e32 v4, v7, v4
	global_store_dword v[2:3], v4, off
	v_add_co_u32_e32 v2, vcc, s0, v28
	v_addc_co_u32_e32 v3, vcc, v57, v29, vcc
	buffer_load_dword v4, off, s[20:23], 0 offset:124 ; 4-byte Folded Reload
	buffer_load_dword v5, off, s[20:23], 0 offset:128 ; 4-byte Folded Reload
	global_load_dword v9, v[2:3], off
	s_waitcnt vmcnt(2)
	v_add_co_u32_e32 v4, vcc, s8, v4
	s_waitcnt vmcnt(0)
	v_add_f32_e32 v6, v6, v9
	v_addc_co_u32_e32 v5, vcc, v56, v5, vcc
	v_mul_f32_e32 v6, v7, v6
	global_store_dword v[4:5], v6, off
	v_lshlrev_b64 v[6:7], 2, v[0:1]
	v_add_u32_e32 v0, s4, v0
	v_lshlrev_b64 v[9:10], 2, v[0:1]
	v_add_u32_e32 v0, s9, v0
	;; [unrolled: 2-line block ×7, first 2 shown]
	v_lshlrev_b64 v[4:5], 2, v[0:1]
	s_mul_i32 s1, s4, 0xffffffe9
	v_add_co_u32_e32 v23, vcc, s2, v4
	v_addc_co_u32_e32 v24, vcc, v39, v5, vcc
	v_add_co_u32_e32 v4, vcc, s0, v4
	v_addc_co_u32_e32 v5, vcc, v57, v5, vcc
	;; [unrolled: 2-line block ×15, first 2 shown]
	global_load_dword v15, v[25:26], off
	s_nop 0
	global_load_dword v25, v[27:28], off
	global_load_dword v26, v[29:30], off
	s_nop 0
	global_load_dword v27, v[31:32], off
	global_load_dword v28, v[33:34], off
	;; [unrolled: 1-line block ×3, first 2 shown]
	s_nop 0
	global_load_dword v20, v[19:20], off
	s_nop 0
	global_load_dword v23, v[23:24], off
	;; [unrolled: 2-line block ×3, first 2 shown]
	v_add_co_u32_e32 v21, vcc, s2, v21
	buffer_load_dword v3, off, s[20:23], 0 offset:16 ; 4-byte Folded Reload
	v_addc_co_u32_e32 v22, vcc, v39, v22, vcc
	v_add_u32_e32 v0, s1, v0
	s_mul_i32 s1, s4, 0x61
	s_waitcnt vmcnt(8)
	v_add_f32_e32 v2, v15, v25
	s_waitcnt vmcnt(0)
	v_add_f32_e32 v2, v2, v3
	buffer_load_dword v3, off, s[20:23], 0 offset:24 ; 4-byte Folded Reload
	v_add_f32_e32 v2, v2, v26
	v_add_f32_e32 v2, v2, v27
	;; [unrolled: 1-line block ×7, first 2 shown]
	s_waitcnt vmcnt(0)
	v_add_f32_e32 v15, v2, v3
	v_div_scale_f32 v2, s[10:11], v15, v15, 1.0
	v_rcp_f32_e32 v3, v2
	v_fma_f32 v20, -v2, v3, 1.0
	v_fmac_f32_e32 v3, v20, v3
	v_div_scale_f32 v20, vcc, 1.0, v15, 1.0
	v_mul_f32_e32 v23, v20, v3
	v_fma_f32 v24, -v2, v23, v20
	v_fmac_f32_e32 v23, v24, v3
	v_fma_f32 v2, -v2, v23, v20
	v_div_fmas_f32 v20, v2, v3, v23
	buffer_load_dword v2, off, s[20:23], 0 offset:32 ; 4-byte Folded Reload
	buffer_load_dword v3, off, s[20:23], 0 offset:36 ; 4-byte Folded Reload
	s_nop 0
	global_load_dword v4, v[4:5], off
	s_nop 0
	global_load_dword v5, v[6:7], off
	;; [unrolled: 2-line block ×3, first 2 shown]
	global_load_dword v7, v[11:12], off
	s_nop 0
	global_load_dword v9, v[13:14], off
	global_load_dword v10, v[17:18], off
	;; [unrolled: 1-line block ×4, first 2 shown]
	v_div_fixup_f32 v18, v20, v15, 1.0
	s_waitcnt vmcnt(6)
	v_add_f32_e32 v4, v4, v5
	s_waitcnt vmcnt(5)
	v_add_f32_e32 v4, v4, v6
	;; [unrolled: 2-line block ×6, first 2 shown]
	v_add_co_u32_e32 v2, vcc, s8, v2
	s_waitcnt vmcnt(0)
	v_add_f32_e32 v4, v4, v12
	v_addc_co_u32_e32 v3, vcc, v56, v3, vcc
	v_mul_f32_e32 v4, v18, v4
	global_store_dword v[2:3], v4, off
	buffer_load_dword v4, off, s[20:23], 0 offset:40 ; 4-byte Folded Reload
	v_lshlrev_b64 v[2:3], 2, v[0:1]
	v_add_u32_e32 v0, s1, v0
	v_lshlrev_b64 v[6:7], 2, v[0:1]
	v_add_u32_e32 v0, s9, v0
	;; [unrolled: 2-line block ×3, first 2 shown]
	v_add_co_u32_e32 v2, vcc, s8, v2
	v_lshlrev_b64 v[11:12], 2, v[0:1]
	v_add_u32_e32 v0, s9, v0
	s_mul_i32 s1, s4, 0xffffffdc
	v_addc_co_u32_e32 v3, vcc, v56, v3, vcc
	v_lshlrev_b64 v[20:21], 2, v[0:1]
	v_add_u32_e32 v0, s1, v0
	s_mulk_i32 s4, 0xffb0
	s_waitcnt vmcnt(0)
	v_mul_f32_e32 v4, v18, v4
	global_store_dword v[2:3], v4, off
	v_lshlrev_b64 v[2:3], 2, v[0:1]
	v_add_u32_e32 v0, s5, v0
	v_add_co_u32_e32 v22, vcc, s2, v2
	v_addc_co_u32_e32 v23, vcc, v39, v3, vcc
	v_add_co_u32_e32 v4, vcc, s0, v2
	v_addc_co_u32_e32 v5, vcc, v57, v3, vcc
	v_lshlrev_b64 v[2:3], 2, v[0:1]
	v_add_u32_e32 v0, s4, v0
	v_add_co_u32_e32 v24, vcc, s2, v2
	v_addc_co_u32_e32 v25, vcc, v39, v3, vcc
	v_add_co_u32_e32 v2, vcc, s0, v2
	v_addc_co_u32_e32 v3, vcc, v57, v3, vcc
	;; [unrolled: 2-line block ×10, first 2 shown]
	global_load_dword v9, v[26:27], off
	global_load_dword v17, v[28:29], off
	;; [unrolled: 1-line block ×4, first 2 shown]
	s_nop 0
	global_load_dword v22, v[22:23], off
	s_nop 0
	global_load_dword v23, v[24:25], off
	s_waitcnt vmcnt(5)
	v_add_f32_e32 v9, v16, v9
	v_add_f32_e32 v8, v9, v8
	s_waitcnt vmcnt(4)
	v_add_f32_e32 v8, v8, v17
	s_waitcnt vmcnt(3)
	v_add_f32_e32 v8, v8, v20
	v_add_f32_e32 v8, v8, v19
	s_waitcnt vmcnt(2)
	v_add_f32_e32 v8, v8, v21
	s_waitcnt vmcnt(1)
	;; [unrolled: 2-line block ×3, first 2 shown]
	v_add_f32_e32 v8, v8, v23
	v_div_scale_f32 v9, s[0:1], v8, v8, 1.0
	v_rcp_f32_e32 v16, v9
	v_fma_f32 v17, -v9, v16, 1.0
	v_fmac_f32_e32 v16, v17, v16
	v_div_scale_f32 v17, vcc, 1.0, v8, 1.0
	v_mul_f32_e32 v19, v17, v16
	v_fma_f32 v20, -v9, v19, v17
	v_fmac_f32_e32 v19, v20, v16
	v_fma_f32 v9, -v9, v19, v17
	v_div_fmas_f32 v9, v9, v16, v19
	global_load_dword v4, v[4:5], off
	s_nop 0
	global_load_dword v5, v[2:3], off
	global_load_dword v16, v[6:7], off
	;; [unrolled: 1-line block ×5, first 2 shown]
	s_nop 0
	buffer_load_dword v2, off, s[20:23], 0  ; 4-byte Folded Reload
	buffer_load_dword v3, off, s[20:23], 0 offset:8 ; 4-byte Folded Reload
	s_waitcnt vmcnt(0)
	v_add_f32_e32 v2, v3, v2
	v_mul_f32_e32 v6, v18, v2
	buffer_load_dword v2, off, s[20:23], 0 offset:72 ; 4-byte Folded Reload
	buffer_load_dword v3, off, s[20:23], 0 offset:76 ; 4-byte Folded Reload
	s_waitcnt vmcnt(1)
	v_add_co_u32_e32 v2, vcc, s8, v2
	s_waitcnt vmcnt(0)
	v_addc_co_u32_e32 v3, vcc, v56, v3, vcc
	global_store_dword v[2:3], v6, off
	v_add_f32_e32 v2, v4, v5
	v_add_f32_e32 v2, v2, v16
	v_add_f32_e32 v2, v2, v17
	v_add_f32_e32 v2, v2, v19
	v_add_f32_e32 v2, v2, v20
	v_div_fixup_f32 v4, v9, v8, 1.0
	v_mul_f32_e32 v5, v4, v2
	v_lshlrev_b64 v[2:3], 2, v[0:1]
	v_add_u32_e32 v0, s7, v0
	v_add_co_u32_e32 v2, vcc, s8, v2
	v_addc_co_u32_e32 v3, vcc, v56, v3, vcc
	v_lshlrev_b64 v[0:1], 2, v[0:1]
	global_store_dword v[2:3], v5, off
	v_add_f32_e32 v2, v40, v46
	v_add_f32_e32 v2, v2, v41
	v_add_co_u32_e32 v0, vcc, s8, v0
	v_mul_f32_e32 v2, v4, v2
	v_addc_co_u32_e32 v1, vcc, v56, v1, vcc
	global_store_dword v[0:1], v2, off
	s_endpgm
	.section	.rodata,"a",@progbits
	.p2align	6, 0x0
	.amdhsa_kernel _Z11qssa_kernelIfEvPT_S1_S1_
		.amdhsa_group_segment_fixed_size 0
		.amdhsa_private_segment_fixed_size 368
		.amdhsa_kernarg_size 280
		.amdhsa_user_sgpr_count 6
		.amdhsa_user_sgpr_private_segment_buffer 1
		.amdhsa_user_sgpr_dispatch_ptr 0
		.amdhsa_user_sgpr_queue_ptr 0
		.amdhsa_user_sgpr_kernarg_segment_ptr 1
		.amdhsa_user_sgpr_dispatch_id 0
		.amdhsa_user_sgpr_flat_scratch_init 0
		.amdhsa_user_sgpr_private_segment_size 0
		.amdhsa_uses_dynamic_stack 0
		.amdhsa_system_sgpr_private_segment_wavefront_offset 1
		.amdhsa_system_sgpr_workgroup_id_x 1
		.amdhsa_system_sgpr_workgroup_id_y 0
		.amdhsa_system_sgpr_workgroup_id_z 0
		.amdhsa_system_sgpr_workgroup_info 0
		.amdhsa_system_vgpr_workitem_id 0
		.amdhsa_next_free_vgpr 64
		.amdhsa_next_free_sgpr 24
		.amdhsa_reserve_vcc 1
		.amdhsa_reserve_flat_scratch 0
		.amdhsa_float_round_mode_32 0
		.amdhsa_float_round_mode_16_64 0
		.amdhsa_float_denorm_mode_32 3
		.amdhsa_float_denorm_mode_16_64 3
		.amdhsa_dx10_clamp 1
		.amdhsa_ieee_mode 1
		.amdhsa_fp16_overflow 0
		.amdhsa_exception_fp_ieee_invalid_op 0
		.amdhsa_exception_fp_denorm_src 0
		.amdhsa_exception_fp_ieee_div_zero 0
		.amdhsa_exception_fp_ieee_overflow 0
		.amdhsa_exception_fp_ieee_underflow 0
		.amdhsa_exception_fp_ieee_inexact 0
		.amdhsa_exception_int_div_zero 0
	.end_amdhsa_kernel
	.section	.text._Z11qssa_kernelIfEvPT_S1_S1_,"axG",@progbits,_Z11qssa_kernelIfEvPT_S1_S1_,comdat
.Lfunc_end16:
	.size	_Z11qssa_kernelIfEvPT_S1_S1_, .Lfunc_end16-_Z11qssa_kernelIfEvPT_S1_S1_
                                        ; -- End function
	.set _Z11qssa_kernelIfEvPT_S1_S1_.num_vgpr, 64
	.set _Z11qssa_kernelIfEvPT_S1_S1_.num_agpr, 0
	.set _Z11qssa_kernelIfEvPT_S1_S1_.numbered_sgpr, 24
	.set _Z11qssa_kernelIfEvPT_S1_S1_.num_named_barrier, 0
	.set _Z11qssa_kernelIfEvPT_S1_S1_.private_seg_size, 368
	.set _Z11qssa_kernelIfEvPT_S1_S1_.uses_vcc, 1
	.set _Z11qssa_kernelIfEvPT_S1_S1_.uses_flat_scratch, 0
	.set _Z11qssa_kernelIfEvPT_S1_S1_.has_dyn_sized_stack, 0
	.set _Z11qssa_kernelIfEvPT_S1_S1_.has_recursion, 0
	.set _Z11qssa_kernelIfEvPT_S1_S1_.has_indirect_call, 0
	.section	.AMDGPU.csdata,"",@progbits
; Kernel info:
; codeLenInByte = 14356
; TotalNumSgprs: 28
; NumVgprs: 64
; ScratchSize: 368
; MemoryBound: 0
; FloatMode: 240
; IeeeMode: 1
; LDSByteSize: 0 bytes/workgroup (compile time only)
; SGPRBlocks: 3
; VGPRBlocks: 15
; NumSGPRsForWavesPerEU: 28
; NumVGPRsForWavesPerEU: 64
; Occupancy: 4
; WaveLimiterHint : 0
; COMPUTE_PGM_RSRC2:SCRATCH_EN: 1
; COMPUTE_PGM_RSRC2:USER_SGPR: 6
; COMPUTE_PGM_RSRC2:TRAP_HANDLER: 0
; COMPUTE_PGM_RSRC2:TGID_X_EN: 1
; COMPUTE_PGM_RSRC2:TGID_Y_EN: 0
; COMPUTE_PGM_RSRC2:TGID_Z_EN: 0
; COMPUTE_PGM_RSRC2:TIDIG_COMP_CNT: 0
	.section	.text._Z12qssab_kernelIfEvPT_S1_S1_,"axG",@progbits,_Z12qssab_kernelIfEvPT_S1_S1_,comdat
	.protected	_Z12qssab_kernelIfEvPT_S1_S1_ ; -- Begin function _Z12qssab_kernelIfEvPT_S1_S1_
	.globl	_Z12qssab_kernelIfEvPT_S1_S1_
	.p2align	8
	.type	_Z12qssab_kernelIfEvPT_S1_S1_,@function
_Z12qssab_kernelIfEvPT_S1_S1_:          ; @_Z12qssab_kernelIfEvPT_S1_S1_
; %bb.0:
	s_load_dword s2, s[4:5], 0x24
	s_load_dword s3, s[4:5], 0x18
	s_load_dwordx2 s[0:1], s[4:5], 0x10
	v_mov_b32_e32 v29, 0
	s_waitcnt lgkmcnt(0)
	s_and_b32 s4, s2, 0xffff
	s_mul_i32 s2, s3, s4
	s_mul_i32 s3, s2, 0x57
	;; [unrolled: 1-line block ×3, first 2 shown]
	s_add_i32 s3, s3, s6
	v_add_u32_e32 v28, s3, v0
	v_mad_u64_u32 v[2:3], s[4:5], s2, 10, v[28:29]
	v_lshlrev_b64 v[0:1], 2, v[28:29]
	v_mov_b32_e32 v52, s1
	v_add_co_u32_e32 v38, vcc, s0, v0
	v_mov_b32_e32 v3, v29
	v_addc_co_u32_e32 v39, vcc, v52, v1, vcc
	v_lshlrev_b64 v[0:1], 2, v[2:3]
	v_mad_u64_u32 v[2:3], s[4:5], s2, 12, v[2:3]
	v_mov_b32_e32 v3, v29
	v_add_co_u32_e32 v0, vcc, s0, v0
	v_lshlrev_b64 v[3:4], 2, v[2:3]
	v_addc_co_u32_e32 v1, vcc, v52, v1, vcc
	v_add_co_u32_e32 v3, vcc, s0, v3
	v_addc_co_u32_e32 v4, vcc, v52, v4, vcc
	global_load_dword v5, v[38:39], off
	global_load_dword v6, v[0:1], off
	;; [unrolled: 1-line block ×3, first 2 shown]
	v_lshl_add_u32 v28, s2, 3, v2
	v_lshlrev_b64 v[2:3], 2, v[28:29]
	s_mul_i32 s1, s2, 0xffffffe6
	v_add_co_u32_e32 v2, vcc, s0, v2
	v_addc_co_u32_e32 v3, vcc, v52, v3, vcc
	v_add_u32_e32 v28, s1, v28
	s_mul_i32 s7, s2, 5
	s_mul_i32 s1, s2, 3
	;; [unrolled: 1-line block ×4, first 2 shown]
	s_waitcnt vmcnt(0)
	v_fmac_f32_e32 v5, v6, v7
	global_store_dword v[38:39], v5, off
	global_load_dword v4, v[0:1], off
	global_load_dword v6, v[2:3], off
	s_waitcnt vmcnt(0)
	v_fma_f32 v2, -v4, v6, 1.0
	v_div_scale_f32 v0, s[4:5], v2, v2, 1.0
	v_div_scale_f32 v1, vcc, 1.0, v2, 1.0
	s_mul_i32 s5, s2, 0xffffffc6
	s_mul_i32 s4, s2, 9
	v_rcp_f32_e32 v3, v0
	v_fma_f32 v4, -v0, v3, 1.0
	v_fmac_f32_e32 v3, v4, v3
	v_mul_f32_e32 v4, v1, v3
	v_fma_f32 v6, -v0, v4, v1
	v_fmac_f32_e32 v4, v6, v3
	v_fma_f32 v0, -v0, v4, v1
	v_div_fmas_f32 v3, v0, v3, v4
	v_lshlrev_b64 v[0:1], 2, v[28:29]
	v_subrev_u32_e32 v28, s2, v28
	v_add_co_u32_e32 v42, vcc, s0, v0
	v_addc_co_u32_e32 v43, vcc, v52, v1, vcc
	v_div_fixup_f32 v7, v3, v2, 1.0
	v_mul_f32_e32 v0, v5, v7
	global_store_dword v[38:39], v0, off
	global_load_dword v2, v[42:43], off
	v_lshlrev_b64 v[0:1], 2, v[28:29]
	v_add_u32_e32 v28, s5, v28
	v_add_co_u32_e32 v44, vcc, s0, v0
	v_addc_co_u32_e32 v45, vcc, v52, v1, vcc
	s_waitcnt vmcnt(0)
	v_mul_f32_e32 v0, v2, v7
	global_store_dword v[42:43], v0, off
	global_load_dword v8, v[44:45], off
	v_lshlrev_b64 v[0:1], 2, v[28:29]
	v_add_u32_e32 v28, s7, v28
	v_mad_u64_u32 v[4:5], s[8:9], s2, 17, v[28:29]
	v_lshlrev_b64 v[2:3], 2, v[28:29]
	v_add_co_u32_e32 v0, vcc, s0, v0
	v_addc_co_u32_e32 v1, vcc, v52, v1, vcc
	v_mov_b32_e32 v5, v29
	v_add_co_u32_e32 v2, vcc, s0, v2
	v_lshlrev_b64 v[5:6], 2, v[4:5]
	v_addc_co_u32_e32 v3, vcc, v52, v3, vcc
	v_add_co_u32_e32 v5, vcc, s0, v5
	v_addc_co_u32_e32 v6, vcc, v52, v6, vcc
	v_add_u32_e32 v28, s1, v4
	s_waitcnt vmcnt(0)
	v_mul_f32_e32 v7, v7, v8
	global_store_dword v[44:45], v7, off
	global_load_dword v7, v[0:1], off
	s_nop 0
	global_load_dword v8, v[2:3], off
	global_load_dword v9, v[5:6], off
	v_lshlrev_b64 v[4:5], 2, v[28:29]
	v_add_u32_e32 v28, s3, v28
	v_add_co_u32_e32 v4, vcc, s0, v4
	v_addc_co_u32_e32 v5, vcc, v52, v5, vcc
	s_lshl_b32 s3, s2, 1
	s_waitcnt vmcnt(0)
	v_fmac_f32_e32 v7, v8, v9
	global_store_dword v[0:1], v7, off
	global_load_dword v6, v[2:3], off
	global_load_dword v8, v[4:5], off
	s_waitcnt vmcnt(0)
	v_fma_f32 v4, -v6, v8, 1.0
	v_div_scale_f32 v2, s[8:9], v4, v4, 1.0
	v_div_scale_f32 v3, vcc, 1.0, v4, 1.0
	s_mul_i32 s8, s2, 7
	s_mul_i32 s9, s2, 0xffffffc8
	v_rcp_f32_e32 v5, v2
	v_fma_f32 v6, -v2, v5, 1.0
	v_fmac_f32_e32 v5, v6, v5
	v_mul_f32_e32 v6, v3, v5
	v_fma_f32 v8, -v2, v6, v3
	v_fmac_f32_e32 v6, v8, v5
	v_fma_f32 v2, -v2, v6, v3
	v_div_fmas_f32 v5, v2, v5, v6
	v_lshlrev_b64 v[2:3], 2, v[28:29]
	v_subrev_u32_e32 v28, s3, v28
	v_add_co_u32_e32 v2, vcc, s0, v2
	v_addc_co_u32_e32 v3, vcc, v52, v3, vcc
	v_div_fixup_f32 v13, v5, v4, 1.0
	v_mul_f32_e32 v4, v7, v13
	global_store_dword v[0:1], v4, off
	global_load_dword v8, v[2:3], off
	v_lshlrev_b64 v[4:5], 2, v[28:29]
	v_subrev_u32_e32 v28, s2, v28
	v_add_co_u32_e32 v6, vcc, s0, v4
	v_addc_co_u32_e32 v7, vcc, v52, v5, vcc
	s_waitcnt vmcnt(0)
	v_mul_f32_e32 v4, v8, v13
	global_store_dword v[2:3], v4, off
	global_load_dword v8, v[6:7], off
	v_lshlrev_b64 v[4:5], 2, v[28:29]
	v_add_u32_e32 v28, s8, v28
	v_add_co_u32_e32 v16, vcc, s0, v4
	v_addc_co_u32_e32 v17, vcc, v52, v5, vcc
	s_waitcnt vmcnt(0)
	v_mul_f32_e32 v4, v13, v8
	global_store_dword v[6:7], v4, off
	global_load_dword v8, v[16:17], off
	v_lshlrev_b64 v[4:5], 2, v[28:29]
	v_subrev_u32_e32 v28, s3, v28
	v_add_co_u32_e32 v48, vcc, s0, v4
	v_addc_co_u32_e32 v49, vcc, v52, v5, vcc
	s_waitcnt vmcnt(0)
	v_mul_f32_e32 v4, v13, v8
	global_store_dword v[16:17], v4, off
	global_load_dword v8, v[48:49], off
	v_lshlrev_b64 v[4:5], 2, v[28:29]
	v_add_u32_e32 v28, s7, v28
	v_add_co_u32_e32 v24, vcc, s0, v4
	v_addc_co_u32_e32 v25, vcc, v52, v5, vcc
	s_waitcnt vmcnt(0)
	v_mul_f32_e32 v4, v13, v8
	global_store_dword v[48:49], v4, off
	global_load_dword v18, v[24:25], off
	v_lshlrev_b64 v[4:5], 2, v[28:29]
	v_add_u32_e32 v28, s4, v28
	v_mad_u64_u32 v[10:11], s[10:11], s2, 46, v[28:29]
	v_lshlrev_b64 v[8:9], 2, v[28:29]
	v_add_co_u32_e32 v4, vcc, s0, v4
	v_addc_co_u32_e32 v5, vcc, v52, v5, vcc
	v_mov_b32_e32 v11, v29
	v_add_co_u32_e32 v8, vcc, s0, v8
	v_lshlrev_b64 v[11:12], 2, v[10:11]
	v_addc_co_u32_e32 v9, vcc, v52, v9, vcc
	v_add_co_u32_e32 v14, vcc, s0, v11
	v_addc_co_u32_e32 v15, vcc, v52, v12, vcc
	v_add_u32_e32 v28, s6, v10
	s_mul_i32 s6, s2, -3
	s_waitcnt vmcnt(0)
	v_mul_f32_e32 v11, v13, v18
	global_store_dword v[24:25], v11, off
	global_load_dword v22, v[4:5], off
	global_load_dword v23, v[8:9], off
	;; [unrolled: 1-line block ×3, first 2 shown]
	v_mad_u64_u32 v[12:13], s[10:11], s2, 55, v[28:29]
	v_lshlrev_b64 v[10:11], 2, v[28:29]
	v_mov_b32_e32 v13, v29
	v_add_co_u32_e32 v10, vcc, s0, v10
	v_lshlrev_b64 v[18:19], 2, v[12:13]
	v_addc_co_u32_e32 v11, vcc, v52, v11, vcc
	v_add_co_u32_e32 v20, vcc, s0, v18
	v_addc_co_u32_e32 v21, vcc, v52, v19, vcc
	v_add_u32_e32 v28, s6, v12
	v_lshlrev_b64 v[12:13], 2, v[28:29]
	v_add_u32_e32 v28, s9, v28
	s_waitcnt vmcnt(0)
	v_fmac_f32_e32 v22, v23, v26
	global_store_dword v[4:5], v22, off
	global_load_dword v18, v[10:11], off
	global_load_dword v19, v[20:21], off
	;; [unrolled: 1-line block ×3, first 2 shown]
	v_add_co_u32_e32 v22, vcc, s0, v12
	v_addc_co_u32_e32 v23, vcc, v52, v13, vcc
	s_waitcnt vmcnt(0)
	v_fmac_f32_e32 v18, v26, v19
	global_store_dword v[10:11], v18, off
	global_load_dword v8, v[8:9], off
	s_nop 0
	global_load_dword v9, v[22:23], off
	global_load_dword v12, v[4:5], off
	s_waitcnt vmcnt(1)
	v_fma_f32 v13, -v8, v9, 1.0
	v_div_scale_f32 v8, s[10:11], v13, v13, 1.0
	v_div_scale_f32 v9, vcc, 1.0, v13, 1.0
	v_rcp_f32_e32 v18, v8
	v_fma_f32 v19, -v8, v18, 1.0
	v_fmac_f32_e32 v18, v19, v18
	v_mul_f32_e32 v19, v9, v18
	v_fma_f32 v26, -v8, v19, v9
	v_fmac_f32_e32 v19, v26, v18
	v_fma_f32 v8, -v8, v19, v9
	v_div_fmas_f32 v18, v8, v18, v19
	v_lshlrev_b64 v[8:9], 2, v[28:29]
	v_subrev_u32_e32 v28, s2, v28
	v_add_co_u32_e32 v8, vcc, s0, v8
	v_addc_co_u32_e32 v9, vcc, v52, v9, vcc
	v_div_fixup_f32 v32, v18, v13, 1.0
	s_waitcnt vmcnt(0)
	v_mul_f32_e32 v12, v12, v32
	global_store_dword v[4:5], v12, off
	global_load_dword v12, v[8:9], off
	s_waitcnt vmcnt(0)
	v_mul_f32_e32 v12, v12, v32
	global_store_dword v[8:9], v12, off
	global_load_dword v26, v[10:11], off
	v_lshlrev_b64 v[12:13], 2, v[28:29]
	v_subrev_u32_e32 v28, s2, v28
	v_add_co_u32_e32 v18, vcc, s0, v12
	v_addc_co_u32_e32 v19, vcc, v52, v13, vcc
	s_waitcnt vmcnt(0)
	v_mul_f32_e32 v12, v32, v26
	global_store_dword v[10:11], v12, off
	global_load_dword v26, v[18:19], off
	v_lshlrev_b64 v[12:13], 2, v[28:29]
	v_add_u32_e32 v28, s8, v28
	v_add_co_u32_e32 v46, vcc, s0, v12
	v_addc_co_u32_e32 v47, vcc, v52, v13, vcc
	s_waitcnt vmcnt(0)
	v_mul_f32_e32 v12, v32, v26
	global_store_dword v[18:19], v12, off
	global_load_dword v26, v[46:47], off
	v_lshlrev_b64 v[12:13], 2, v[28:29]
	v_add_co_u32_e32 v50, vcc, s0, v12
	v_addc_co_u32_e32 v51, vcc, v52, v13, vcc
	s_waitcnt vmcnt(0)
	v_mul_f32_e32 v12, v32, v26
	global_store_dword v[46:47], v12, off
	global_load_dword v33, v[50:51], off
	v_mad_u64_u32 v[12:13], s[10:11], s2, 25, v[28:29]
	v_mov_b32_e32 v13, v29
	v_lshlrev_b64 v[26:27], 2, v[12:13]
	v_add_u32_e32 v28, s4, v12
	v_lshlrev_b64 v[30:31], 2, v[28:29]
	v_add_co_u32_e32 v12, vcc, s0, v26
	v_addc_co_u32_e32 v13, vcc, v52, v27, vcc
	v_add_co_u32_e32 v26, vcc, s0, v30
	v_addc_co_u32_e32 v27, vcc, v52, v31, vcc
	s_mul_i32 s4, s2, -5
	v_add_u32_e32 v28, s4, v28
	s_waitcnt vmcnt(0)
	v_mul_f32_e32 v30, v32, v33
	global_store_dword v[50:51], v30, off
	global_load_dword v30, v[12:13], off
	s_nop 0
	global_load_dword v31, v[26:27], off
	global_load_dword v32, v[14:15], off
	v_lshlrev_b64 v[14:15], 2, v[28:29]
	v_subrev_u32_e32 v28, s3, v28
	v_add_co_u32_e32 v14, vcc, s0, v14
	v_addc_co_u32_e32 v15, vcc, v52, v15, vcc
	s_waitcnt vmcnt(0)
	v_fmac_f32_e32 v30, v31, v32
	global_store_dword v[12:13], v30, off
	global_load_dword v30, v[14:15], off
	s_nop 0
	global_load_dword v31, v[26:27], off
	s_nop 0
	global_load_dword v22, v[22:23], off
	s_waitcnt vmcnt(0)
	v_fmac_f32_e32 v30, v31, v22
	global_store_dword v[14:15], v30, off
	global_load_dword v22, v[26:27], off
	s_nop 0
	global_load_dword v20, v[20:21], off
	s_nop 0
	global_load_dword v21, v[12:13], off
	s_waitcnt vmcnt(1)
	v_fma_f32 v20, -v22, v20, 1.0
	v_div_scale_f32 v22, s[10:11], v20, v20, 1.0
	v_div_scale_f32 v23, vcc, 1.0, v20, 1.0
	v_rcp_f32_e32 v26, v22
	v_fma_f32 v27, -v22, v26, 1.0
	v_fmac_f32_e32 v26, v27, v26
	v_mul_f32_e32 v27, v23, v26
	v_fma_f32 v30, -v22, v27, v23
	v_fmac_f32_e32 v27, v30, v26
	v_fma_f32 v22, -v22, v27, v23
	v_div_fmas_f32 v22, v22, v26, v27
	v_div_fixup_f32 v22, v22, v20, 1.0
	s_waitcnt vmcnt(0)
	v_mul_f32_e32 v20, v21, v22
	global_store_dword v[12:13], v20, off
	global_load_dword v23, v[14:15], off
	v_lshlrev_b64 v[20:21], 2, v[28:29]
	v_subrev_u32_e32 v28, s2, v28
	v_add_co_u32_e32 v20, vcc, s0, v20
	v_addc_co_u32_e32 v21, vcc, v52, v21, vcc
	v_lshlrev_b64 v[26:27], 2, v[28:29]
	v_add_u32_e32 v28, s7, v28
	v_add_co_u32_e32 v26, vcc, s0, v26
	v_addc_co_u32_e32 v27, vcc, v52, v27, vcc
	v_lshlrev_b64 v[30:31], 2, v[28:29]
	s_mul_i32 s7, s2, 0xffffffef
	v_add_co_u32_e32 v30, vcc, s0, v30
	v_addc_co_u32_e32 v31, vcc, v52, v31, vcc
	v_add_u32_e32 v28, s7, v28
	v_lshlrev_b64 v[32:33], 2, v[28:29]
	v_add_u32_e32 v28, s8, v28
	v_add_co_u32_e32 v32, vcc, s0, v32
	v_addc_co_u32_e32 v33, vcc, v52, v33, vcc
	s_mul_i32 s7, s2, 0xffffffdf
	s_waitcnt vmcnt(0)
	v_mul_f32_e32 v23, v23, v22
	global_store_dword v[14:15], v23, off
	global_load_dword v23, v[20:21], off
	s_waitcnt vmcnt(0)
	v_mul_f32_e32 v23, v22, v23
	global_store_dword v[20:21], v23, off
	global_load_dword v23, v[26:27], off
	;; [unrolled: 4-line block ×4, first 2 shown]
	global_load_dword v35, v[24:25], off
	global_load_dword v40, v[32:33], off
	v_lshlrev_b64 v[22:23], 2, v[28:29]
	v_add_u32_e32 v28, s7, v28
	v_add_co_u32_e32 v36, vcc, s0, v22
	v_addc_co_u32_e32 v37, vcc, v52, v23, vcc
	v_lshlrev_b64 v[22:23], 2, v[28:29]
	v_add_co_u32_e32 v22, vcc, s0, v22
	v_addc_co_u32_e32 v23, vcc, v52, v23, vcc
	s_waitcnt vmcnt(0)
	v_fmac_f32_e32 v34, v35, v40
	global_store_dword v[0:1], v34, off
	global_load_dword v53, v[24:25], off
	global_load_dword v54, v[36:37], off
	v_mad_u64_u32 v[34:35], s[8:9], s2, 28, v[28:29]
	v_mov_b32_e32 v35, v29
	v_lshlrev_b64 v[40:41], 2, v[34:35]
	v_add_co_u32_e32 v40, vcc, s0, v40
	v_addc_co_u32_e32 v41, vcc, v52, v41, vcc
	s_waitcnt vmcnt(0)
	v_mul_f32_e32 v28, v53, v54
	global_store_dword v[22:23], v28, off
	global_load_dword v53, v[6:7], off
	global_load_dword v54, v[24:25], off
	;; [unrolled: 1-line block ×3, first 2 shown]
	v_add_u32_e32 v28, s2, v34
	v_lshlrev_b64 v[34:35], 2, v[28:29]
	v_add_co_u32_e32 v34, vcc, s0, v34
	v_addc_co_u32_e32 v35, vcc, v52, v35, vcc
	s_waitcnt vmcnt(0)
	v_fmac_f32_e32 v53, v54, v55
	global_store_dword v[6:7], v53, off
	global_load_dword v24, v[24:25], off
	s_nop 0
	global_load_dword v25, v[34:35], off
	global_load_dword v53, v[0:1], off
	s_waitcnt vmcnt(1)
	v_fma_f32 v24, -v24, v25, 1.0
	v_div_scale_f32 v25, s[8:9], v24, v24, 1.0
	v_div_scale_f32 v54, vcc, 1.0, v24, 1.0
	v_rcp_f32_e32 v55, v25
	v_fma_f32 v56, -v25, v55, 1.0
	v_fmac_f32_e32 v55, v56, v55
	v_mul_f32_e32 v56, v54, v55
	v_fma_f32 v57, -v25, v56, v54
	v_fmac_f32_e32 v56, v57, v55
	v_fma_f32 v25, -v25, v56, v54
	v_div_fmas_f32 v25, v25, v55, v56
	v_mad_u64_u32 v[54:55], s[8:9], s2, 11, v[28:29]
	v_mov_b32_e32 v55, v29
	v_div_fixup_f32 v24, v25, v24, 1.0
	s_waitcnt vmcnt(0)
	v_mul_f32_e32 v25, v53, v24
	global_store_dword v[0:1], v25, off
	global_load_dword v25, v[2:3], off
	s_waitcnt vmcnt(0)
	v_mul_f32_e32 v25, v25, v24
	global_store_dword v[2:3], v25, off
	global_load_dword v25, v[22:23], off
	;; [unrolled: 4-line block ×6, first 2 shown]
	s_nop 0
	global_load_dword v25, v[30:31], off
	global_load_dword v53, v[32:33], off
	s_waitcnt vmcnt(0)
	v_fmac_f32_e32 v24, v25, v53
	global_store_dword v[12:13], v24, off
	global_load_dword v53, v[30:31], off
	global_load_dword v56, v[34:35], off
	v_lshlrev_b64 v[24:25], 2, v[54:55]
	v_add_co_u32_e32 v24, vcc, s0, v24
	v_addc_co_u32_e32 v25, vcc, v52, v25, vcc
	s_waitcnt vmcnt(0)
	v_mul_f32_e32 v28, v53, v56
	global_store_dword v[24:25], v28, off
	global_load_dword v28, v[20:21], off
	s_nop 0
	global_load_dword v53, v[30:31], off
	global_load_dword v55, v[40:41], off
	s_waitcnt vmcnt(0)
	v_fmac_f32_e32 v28, v53, v55
	global_store_dword v[20:21], v28, off
	global_load_dword v28, v[30:31], off
	s_nop 0
	global_load_dword v30, v[36:37], off
	global_load_dword v53, v[12:13], off
	s_waitcnt vmcnt(1)
	v_fma_f32 v57, -v28, v30, 1.0
	v_div_scale_f32 v28, s[8:9], v57, v57, 1.0
	v_div_scale_f32 v30, vcc, 1.0, v57, 1.0
	v_rcp_f32_e32 v31, v28
	v_fma_f32 v55, -v28, v31, 1.0
	v_fmac_f32_e32 v31, v55, v31
	v_mul_f32_e32 v55, v30, v31
	v_fma_f32 v56, -v28, v55, v30
	v_fmac_f32_e32 v55, v56, v31
	v_fma_f32 v28, -v28, v55, v30
	v_div_fmas_f32 v58, v28, v31, v55
	v_add_u32_e32 v28, s5, v54
	v_lshlrev_b64 v[30:31], 2, v[28:29]
	v_mad_u64_u32 v[54:55], s[8:9], s2, 6, v[28:29]
	v_mov_b32_e32 v55, v29
	v_add_co_u32_e32 v30, vcc, s0, v30
	v_lshlrev_b64 v[55:56], 2, v[54:55]
	v_addc_co_u32_e32 v31, vcc, v52, v31, vcc
	v_add_co_u32_e32 v55, vcc, s0, v55
	v_addc_co_u32_e32 v56, vcc, v52, v56, vcc
	s_lshl_b32 s5, s2, 2
	v_div_fixup_f32 v28, v58, v57, 1.0
	s_waitcnt vmcnt(0)
	v_mul_f32_e32 v53, v53, v28
	global_store_dword v[12:13], v53, off
	global_load_dword v53, v[14:15], off
	s_waitcnt vmcnt(0)
	v_mul_f32_e32 v53, v53, v28
	global_store_dword v[14:15], v53, off
	global_load_dword v53, v[24:25], off
	;; [unrolled: 4-line block ×5, first 2 shown]
	global_load_dword v57, v[55:56], off
	global_load_dword v58, v[32:33], off
	v_add_u32_e32 v28, s6, v54
	v_lshlrev_b64 v[32:33], 2, v[28:29]
	v_add_u32_e32 v28, s5, v28
	v_add_co_u32_e32 v32, vcc, s0, v32
	v_addc_co_u32_e32 v33, vcc, v52, v33, vcc
	s_waitcnt vmcnt(0)
	v_fmac_f32_e32 v53, v57, v58
	global_store_dword v[30:31], v53, off
	global_load_dword v53, v[32:33], off
	s_nop 0
	global_load_dword v54, v[55:56], off
	global_load_dword v57, v[34:35], off
	v_lshlrev_b64 v[34:35], 2, v[28:29]
	v_add_u32_e32 v28, s6, v28
	v_add_co_u32_e32 v34, vcc, s0, v34
	v_addc_co_u32_e32 v35, vcc, v52, v35, vcc
	s_waitcnt vmcnt(0)
	v_fmac_f32_e32 v53, v54, v57
	global_store_dword v[32:33], v53, off
	global_load_dword v53, v[34:35], off
	s_nop 0
	global_load_dword v54, v[55:56], off
	s_nop 0
	global_load_dword v36, v[36:37], off
	s_waitcnt vmcnt(0)
	v_fmac_f32_e32 v53, v54, v36
	global_store_dword v[34:35], v53, off
	global_load_dword v36, v[55:56], off
	global_load_dword v37, v[40:41], off
	s_nop 0
	global_load_dword v40, v[30:31], off
	s_waitcnt vmcnt(1)
	v_fma_f32 v41, -v36, v37, 1.0
	v_div_scale_f32 v36, s[8:9], v41, v41, 1.0
	v_div_scale_f32 v37, vcc, 1.0, v41, 1.0
	v_rcp_f32_e32 v53, v36
	v_fma_f32 v54, -v36, v53, 1.0
	v_fmac_f32_e32 v53, v54, v53
	v_mul_f32_e32 v54, v37, v53
	v_fma_f32 v55, -v36, v54, v37
	v_fmac_f32_e32 v54, v55, v53
	v_fma_f32 v36, -v36, v54, v37
	v_div_fmas_f32 v53, v36, v53, v54
	v_lshlrev_b64 v[36:37], 2, v[28:29]
	v_add_u32_e32 v28, s6, v28
	v_add_co_u32_e32 v36, vcc, s0, v36
	v_addc_co_u32_e32 v37, vcc, v52, v37, vcc
	v_div_fixup_f32 v53, v53, v41, 1.0
	s_waitcnt vmcnt(0)
	v_mul_f32_e32 v40, v40, v53
	global_store_dword v[30:31], v40, off
	global_load_dword v40, v[36:37], off
	s_waitcnt vmcnt(0)
	v_mul_f32_e32 v40, v40, v53
	global_store_dword v[36:37], v40, off
	global_load_dword v40, v[32:33], off
	;; [unrolled: 4-line block ×3, first 2 shown]
	v_lshlrev_b64 v[40:41], 2, v[28:29]
	v_add_co_u32_e32 v40, vcc, s0, v40
	v_addc_co_u32_e32 v41, vcc, v52, v41, vcc
	s_waitcnt vmcnt(0)
	v_mul_f32_e32 v54, v53, v54
	global_store_dword v[34:35], v54, off
	global_load_dword v54, v[40:41], off
	s_waitcnt vmcnt(0)
	v_mul_f32_e32 v53, v53, v54
	global_store_dword v[40:41], v53, off
	global_load_dword v53, v[4:5], off
	s_nop 0
	global_load_dword v54, v[50:51], off
	global_load_dword v55, v[38:39], off
	s_waitcnt vmcnt(0)
	v_fmac_f32_e32 v53, v54, v55
	global_store_dword v[4:5], v53, off
	global_load_dword v53, v[8:9], off
	s_nop 0
	global_load_dword v54, v[50:51], off
	global_load_dword v55, v[44:45], off
	s_waitcnt vmcnt(0)
	v_fmac_f32_e32 v53, v54, v55
	global_store_dword v[8:9], v53, off
	global_load_dword v50, v[50:51], off
	s_nop 0
	global_load_dword v51, v[42:43], off
	global_load_dword v53, v[4:5], off
	s_waitcnt vmcnt(1)
	v_fma_f32 v50, -v50, v51, 1.0
	v_div_scale_f32 v51, s[6:7], v50, v50, 1.0
	v_div_scale_f32 v54, vcc, 1.0, v50, 1.0
	v_rcp_f32_e32 v55, v51
	v_fma_f32 v56, -v51, v55, 1.0
	v_fmac_f32_e32 v55, v56, v55
	v_mul_f32_e32 v56, v54, v55
	v_fma_f32 v57, -v51, v56, v54
	v_fmac_f32_e32 v56, v57, v55
	v_fma_f32 v51, -v51, v56, v54
	v_div_fmas_f32 v51, v51, v55, v56
	v_div_fixup_f32 v50, v51, v50, 1.0
	s_waitcnt vmcnt(0)
	v_mul_f32_e32 v51, v53, v50
	global_store_dword v[4:5], v51, off
	global_load_dword v51, v[8:9], off
	s_waitcnt vmcnt(0)
	v_mul_f32_e32 v51, v51, v50
	global_store_dword v[8:9], v51, off
	global_load_dword v51, v[10:11], off
	;; [unrolled: 4-line block ×5, first 2 shown]
	s_nop 0
	global_load_dword v51, v[48:49], off
	s_nop 0
	global_load_dword v38, v[38:39], off
	s_waitcnt vmcnt(0)
	v_fmac_f32_e32 v50, v51, v38
	global_store_dword v[0:1], v50, off
	global_load_dword v38, v[2:3], off
	global_load_dword v39, v[48:49], off
	s_nop 0
	global_load_dword v42, v[42:43], off
	s_waitcnt vmcnt(0)
	v_fmac_f32_e32 v38, v39, v42
	global_store_dword v[2:3], v38, off
	global_load_dword v38, v[48:49], off
	s_nop 0
	global_load_dword v39, v[44:45], off
	global_load_dword v43, v[0:1], off
	s_waitcnt vmcnt(1)
	v_fma_f32 v38, -v38, v39, 1.0
	v_div_scale_f32 v39, s[6:7], v38, v38, 1.0
	v_div_scale_f32 v42, vcc, 1.0, v38, 1.0
	v_rcp_f32_e32 v44, v39
	v_fma_f32 v45, -v39, v44, 1.0
	v_fmac_f32_e32 v44, v45, v44
	v_mul_f32_e32 v45, v42, v44
	v_fma_f32 v48, -v39, v45, v42
	v_fmac_f32_e32 v45, v48, v44
	v_fma_f32 v39, -v39, v45, v42
	v_div_fmas_f32 v39, v39, v44, v45
	v_mad_u64_u32 v[44:45], s[6:7], s2, -12, v[28:29]
	v_mov_b32_e32 v45, v29
	v_div_fixup_f32 v42, v39, v38, 1.0
	s_waitcnt vmcnt(0)
	v_mul_f32_e32 v38, v43, v42
	global_store_dword v[0:1], v38, off
	global_load_dword v38, v[2:3], off
	s_waitcnt vmcnt(0)
	v_mul_f32_e32 v38, v38, v42
	global_store_dword v[2:3], v38, off
	global_load_dword v38, v[22:23], off
	;; [unrolled: 4-line block ×4, first 2 shown]
	v_lshlrev_b64 v[38:39], 2, v[44:45]
	v_add_co_u32_e32 v38, vcc, s0, v38
	v_addc_co_u32_e32 v39, vcc, v52, v39, vcc
	s_waitcnt vmcnt(0)
	v_mul_f32_e32 v28, v42, v43
	global_store_dword v[16:17], v28, off
	global_load_dword v45, v[4:5], off
	global_load_dword v48, v[46:47], off
	;; [unrolled: 1-line block ×3, first 2 shown]
	v_add_u32_e32 v28, s1, v44
	v_lshlrev_b64 v[42:43], 2, v[28:29]
	v_add_u32_e32 v28, s5, v28
	v_add_co_u32_e32 v42, vcc, s0, v42
	v_addc_co_u32_e32 v43, vcc, v52, v43, vcc
	s_waitcnt vmcnt(0)
	v_fmac_f32_e32 v45, v48, v49
	global_store_dword v[4:5], v45, off
	global_load_dword v48, v[8:9], off
	global_load_dword v49, v[46:47], off
	;; [unrolled: 1-line block ×3, first 2 shown]
	v_lshlrev_b64 v[44:45], 2, v[28:29]
	v_add_u32_e32 v28, s4, v28
	v_add_co_u32_e32 v44, vcc, s0, v44
	v_addc_co_u32_e32 v45, vcc, v52, v45, vcc
	s_waitcnt vmcnt(0)
	v_fmac_f32_e32 v48, v49, v50
	global_store_dword v[8:9], v48, off
	global_load_dword v50, v[10:11], off
	global_load_dword v51, v[46:47], off
	;; [unrolled: 1-line block ×3, first 2 shown]
	v_lshlrev_b64 v[48:49], 2, v[28:29]
	v_add_u32_e32 v28, s3, v28
	v_add_co_u32_e32 v48, vcc, s0, v48
	v_addc_co_u32_e32 v49, vcc, v52, v49, vcc
	v_lshlrev_b64 v[28:29], 2, v[28:29]
	v_add_co_u32_e32 v28, vcc, s0, v28
	v_addc_co_u32_e32 v29, vcc, v52, v29, vcc
	s_waitcnt vmcnt(0)
	v_fmac_f32_e32 v50, v51, v53
	global_store_dword v[10:11], v50, off
	global_load_dword v50, v[18:19], off
	s_nop 0
	global_load_dword v51, v[46:47], off
	global_load_dword v53, v[48:49], off
	s_waitcnt vmcnt(0)
	v_fmac_f32_e32 v50, v51, v53
	global_store_dword v[18:19], v50, off
	global_load_dword v46, v[46:47], off
	s_nop 0
	global_load_dword v47, v[28:29], off
	global_load_dword v50, v[4:5], off
	s_waitcnt vmcnt(1)
	v_fma_f32 v46, -v46, v47, 1.0
	v_div_scale_f32 v47, s[0:1], v46, v46, 1.0
	v_div_scale_f32 v51, vcc, 1.0, v46, 1.0
	v_rcp_f32_e32 v52, v47
	v_fma_f32 v53, -v47, v52, 1.0
	v_fmac_f32_e32 v52, v53, v52
	v_mul_f32_e32 v53, v51, v52
	v_fma_f32 v54, -v47, v53, v51
	v_fmac_f32_e32 v53, v54, v52
	v_fma_f32 v47, -v47, v53, v51
	v_div_fmas_f32 v47, v47, v52, v53
	v_div_fixup_f32 v46, v47, v46, 1.0
	s_waitcnt vmcnt(0)
	v_mul_f32_e32 v47, v50, v46
	global_store_dword v[4:5], v47, off
	global_load_dword v47, v[8:9], off
	s_waitcnt vmcnt(0)
	v_mul_f32_e32 v47, v47, v46
	global_store_dword v[8:9], v47, off
	global_load_dword v47, v[10:11], off
	s_waitcnt vmcnt(0)
	v_mul_f32_e32 v47, v46, v47
	global_store_dword v[10:11], v47, off
	global_load_dword v47, v[18:19], off
	s_waitcnt vmcnt(0)
	v_mul_f32_e32 v46, v46, v47
	global_store_dword v[18:19], v46, off
	global_load_dword v46, v[0:1], off
	s_nop 0
	global_load_dword v47, v[16:17], off
	global_load_dword v50, v[38:39], off
	s_waitcnt vmcnt(0)
	v_fmac_f32_e32 v46, v47, v50
	global_store_dword v[0:1], v46, off
	global_load_dword v46, v[2:3], off
	s_nop 0
	global_load_dword v47, v[16:17], off
	global_load_dword v50, v[28:29], off
	s_waitcnt vmcnt(0)
	v_fmac_f32_e32 v46, v47, v50
	global_store_dword v[2:3], v46, off
	global_load_dword v46, v[22:23], off
	s_nop 0
	global_load_dword v47, v[44:45], off
	global_load_dword v50, v[16:17], off
	s_waitcnt vmcnt(0)
	v_fmac_f32_e32 v46, v50, v47
	global_store_dword v[22:23], v46, off
	global_load_dword v46, v[6:7], off
	s_nop 0
	global_load_dword v47, v[16:17], off
	global_load_dword v50, v[48:49], off
	s_waitcnt vmcnt(0)
	v_fmac_f32_e32 v46, v47, v50
	global_store_dword v[6:7], v46, off
	global_load_dword v16, v[16:17], off
	s_nop 0
	global_load_dword v17, v[42:43], off
	global_load_dword v46, v[0:1], off
	s_waitcnt vmcnt(1)
	v_fma_f32 v16, -v16, v17, 1.0
	v_div_scale_f32 v17, s[0:1], v16, v16, 1.0
	v_div_scale_f32 v47, vcc, 1.0, v16, 1.0
	v_rcp_f32_e32 v50, v17
	v_fma_f32 v51, -v17, v50, 1.0
	v_fmac_f32_e32 v50, v51, v50
	v_mul_f32_e32 v51, v47, v50
	v_fma_f32 v52, -v17, v51, v47
	v_fmac_f32_e32 v51, v52, v50
	v_fma_f32 v17, -v17, v51, v47
	v_div_fmas_f32 v17, v17, v50, v51
	v_div_fixup_f32 v16, v17, v16, 1.0
	s_waitcnt vmcnt(0)
	v_mul_f32_e32 v17, v46, v16
	global_store_dword v[0:1], v17, off
	global_load_dword v17, v[2:3], off
	s_waitcnt vmcnt(0)
	v_mul_f32_e32 v17, v17, v16
	global_store_dword v[2:3], v17, off
	global_load_dword v17, v[22:23], off
	s_waitcnt vmcnt(0)
	v_mul_f32_e32 v17, v16, v17
	global_store_dword v[22:23], v17, off
	global_load_dword v17, v[6:7], off
	s_waitcnt vmcnt(0)
	v_mul_f32_e32 v16, v16, v17
	global_store_dword v[6:7], v16, off
	global_load_dword v16, v[12:13], off
	s_nop 0
	global_load_dword v17, v[26:27], off
	global_load_dword v46, v[38:39], off
	s_waitcnt vmcnt(0)
	v_fmac_f32_e32 v16, v17, v46
	global_store_dword v[12:13], v16, off
	global_load_dword v16, v[14:15], off
	s_nop 0
	global_load_dword v17, v[26:27], off
	global_load_dword v46, v[28:29], off
	s_waitcnt vmcnt(0)
	v_fmac_f32_e32 v16, v17, v46
	global_store_dword v[14:15], v16, off
	global_load_dword v16, v[24:25], off
	s_nop 0
	global_load_dword v17, v[42:43], off
	global_load_dword v46, v[26:27], off
	;; [unrolled: 60-line block ×4, first 2 shown]
	s_waitcnt vmcnt(0)
	v_fmac_f32_e32 v16, v17, v26
	global_store_dword v[10:11], v16, off
	global_load_dword v16, v[18:19], off
	s_nop 0
	global_load_dword v17, v[36:37], off
	global_load_dword v18, v[4:5], off
	s_waitcnt vmcnt(1)
	v_fma_f32 v16, -v16, v17, 1.0
	v_div_scale_f32 v17, s[0:1], v16, v16, 1.0
	v_div_scale_f32 v19, vcc, 1.0, v16, 1.0
	v_rcp_f32_e32 v26, v17
	v_fma_f32 v27, -v17, v26, 1.0
	v_fmac_f32_e32 v26, v27, v26
	v_mul_f32_e32 v27, v19, v26
	v_fma_f32 v28, -v17, v27, v19
	v_fmac_f32_e32 v27, v28, v26
	v_fma_f32 v17, -v17, v27, v19
	v_div_fmas_f32 v17, v17, v26, v27
	v_div_fixup_f32 v16, v17, v16, 1.0
	s_waitcnt vmcnt(0)
	v_mul_f32_e32 v17, v18, v16
	global_store_dword v[4:5], v17, off
	global_load_dword v17, v[8:9], off
	s_waitcnt vmcnt(0)
	v_mul_f32_e32 v17, v17, v16
	global_store_dword v[8:9], v17, off
	global_load_dword v17, v[10:11], off
	s_waitcnt vmcnt(0)
	v_mul_f32_e32 v16, v16, v17
	global_store_dword v[10:11], v16, off
	global_load_dword v16, v[0:1], off
	s_nop 0
	global_load_dword v17, v[6:7], off
	global_load_dword v18, v[30:31], off
	s_waitcnt vmcnt(0)
	v_fmac_f32_e32 v16, v17, v18
	global_store_dword v[0:1], v16, off
	global_load_dword v16, v[2:3], off
	s_nop 0
	global_load_dword v17, v[6:7], off
	global_load_dword v18, v[36:37], off
	s_waitcnt vmcnt(0)
	v_fmac_f32_e32 v16, v17, v18
	global_store_dword v[2:3], v16, off
	global_load_dword v16, v[22:23], off
	s_nop 0
	global_load_dword v17, v[34:35], off
	global_load_dword v18, v[6:7], off
	s_waitcnt vmcnt(0)
	v_fmac_f32_e32 v16, v18, v17
	global_store_dword v[22:23], v16, off
	global_load_dword v6, v[6:7], off
	s_nop 0
	global_load_dword v7, v[32:33], off
	global_load_dword v16, v[0:1], off
	s_waitcnt vmcnt(1)
	v_fma_f32 v6, -v6, v7, 1.0
	v_div_scale_f32 v7, s[0:1], v6, v6, 1.0
	v_div_scale_f32 v17, vcc, 1.0, v6, 1.0
	v_rcp_f32_e32 v18, v7
	v_fma_f32 v19, -v7, v18, 1.0
	v_fmac_f32_e32 v18, v19, v18
	v_mul_f32_e32 v19, v17, v18
	v_fma_f32 v26, -v7, v19, v17
	v_fmac_f32_e32 v19, v26, v18
	v_fma_f32 v7, -v7, v19, v17
	v_div_fmas_f32 v7, v7, v18, v19
	v_div_fixup_f32 v6, v7, v6, 1.0
	s_waitcnt vmcnt(0)
	v_mul_f32_e32 v7, v16, v6
	global_store_dword v[0:1], v7, off
	global_load_dword v7, v[2:3], off
	s_waitcnt vmcnt(0)
	v_mul_f32_e32 v7, v7, v6
	global_store_dword v[2:3], v7, off
	global_load_dword v7, v[22:23], off
	s_waitcnt vmcnt(0)
	v_mul_f32_e32 v6, v6, v7
	global_store_dword v[22:23], v6, off
	global_load_dword v6, v[12:13], off
	s_nop 0
	global_load_dword v7, v[20:21], off
	global_load_dword v16, v[30:31], off
	s_waitcnt vmcnt(0)
	v_fmac_f32_e32 v6, v7, v16
	global_store_dword v[12:13], v6, off
	global_load_dword v6, v[14:15], off
	s_nop 0
	global_load_dword v7, v[20:21], off
	global_load_dword v16, v[36:37], off
	s_waitcnt vmcnt(0)
	v_fmac_f32_e32 v6, v7, v16
	global_store_dword v[14:15], v6, off
	global_load_dword v6, v[24:25], off
	s_nop 0
	global_load_dword v7, v[32:33], off
	global_load_dword v16, v[20:21], off
	;; [unrolled: 49-line block ×3, first 2 shown]
	s_waitcnt vmcnt(1)
	v_fma_f32 v6, -v6, v7, 1.0
	v_div_scale_f32 v7, s[0:1], v6, v6, 1.0
	v_div_scale_f32 v10, vcc, 1.0, v6, 1.0
	v_rcp_f32_e32 v11, v7
	v_fma_f32 v17, -v7, v11, 1.0
	v_fmac_f32_e32 v11, v17, v11
	v_mul_f32_e32 v17, v10, v11
	v_fma_f32 v18, -v7, v17, v10
	v_fmac_f32_e32 v17, v18, v11
	v_fma_f32 v7, -v7, v17, v10
	v_div_fmas_f32 v7, v7, v11, v17
	v_div_fixup_f32 v6, v7, v6, 1.0
	s_waitcnt vmcnt(0)
	v_mul_f32_e32 v7, v16, v6
	global_store_dword v[4:5], v7, off
	global_load_dword v7, v[8:9], off
	s_waitcnt vmcnt(0)
	v_mul_f32_e32 v6, v7, v6
	global_store_dword v[8:9], v6, off
	global_load_dword v6, v[0:1], off
	s_nop 0
	global_load_dword v7, v[22:23], off
	global_load_dword v10, v[12:13], off
	s_waitcnt vmcnt(0)
	v_fmac_f32_e32 v6, v7, v10
	global_store_dword v[0:1], v6, off
	global_load_dword v6, v[2:3], off
	s_nop 0
	global_load_dword v7, v[22:23], off
	global_load_dword v10, v[14:15], off
	s_waitcnt vmcnt(0)
	v_fmac_f32_e32 v6, v7, v10
	global_store_dword v[2:3], v6, off
	global_load_dword v6, v[22:23], off
	s_nop 0
	global_load_dword v7, v[24:25], off
	global_load_dword v10, v[0:1], off
	s_waitcnt vmcnt(1)
	v_fma_f32 v6, -v6, v7, 1.0
	v_div_scale_f32 v7, s[0:1], v6, v6, 1.0
	v_div_scale_f32 v11, vcc, 1.0, v6, 1.0
	v_rcp_f32_e32 v12, v7
	v_fma_f32 v13, -v7, v12, 1.0
	v_fmac_f32_e32 v12, v13, v12
	v_mul_f32_e32 v13, v11, v12
	v_fma_f32 v14, -v7, v13, v11
	v_fmac_f32_e32 v13, v14, v12
	v_fma_f32 v7, -v7, v13, v11
	v_div_fmas_f32 v7, v7, v12, v13
	v_div_fixup_f32 v6, v7, v6, 1.0
	s_waitcnt vmcnt(0)
	v_mul_f32_e32 v7, v10, v6
	global_store_dword v[0:1], v7, off
	global_load_dword v7, v[2:3], off
	s_waitcnt vmcnt(0)
	v_mul_f32_e32 v6, v7, v6
	global_store_dword v[2:3], v6, off
	global_load_dword v6, v[4:5], off
	s_nop 0
	global_load_dword v7, v[8:9], off
	global_load_dword v10, v[0:1], off
	s_waitcnt vmcnt(0)
	v_fmac_f32_e32 v6, v7, v10
	global_store_dword v[4:5], v6, off
	global_load_dword v0, v[8:9], off
	global_load_dword v1, v[2:3], off
	s_waitcnt vmcnt(0)
	v_fma_f32 v0, -v0, v1, 1.0
	v_div_scale_f32 v1, s[0:1], v0, v0, 1.0
	v_div_scale_f32 v2, vcc, 1.0, v0, 1.0
	v_rcp_f32_e32 v3, v1
	v_fma_f32 v7, -v1, v3, 1.0
	v_fmac_f32_e32 v3, v7, v3
	v_mul_f32_e32 v7, v2, v3
	v_fma_f32 v8, -v1, v7, v2
	v_fmac_f32_e32 v7, v8, v3
	v_fma_f32 v1, -v1, v7, v2
	v_div_fmas_f32 v1, v1, v3, v7
	v_div_fixup_f32 v0, v1, v0, 1.0
	v_mul_f32_e32 v0, v6, v0
	global_store_dword v[4:5], v0, off
	s_endpgm
	.section	.rodata,"a",@progbits
	.p2align	6, 0x0
	.amdhsa_kernel _Z12qssab_kernelIfEvPT_S1_S1_
		.amdhsa_group_segment_fixed_size 0
		.amdhsa_private_segment_fixed_size 0
		.amdhsa_kernarg_size 280
		.amdhsa_user_sgpr_count 6
		.amdhsa_user_sgpr_private_segment_buffer 1
		.amdhsa_user_sgpr_dispatch_ptr 0
		.amdhsa_user_sgpr_queue_ptr 0
		.amdhsa_user_sgpr_kernarg_segment_ptr 1
		.amdhsa_user_sgpr_dispatch_id 0
		.amdhsa_user_sgpr_flat_scratch_init 0
		.amdhsa_user_sgpr_private_segment_size 0
		.amdhsa_uses_dynamic_stack 0
		.amdhsa_system_sgpr_private_segment_wavefront_offset 0
		.amdhsa_system_sgpr_workgroup_id_x 1
		.amdhsa_system_sgpr_workgroup_id_y 0
		.amdhsa_system_sgpr_workgroup_id_z 0
		.amdhsa_system_sgpr_workgroup_info 0
		.amdhsa_system_vgpr_workitem_id 0
		.amdhsa_next_free_vgpr 59
		.amdhsa_next_free_sgpr 12
		.amdhsa_reserve_vcc 1
		.amdhsa_reserve_flat_scratch 0
		.amdhsa_float_round_mode_32 0
		.amdhsa_float_round_mode_16_64 0
		.amdhsa_float_denorm_mode_32 3
		.amdhsa_float_denorm_mode_16_64 3
		.amdhsa_dx10_clamp 1
		.amdhsa_ieee_mode 1
		.amdhsa_fp16_overflow 0
		.amdhsa_exception_fp_ieee_invalid_op 0
		.amdhsa_exception_fp_denorm_src 0
		.amdhsa_exception_fp_ieee_div_zero 0
		.amdhsa_exception_fp_ieee_overflow 0
		.amdhsa_exception_fp_ieee_underflow 0
		.amdhsa_exception_fp_ieee_inexact 0
		.amdhsa_exception_int_div_zero 0
	.end_amdhsa_kernel
	.section	.text._Z12qssab_kernelIfEvPT_S1_S1_,"axG",@progbits,_Z12qssab_kernelIfEvPT_S1_S1_,comdat
.Lfunc_end17:
	.size	_Z12qssab_kernelIfEvPT_S1_S1_, .Lfunc_end17-_Z12qssab_kernelIfEvPT_S1_S1_
                                        ; -- End function
	.set _Z12qssab_kernelIfEvPT_S1_S1_.num_vgpr, 59
	.set _Z12qssab_kernelIfEvPT_S1_S1_.num_agpr, 0
	.set _Z12qssab_kernelIfEvPT_S1_S1_.numbered_sgpr, 12
	.set _Z12qssab_kernelIfEvPT_S1_S1_.num_named_barrier, 0
	.set _Z12qssab_kernelIfEvPT_S1_S1_.private_seg_size, 0
	.set _Z12qssab_kernelIfEvPT_S1_S1_.uses_vcc, 1
	.set _Z12qssab_kernelIfEvPT_S1_S1_.uses_flat_scratch, 0
	.set _Z12qssab_kernelIfEvPT_S1_S1_.has_dyn_sized_stack, 0
	.set _Z12qssab_kernelIfEvPT_S1_S1_.has_recursion, 0
	.set _Z12qssab_kernelIfEvPT_S1_S1_.has_indirect_call, 0
	.section	.AMDGPU.csdata,"",@progbits
; Kernel info:
; codeLenInByte = 7064
; TotalNumSgprs: 16
; NumVgprs: 59
; ScratchSize: 0
; MemoryBound: 1
; FloatMode: 240
; IeeeMode: 1
; LDSByteSize: 0 bytes/workgroup (compile time only)
; SGPRBlocks: 1
; VGPRBlocks: 14
; NumSGPRsForWavesPerEU: 16
; NumVGPRsForWavesPerEU: 59
; Occupancy: 4
; WaveLimiterHint : 1
; COMPUTE_PGM_RSRC2:SCRATCH_EN: 0
; COMPUTE_PGM_RSRC2:USER_SGPR: 6
; COMPUTE_PGM_RSRC2:TRAP_HANDLER: 0
; COMPUTE_PGM_RSRC2:TGID_X_EN: 1
; COMPUTE_PGM_RSRC2:TGID_Y_EN: 0
; COMPUTE_PGM_RSRC2:TGID_Z_EN: 0
; COMPUTE_PGM_RSRC2:TIDIG_COMP_CNT: 0
	.section	.text._Z12qssa2_kernelIfEvPT_S1_PKS0_,"axG",@progbits,_Z12qssa2_kernelIfEvPT_S1_PKS0_,comdat
	.protected	_Z12qssa2_kernelIfEvPT_S1_PKS0_ ; -- Begin function _Z12qssa2_kernelIfEvPT_S1_PKS0_
	.globl	_Z12qssa2_kernelIfEvPT_S1_PKS0_
	.p2align	8
	.type	_Z12qssa2_kernelIfEvPT_S1_PKS0_,@function
_Z12qssa2_kernelIfEvPT_S1_PKS0_:        ; @_Z12qssa2_kernelIfEvPT_S1_PKS0_
; %bb.0:
	s_load_dwordx4 s[0:3], s[4:5], 0x0
	s_load_dwordx2 s[8:9], s[4:5], 0x10
	s_load_dword s7, s[4:5], 0x18
	s_load_dword s10, s[4:5], 0x24
	v_mov_b32_e32 v1, 0
	s_waitcnt lgkmcnt(0)
	v_mov_b32_e32 v32, s9
	s_and_b32 s5, s10, 0xffff
	s_mul_i32 s4, s7, s5
	s_mul_i32 s7, s4, 43
	;; [unrolled: 1-line block ×3, first 2 shown]
	s_add_i32 s7, s7, s6
	v_add_u32_e32 v0, s7, v0
	v_lshlrev_b64 v[26:27], 2, v[0:1]
	s_lshl_b32 s5, s4, 2
	v_add_co_u32_e32 v2, vcc, s8, v26
	v_addc_co_u32_e32 v3, vcc, v32, v27, vcc
	global_load_dword v35, v[2:3], off
	v_mad_u64_u32 v[2:3], s[6:7], s4, -11, v[0:1]
	v_mov_b32_e32 v3, v1
	v_lshlrev_b64 v[3:4], 2, v[2:3]
	v_add_u32_e32 v0, s5, v2
	v_add_co_u32_e32 v3, vcc, s8, v3
	v_lshlrev_b64 v[30:31], 2, v[0:1]
	v_addc_co_u32_e32 v4, vcc, v32, v4, vcc
	v_add_co_u32_e32 v2, vcc, s8, v30
	global_load_dword v37, v[3:4], off
	v_addc_co_u32_e32 v3, vcc, v32, v31, vcc
	global_load_dword v2, v[2:3], off
	s_waitcnt vmcnt(0)
	v_fmac_f32_e32 v37, v35, v2
	v_mad_u64_u32 v[2:3], s[6:7], s4, 40, v[0:1]
	v_mov_b32_e32 v3, v1
	s_mul_i32 s6, s4, 0xffffffc6
	v_lshlrev_b64 v[10:11], 2, v[2:3]
	v_add_u32_e32 v0, s5, v2
	v_add_co_u32_e32 v3, vcc, s8, v10
	v_lshlrev_b64 v[12:13], 2, v[0:1]
	v_addc_co_u32_e32 v4, vcc, v32, v11, vcc
	v_add_co_u32_e32 v2, vcc, s8, v12
	global_load_dword v36, v[3:4], off
	v_addc_co_u32_e32 v3, vcc, v32, v13, vcc
	global_load_dword v2, v[2:3], off
	v_subrev_u32_e32 v0, s4, v0
	v_lshlrev_b64 v[14:15], 2, v[0:1]
	v_add_u32_e32 v0, s6, v0
	s_mul_i32 s6, s4, 0xffffffee
	s_mul_i32 s7, s4, -5
	s_waitcnt vmcnt(0)
	v_fmac_f32_e32 v36, v35, v2
	v_add_co_u32_e32 v2, vcc, s8, v14
	v_addc_co_u32_e32 v3, vcc, v32, v15, vcc
	global_load_dword v2, v[2:3], off
	s_waitcnt vmcnt(0)
	v_fmac_f32_e32 v36, v37, v2
	v_lshlrev_b64 v[2:3], 2, v[0:1]
	v_add_u32_e32 v0, s5, v0
	v_add_co_u32_e32 v2, vcc, s8, v2
	v_addc_co_u32_e32 v3, vcc, v32, v3, vcc
	global_load_dword v41, v[2:3], off
	v_lshlrev_b64 v[2:3], 2, v[0:1]
	v_subrev_u32_e32 v0, s4, v0
	v_add_co_u32_e32 v2, vcc, s8, v2
	v_addc_co_u32_e32 v3, vcc, v32, v3, vcc
	global_load_dword v2, v[2:3], off
	s_waitcnt vmcnt(0)
	v_fmac_f32_e32 v41, v35, v2
	v_lshlrev_b64 v[2:3], 2, v[0:1]
	v_add_u32_e32 v0, s5, v0
	v_add_co_u32_e32 v2, vcc, s8, v2
	v_addc_co_u32_e32 v3, vcc, v32, v3, vcc
	global_load_dword v2, v[2:3], off
	s_waitcnt vmcnt(0)
	v_fmac_f32_e32 v41, v37, v2
	v_lshlrev_b64 v[2:3], 2, v[0:1]
	v_add_u32_e32 v0, s6, v0
	v_add_co_u32_e32 v2, vcc, s8, v2
	v_addc_co_u32_e32 v3, vcc, v32, v3, vcc
	global_load_dword v2, v[2:3], off
	s_mul_i32 s6, s4, 0x4b
	s_waitcnt vmcnt(0)
	v_fmac_f32_e32 v41, v36, v2
	v_lshlrev_b64 v[2:3], 2, v[0:1]
	v_add_u32_e32 v0, s5, v0
	v_add_co_u32_e32 v2, vcc, s8, v2
	v_addc_co_u32_e32 v3, vcc, v32, v3, vcc
	global_load_dword v43, v[2:3], off
	v_lshlrev_b64 v[2:3], 2, v[0:1]
	v_subrev_u32_e32 v0, s4, v0
	v_add_co_u32_e32 v2, vcc, s8, v2
	v_addc_co_u32_e32 v3, vcc, v32, v3, vcc
	global_load_dword v2, v[2:3], off
	s_waitcnt vmcnt(0)
	v_fmac_f32_e32 v43, v35, v2
	v_lshlrev_b64 v[2:3], 2, v[0:1]
	v_add_u32_e32 v0, s5, v0
	v_add_co_u32_e32 v2, vcc, s8, v2
	v_addc_co_u32_e32 v3, vcc, v32, v3, vcc
	global_load_dword v2, v[2:3], off
	s_waitcnt vmcnt(0)
	v_fmac_f32_e32 v43, v37, v2
	v_lshlrev_b64 v[2:3], 2, v[0:1]
	v_add_u32_e32 v0, s7, v0
	v_add_co_u32_e32 v2, vcc, s8, v2
	v_addc_co_u32_e32 v3, vcc, v32, v3, vcc
	global_load_dword v2, v[2:3], off
	s_waitcnt vmcnt(0)
	v_fmac_f32_e32 v43, v36, v2
	v_lshlrev_b64 v[2:3], 2, v[0:1]
	v_add_u32_e32 v0, s6, v0
	v_add_co_u32_e32 v2, vcc, s8, v2
	v_addc_co_u32_e32 v3, vcc, v32, v3, vcc
	global_load_dword v2, v[2:3], off
	v_lshlrev_b64 v[16:17], 2, v[0:1]
	v_add_u32_e32 v0, s5, v0
	v_lshlrev_b64 v[6:7], 2, v[0:1]
	v_subrev_u32_e32 v0, s4, v0
	v_lshlrev_b64 v[8:9], 2, v[0:1]
	s_mul_i32 s6, s4, 0xffffffe7
	v_add_u32_e32 v0, s6, v0
	v_lshlrev_b64 v[24:25], 2, v[0:1]
	s_mul_i32 s6, s4, 3
	v_add_u32_e32 v0, s6, v0
	v_lshlrev_b64 v[20:21], 2, v[0:1]
	v_add_u32_e32 v0, s5, v0
	v_lshlrev_b64 v[18:19], 2, v[0:1]
	;; [unrolled: 2-line block ×3, first 2 shown]
	s_mul_i32 s7, s4, 0xffffffcd
	s_waitcnt vmcnt(0)
	v_fmac_f32_e32 v43, v41, v2
	v_add_co_u32_e32 v2, vcc, s8, v16
	v_addc_co_u32_e32 v3, vcc, v32, v17, vcc
	global_load_dword v34, v[2:3], off
	v_add_co_u32_e32 v2, vcc, s8, v6
	v_addc_co_u32_e32 v3, vcc, v32, v7, vcc
	global_load_dword v2, v[2:3], off
	s_waitcnt vmcnt(0)
	v_fmac_f32_e32 v34, v35, v2
	v_add_co_u32_e32 v2, vcc, s8, v8
	v_addc_co_u32_e32 v3, vcc, v32, v9, vcc
	global_load_dword v2, v[2:3], off
	s_waitcnt vmcnt(0)
	v_fmac_f32_e32 v34, v37, v2
	v_add_co_u32_e32 v2, vcc, s8, v24
	v_addc_co_u32_e32 v3, vcc, v32, v25, vcc
	global_load_dword v40, v[2:3], off
	v_add_co_u32_e32 v2, vcc, s8, v20
	v_addc_co_u32_e32 v3, vcc, v32, v21, vcc
	global_load_dword v2, v[2:3], off
	s_waitcnt vmcnt(0)
	v_fmac_f32_e32 v40, v37, v2
	v_add_co_u32_e32 v2, vcc, s8, v18
	v_addc_co_u32_e32 v3, vcc, v32, v19, vcc
	global_load_dword v2, v[2:3], off
	s_waitcnt vmcnt(0)
	v_fmac_f32_e32 v40, v36, v2
	;; [unrolled: 5-line block ×3, first 2 shown]
	v_mad_u64_u32 v[2:3], s[10:11], s4, 31, v[0:1]
	v_mov_b32_e32 v3, v1
	v_lshlrev_b64 v[4:5], 2, v[2:3]
	v_add_u32_e32 v0, s5, v2
	v_add_co_u32_e32 v28, vcc, s8, v4
	v_lshlrev_b64 v[2:3], 2, v[0:1]
	v_addc_co_u32_e32 v29, vcc, v32, v5, vcc
	v_add_co_u32_e32 v2, vcc, s8, v2
	v_addc_co_u32_e32 v3, vcc, v32, v3, vcc
	global_load_dword v42, v[28:29], off
	v_add_u32_e32 v0, s6, v0
	global_load_dword v2, v[2:3], off
	s_waitcnt vmcnt(0)
	v_fmac_f32_e32 v42, v35, v2
	v_lshlrev_b64 v[2:3], 2, v[0:1]
	v_add_u32_e32 v0, s7, v0
	v_add_co_u32_e32 v28, vcc, s8, v2
	v_addc_co_u32_e32 v29, vcc, v32, v3, vcc
	global_load_dword v28, v[28:29], off
	s_mul_i32 s7, s4, 0xffffffac
	s_waitcnt vmcnt(0)
	v_fmac_f32_e32 v42, v36, v28
	v_lshlrev_b64 v[28:29], 2, v[0:1]
	v_add_u32_e32 v0, s6, v0
	v_add_co_u32_e32 v38, vcc, s8, v28
	v_addc_co_u32_e32 v39, vcc, v32, v29, vcc
	global_load_dword v44, v[38:39], off
	v_lshlrev_b64 v[38:39], 2, v[0:1]
	v_mad_u64_u32 v[45:46], s[10:11], s4, 52, v[0:1]
	v_add_co_u32_e32 v38, vcc, s8, v38
	v_addc_co_u32_e32 v39, vcc, v32, v39, vcc
	v_mov_b32_e32 v46, v1
	global_load_dword v33, v[38:39], off
	v_lshlrev_b64 v[38:39], 2, v[45:46]
	v_lshl_add_u32 v0, s4, 3, v45
	v_add_co_u32_e32 v38, vcc, s8, v38
	v_lshlrev_b64 v[45:46], 2, v[0:1]
	v_addc_co_u32_e32 v39, vcc, v32, v39, vcc
	v_add_co_u32_e32 v45, vcc, s8, v45
	v_addc_co_u32_e32 v46, vcc, v32, v46, vcc
	global_load_dword v38, v[38:39], off
	v_add_u32_e32 v0, s7, v0
	global_load_dword v32, v[45:46], off
	v_mov_b32_e32 v39, s1
	s_lshl_b32 s1, s4, 1
	s_waitcnt vmcnt(2)
	v_fmac_f32_e32 v44, v37, v33
	s_waitcnt vmcnt(0)
	v_fmac_f32_e32 v38, v34, v32
	v_lshlrev_b64 v[32:33], 2, v[0:1]
	v_add_u32_e32 v0, s4, v0
	v_add_co_u32_e32 v32, vcc, s0, v32
	v_addc_co_u32_e32 v33, vcc, v39, v33, vcc
	global_load_dword v45, v[32:33], off
	s_waitcnt vmcnt(0)
	v_mul_f32_e32 v45, v43, v45
	global_store_dword v[32:33], v45, off
	v_lshlrev_b64 v[32:33], 2, v[0:1]
	v_add_u32_e32 v0, s4, v0
	v_add_co_u32_e32 v45, vcc, s0, v32
	v_addc_co_u32_e32 v46, vcc, v39, v33, vcc
	global_load_dword v47, v[45:46], off
	s_waitcnt vmcnt(0)
	v_mul_f32_e32 v47, v43, v47
	global_store_dword v[45:46], v47, off
	v_add_co_u32_e32 v45, vcc, s2, v32
	v_mov_b32_e32 v32, s3
	v_addc_co_u32_e32 v46, vcc, v32, v33, vcc
	global_load_dword v33, v[45:46], off
	s_waitcnt vmcnt(0)
	v_mul_f32_e32 v33, v35, v33
	global_store_dword v[45:46], v33, off
	v_lshlrev_b64 v[45:46], 2, v[0:1]
	v_add_u32_e32 v0, s1, v0
	v_add_co_u32_e32 v47, vcc, s0, v45
	v_addc_co_u32_e32 v48, vcc, v39, v46, vcc
	global_load_dword v33, v[47:48], off
	v_add_co_u32_e32 v45, vcc, s2, v45
	v_addc_co_u32_e32 v46, vcc, v32, v46, vcc
	v_add_co_u32_e32 v30, vcc, s0, v30
	v_addc_co_u32_e32 v31, vcc, v39, v31, vcc
	s_waitcnt vmcnt(0)
	v_mul_f32_e32 v33, v43, v33
	global_store_dword v[47:48], v33, off
	global_load_dword v33, v[45:46], off
	s_waitcnt vmcnt(0)
	v_mul_f32_e32 v33, v41, v33
	global_store_dword v[45:46], v33, off
	global_load_dword v33, v[30:31], off
	s_waitcnt vmcnt(0)
	v_mul_f32_e32 v33, v43, v33
	global_store_dword v[30:31], v33, off
	v_lshlrev_b64 v[30:31], 2, v[0:1]
	v_add_u32_e32 v0, s4, v0
	v_add_co_u32_e32 v45, vcc, s0, v30
	v_addc_co_u32_e32 v46, vcc, v39, v31, vcc
	global_load_dword v33, v[45:46], off
	v_add_co_u32_e32 v30, vcc, s2, v30
	v_addc_co_u32_e32 v31, vcc, v32, v31, vcc
	s_waitcnt vmcnt(0)
	v_mul_f32_e32 v33, v43, v33
	global_store_dword v[45:46], v33, off
	global_load_dword v33, v[30:31], off
	s_waitcnt vmcnt(0)
	v_mul_f32_e32 v33, v35, v33
	global_store_dword v[30:31], v33, off
	v_lshlrev_b64 v[30:31], 2, v[0:1]
	v_add_u32_e32 v0, s4, v0
	v_add_co_u32_e32 v30, vcc, s0, v30
	v_addc_co_u32_e32 v31, vcc, v39, v31, vcc
	global_load_dword v33, v[30:31], off
	s_waitcnt vmcnt(0)
	v_mul_f32_e32 v33, v43, v33
	global_store_dword v[30:31], v33, off
	v_lshlrev_b64 v[30:31], 2, v[0:1]
	v_add_u32_e32 v0, s4, v0
	v_add_co_u32_e32 v45, vcc, s0, v30
	v_addc_co_u32_e32 v46, vcc, v39, v31, vcc
	global_load_dword v33, v[45:46], off
	v_add_co_u32_e32 v30, vcc, s2, v30
	v_addc_co_u32_e32 v31, vcc, v32, v31, vcc
	s_waitcnt vmcnt(0)
	v_mul_f32_e32 v33, v43, v33
	global_store_dword v[45:46], v33, off
	global_load_dword v33, v[30:31], off
	s_waitcnt vmcnt(0)
	v_mul_f32_e32 v33, v35, v33
	global_store_dword v[30:31], v33, off
	v_lshlrev_b64 v[30:31], 2, v[0:1]
	v_add_u32_e32 v0, s4, v0
	v_add_co_u32_e32 v30, vcc, s0, v30
	v_addc_co_u32_e32 v31, vcc, v39, v31, vcc
	global_load_dword v33, v[30:31], off
	s_waitcnt vmcnt(0)
	v_mul_f32_e32 v33, v35, v33
	global_store_dword v[30:31], v33, off
	v_lshlrev_b64 v[30:31], 2, v[0:1]
	v_add_u32_e32 v0, s4, v0
	v_add_co_u32_e32 v30, vcc, s0, v30
	v_addc_co_u32_e32 v31, vcc, v39, v31, vcc
	;; [unrolled: 8-line block ×3, first 2 shown]
	global_load_dword v33, v[30:31], off
	v_add_co_u32_e32 v26, vcc, s0, v26
	v_addc_co_u32_e32 v27, vcc, v39, v27, vcc
	s_waitcnt vmcnt(0)
	v_mul_f32_e32 v33, v35, v33
	global_store_dword v[30:31], v33, off
	global_load_dword v30, v[26:27], off
	s_waitcnt vmcnt(0)
	v_mul_f32_e32 v30, v35, v30
	global_store_dword v[26:27], v30, off
	v_lshlrev_b64 v[26:27], 2, v[0:1]
	v_add_u32_e32 v0, s4, v0
	v_add_co_u32_e32 v26, vcc, s0, v26
	v_addc_co_u32_e32 v27, vcc, v39, v27, vcc
	global_load_dword v30, v[26:27], off
	s_waitcnt vmcnt(0)
	v_mul_f32_e32 v30, v35, v30
	global_store_dword v[26:27], v30, off
	v_lshlrev_b64 v[26:27], 2, v[0:1]
	v_add_u32_e32 v0, s4, v0
	v_add_co_u32_e32 v26, vcc, s0, v26
	v_addc_co_u32_e32 v27, vcc, v39, v27, vcc
	;; [unrolled: 8-line block ×6, first 2 shown]
	global_load_dword v33, v[30:31], off
	v_add_co_u32_e32 v26, vcc, s2, v26
	v_addc_co_u32_e32 v27, vcc, v32, v27, vcc
	s_waitcnt vmcnt(0)
	v_mul_f32_e32 v33, v41, v33
	global_store_dword v[30:31], v33, off
	global_load_dword v30, v[26:27], off
	s_waitcnt vmcnt(0)
	v_mul_f32_e32 v30, v35, v30
	global_store_dword v[26:27], v30, off
	v_lshlrev_b64 v[26:27], 2, v[0:1]
	v_add_u32_e32 v0, s4, v0
	v_add_co_u32_e32 v30, vcc, s0, v26
	v_addc_co_u32_e32 v31, vcc, v39, v27, vcc
	global_load_dword v33, v[30:31], off
	v_add_co_u32_e32 v26, vcc, s2, v26
	v_addc_co_u32_e32 v27, vcc, v32, v27, vcc
	s_waitcnt vmcnt(0)
	v_mul_f32_e32 v33, v41, v33
	global_store_dword v[30:31], v33, off
	global_load_dword v30, v[26:27], off
	s_waitcnt vmcnt(0)
	v_mul_f32_e32 v30, v35, v30
	global_store_dword v[26:27], v30, off
	v_lshlrev_b64 v[26:27], 2, v[0:1]
	v_add_u32_e32 v0, s4, v0
	v_add_co_u32_e32 v26, vcc, s0, v26
	v_addc_co_u32_e32 v27, vcc, v39, v27, vcc
	global_load_dword v30, v[26:27], off
	s_waitcnt vmcnt(0)
	v_mul_f32_e32 v30, v41, v30
	global_store_dword v[26:27], v30, off
	v_lshlrev_b64 v[26:27], 2, v[0:1]
	v_add_u32_e32 v0, s4, v0
	v_add_co_u32_e32 v26, vcc, s0, v26
	v_addc_co_u32_e32 v27, vcc, v39, v27, vcc
	;; [unrolled: 8-line block ×3, first 2 shown]
	global_load_dword v33, v[30:31], off
	v_add_co_u32_e32 v26, vcc, s2, v26
	v_addc_co_u32_e32 v27, vcc, v32, v27, vcc
	s_waitcnt vmcnt(0)
	v_mul_f32_e32 v33, v41, v33
	global_store_dword v[30:31], v33, off
	global_load_dword v30, v[26:27], off
	s_waitcnt vmcnt(0)
	v_mul_f32_e32 v30, v43, v30
	global_store_dword v[26:27], v30, off
	v_add_co_u32_e32 v26, vcc, s0, v28
	v_addc_co_u32_e32 v27, vcc, v39, v29, vcc
	global_load_dword v28, v[26:27], off
	s_waitcnt vmcnt(0)
	v_mul_f32_e32 v28, v41, v28
	global_store_dword v[26:27], v28, off
	v_lshlrev_b64 v[26:27], 2, v[0:1]
	v_add_u32_e32 v0, s6, v0
	v_add_co_u32_e32 v26, vcc, s0, v26
	v_addc_co_u32_e32 v27, vcc, v39, v27, vcc
	global_load_dword v28, v[26:27], off
	s_waitcnt vmcnt(0)
	v_mul_f32_e32 v28, v41, v28
	global_store_dword v[26:27], v28, off
	v_lshlrev_b64 v[26:27], 2, v[0:1]
	v_add_u32_e32 v0, s4, v0
	v_add_co_u32_e32 v28, vcc, s0, v26
	v_addc_co_u32_e32 v29, vcc, v39, v27, vcc
	global_load_dword v30, v[28:29], off
	v_add_co_u32_e32 v26, vcc, s2, v26
	v_addc_co_u32_e32 v27, vcc, v32, v27, vcc
	s_waitcnt vmcnt(0)
	v_mul_f32_e32 v30, v37, v30
	global_store_dword v[28:29], v30, off
	global_load_dword v28, v[26:27], off
	s_waitcnt vmcnt(0)
	v_mul_f32_e32 v28, v41, v28
	global_store_dword v[26:27], v28, off
	v_lshlrev_b64 v[26:27], 2, v[0:1]
	v_add_u32_e32 v0, s4, v0
	v_add_co_u32_e32 v28, vcc, s0, v26
	v_addc_co_u32_e32 v29, vcc, v39, v27, vcc
	global_load_dword v30, v[28:29], off
	v_add_co_u32_e32 v26, vcc, s2, v26
	v_addc_co_u32_e32 v27, vcc, v32, v27, vcc
	s_waitcnt vmcnt(0)
	v_mul_f32_e32 v30, v37, v30
	global_store_dword v[28:29], v30, off
	global_load_dword v28, v[26:27], off
	s_waitcnt vmcnt(0)
	v_mul_f32_e32 v28, v43, v28
	global_store_dword v[26:27], v28, off
	v_lshlrev_b64 v[26:27], 2, v[0:1]
	v_add_u32_e32 v0, s4, v0
	v_add_co_u32_e32 v26, vcc, s0, v26
	v_addc_co_u32_e32 v27, vcc, v39, v27, vcc
	global_load_dword v28, v[26:27], off
	s_waitcnt vmcnt(0)
	v_mul_f32_e32 v28, v37, v28
	global_store_dword v[26:27], v28, off
	v_lshlrev_b64 v[26:27], 2, v[0:1]
	v_add_u32_e32 v0, s4, v0
	v_add_co_u32_e32 v28, vcc, s0, v26
	v_addc_co_u32_e32 v29, vcc, v39, v27, vcc
	global_load_dword v30, v[28:29], off
	v_add_co_u32_e32 v26, vcc, s2, v26
	v_addc_co_u32_e32 v27, vcc, v32, v27, vcc
	s_waitcnt vmcnt(0)
	v_mul_f32_e32 v30, v37, v30
	global_store_dword v[28:29], v30, off
	global_load_dword v28, v[26:27], off
	s_waitcnt vmcnt(0)
	v_mul_f32_e32 v28, v35, v28
	global_store_dword v[26:27], v28, off
	v_lshlrev_b64 v[26:27], 2, v[0:1]
	v_add_u32_e32 v0, s4, v0
	v_add_co_u32_e32 v26, vcc, s0, v26
	v_addc_co_u32_e32 v27, vcc, v39, v27, vcc
	global_load_dword v28, v[26:27], off
	s_waitcnt vmcnt(0)
	v_mul_f32_e32 v28, v37, v28
	global_store_dword v[26:27], v28, off
	v_lshlrev_b64 v[26:27], 2, v[0:1]
	v_add_u32_e32 v0, s4, v0
	v_add_co_u32_e32 v26, vcc, s0, v26
	v_addc_co_u32_e32 v27, vcc, v39, v27, vcc
	;; [unrolled: 8-line block ×3, first 2 shown]
	global_load_dword v28, v[26:27], off
	v_add_co_u32_e32 v24, vcc, s0, v24
	v_addc_co_u32_e32 v25, vcc, v39, v25, vcc
	s_waitcnt vmcnt(0)
	v_mul_f32_e32 v28, v37, v28
	global_store_dword v[26:27], v28, off
	global_load_dword v26, v[24:25], off
	s_waitcnt vmcnt(0)
	v_mul_f32_e32 v26, v37, v26
	global_store_dword v[24:25], v26, off
	v_lshlrev_b64 v[24:25], 2, v[0:1]
	v_add_u32_e32 v0, s6, v0
	v_add_co_u32_e32 v26, vcc, s0, v24
	v_addc_co_u32_e32 v27, vcc, v39, v25, vcc
	global_load_dword v28, v[26:27], off
	v_add_co_u32_e32 v24, vcc, s2, v24
	v_addc_co_u32_e32 v25, vcc, v32, v25, vcc
	s_waitcnt vmcnt(0)
	v_mul_f32_e32 v28, v37, v28
	global_store_dword v[26:27], v28, off
	global_load_dword v26, v[24:25], off
	s_waitcnt vmcnt(0)
	v_mul_f32_e32 v26, v41, v26
	global_store_dword v[24:25], v26, off
	v_add_co_u32_e32 v24, vcc, s0, v22
	v_addc_co_u32_e32 v25, vcc, v39, v23, vcc
	global_load_dword v26, v[24:25], off
	v_add_co_u32_e32 v22, vcc, s2, v22
	v_addc_co_u32_e32 v23, vcc, v32, v23, vcc
	s_waitcnt vmcnt(0)
	v_mul_f32_e32 v26, v37, v26
	global_store_dword v[24:25], v26, off
	global_load_dword v24, v[22:23], off
	s_waitcnt vmcnt(0)
	v_mul_f32_e32 v24, v41, v24
	global_store_dword v[22:23], v24, off
	;; [unrolled: 12-line block ×3, first 2 shown]
	v_lshlrev_b64 v[20:21], 2, v[0:1]
	v_add_u32_e32 v0, s4, v0
	v_add_co_u32_e32 v20, vcc, s0, v20
	v_addc_co_u32_e32 v21, vcc, v39, v21, vcc
	global_load_dword v22, v[20:21], off
	s_waitcnt vmcnt(0)
	v_mul_f32_e32 v22, v37, v22
	global_store_dword v[20:21], v22, off
	v_lshlrev_b64 v[20:21], 2, v[0:1]
	v_add_u32_e32 v0, s4, v0
	v_add_co_u32_e32 v20, vcc, s2, v20
	v_addc_co_u32_e32 v21, vcc, v32, v21, vcc
	global_load_dword v22, v[20:21], off
	s_waitcnt vmcnt(0)
	v_mul_f32_e32 v22, v44, v22
	global_store_dword v[20:21], v22, off
	v_lshlrev_b64 v[20:21], 2, v[0:1]
	v_add_u32_e32 v0, s1, v0
	v_add_co_u32_e32 v20, vcc, s2, v20
	v_addc_co_u32_e32 v21, vcc, v32, v21, vcc
	global_load_dword v22, v[20:21], off
	v_add_co_u32_e32 v18, vcc, s2, v18
	v_addc_co_u32_e32 v19, vcc, v32, v19, vcc
	s_waitcnt vmcnt(0)
	v_mul_f32_e32 v22, v35, v22
	global_store_dword v[20:21], v22, off
	global_load_dword v20, v[18:19], off
	s_waitcnt vmcnt(0)
	v_mul_f32_e32 v20, v35, v20
	global_store_dword v[18:19], v20, off
	v_lshlrev_b64 v[18:19], 2, v[0:1]
	v_add_u32_e32 v0, s4, v0
	v_add_co_u32_e32 v18, vcc, s2, v18
	v_addc_co_u32_e32 v19, vcc, v32, v19, vcc
	global_load_dword v20, v[18:19], off
	s_waitcnt vmcnt(0)
	v_mul_f32_e32 v20, v35, v20
	global_store_dword v[18:19], v20, off
	v_lshlrev_b64 v[18:19], 2, v[0:1]
	v_add_u32_e32 v0, s4, v0
	v_add_co_u32_e32 v18, vcc, s2, v18
	v_addc_co_u32_e32 v19, vcc, v32, v19, vcc
	global_load_dword v20, v[18:19], off
	s_waitcnt vmcnt(0)
	v_mul_f32_e32 v20, v35, v20
	global_store_dword v[18:19], v20, off
	v_lshlrev_b64 v[18:19], 2, v[0:1]
	v_add_co_u32_e32 v18, vcc, s2, v18
	v_addc_co_u32_e32 v19, vcc, v32, v19, vcc
	global_load_dword v20, v[18:19], off
	v_add_co_u32_e32 v10, vcc, s0, v10
	v_addc_co_u32_e32 v11, vcc, v39, v11, vcc
	s_waitcnt vmcnt(0)
	v_mul_f32_e32 v20, v35, v20
	global_store_dword v[18:19], v20, off
	global_load_dword v18, v[10:11], off
	s_waitcnt vmcnt(0)
	v_mul_f32_e32 v18, v43, v18
	global_store_dword v[10:11], v18, off
	v_add_co_u32_e32 v10, vcc, s2, v14
	v_addc_co_u32_e32 v11, vcc, v32, v15, vcc
	global_load_dword v14, v[10:11], off
	s_waitcnt vmcnt(0)
	v_mul_f32_e32 v14, v41, v14
	global_store_dword v[10:11], v14, off
	v_add_co_u32_e32 v10, vcc, s2, v12
	v_addc_co_u32_e32 v11, vcc, v32, v13, vcc
	global_load_dword v12, v[10:11], off
	s_waitcnt vmcnt(0)
	v_mul_f32_e32 v12, v37, v12
	global_store_dword v[10:11], v12, off
	v_mad_u64_u32 v[10:11], s[8:9], s4, 6, v[0:1]
	v_mov_b32_e32 v11, v1
	v_lshlrev_b64 v[11:12], 2, v[10:11]
	v_add_co_u32_e32 v11, vcc, s2, v11
	v_addc_co_u32_e32 v12, vcc, v32, v12, vcc
	global_load_dword v0, v[11:12], off
	s_waitcnt vmcnt(0)
	v_mul_f32_e32 v0, v44, v0
	global_store_dword v[11:12], v0, off
	v_add_u32_e32 v0, s6, v10
	v_lshlrev_b64 v[10:11], 2, v[0:1]
	v_add_u32_e32 v0, s1, v0
	v_add_co_u32_e32 v10, vcc, s2, v10
	v_addc_co_u32_e32 v11, vcc, v32, v11, vcc
	global_load_dword v12, v[10:11], off
	s_waitcnt vmcnt(0)
	v_mul_f32_e32 v12, v44, v12
	global_store_dword v[10:11], v12, off
	v_lshlrev_b64 v[10:11], 2, v[0:1]
	v_add_u32_e32 v0, s1, v0
	v_add_co_u32_e32 v12, vcc, s0, v10
	v_addc_co_u32_e32 v13, vcc, v39, v11, vcc
	global_load_dword v14, v[12:13], off
	v_add_co_u32_e32 v10, vcc, s2, v10
	v_addc_co_u32_e32 v11, vcc, v32, v11, vcc
	s_waitcnt vmcnt(0)
	v_mul_f32_e32 v14, v43, v14
	global_store_dword v[12:13], v14, off
	global_load_dword v12, v[10:11], off
	s_waitcnt vmcnt(0)
	v_mul_f32_e32 v12, v36, v12
	global_store_dword v[10:11], v12, off
	v_add_co_u32_e32 v10, vcc, s0, v16
	v_addc_co_u32_e32 v11, vcc, v39, v17, vcc
	global_load_dword v12, v[10:11], off
	s_waitcnt vmcnt(0)
	v_mul_f32_e32 v12, v35, v12
	global_store_dword v[10:11], v12, off
	v_lshlrev_b64 v[10:11], 2, v[0:1]
	v_add_u32_e32 v0, s4, v0
	v_add_co_u32_e32 v10, vcc, s0, v10
	v_addc_co_u32_e32 v11, vcc, v39, v11, vcc
	global_load_dword v12, v[10:11], off
	s_waitcnt vmcnt(0)
	v_mul_f32_e32 v12, v35, v12
	global_store_dword v[10:11], v12, off
	v_lshlrev_b64 v[10:11], 2, v[0:1]
	v_add_u32_e32 v0, s5, v0
	v_add_co_u32_e32 v10, vcc, s2, v10
	v_addc_co_u32_e32 v11, vcc, v32, v11, vcc
	global_load_dword v12, v[10:11], off
	v_add_co_u32_e32 v8, vcc, s0, v8
	v_addc_co_u32_e32 v9, vcc, v39, v9, vcc
	v_add_co_u32_e32 v6, vcc, s0, v6
	v_addc_co_u32_e32 v7, vcc, v39, v7, vcc
	s_waitcnt vmcnt(0)
	v_mul_f32_e32 v12, v35, v12
	global_store_dword v[10:11], v12, off
	global_load_dword v10, v[8:9], off
	s_waitcnt vmcnt(0)
	v_mul_f32_e32 v10, v41, v10
	global_store_dword v[8:9], v10, off
	global_load_dword v8, v[6:7], off
	s_waitcnt vmcnt(0)
	v_mul_f32_e32 v8, v37, v8
	global_store_dword v[6:7], v8, off
	v_lshlrev_b64 v[6:7], 2, v[0:1]
	v_add_u32_e32 v0, s1, v0
	v_add_co_u32_e32 v6, vcc, s2, v6
	v_addc_co_u32_e32 v7, vcc, v32, v7, vcc
	global_load_dword v8, v[6:7], off
	s_waitcnt vmcnt(0)
	v_mul_f32_e32 v8, v34, v8
	global_store_dword v[6:7], v8, off
	v_lshlrev_b64 v[6:7], 2, v[0:1]
	v_add_u32_e32 v0, s4, v0
	v_add_co_u32_e32 v6, vcc, s0, v6
	v_addc_co_u32_e32 v7, vcc, v39, v7, vcc
	;; [unrolled: 8-line block ×4, first 2 shown]
	global_load_dword v10, v[8:9], off
	v_add_co_u32_e32 v6, vcc, s2, v6
	v_addc_co_u32_e32 v7, vcc, v32, v7, vcc
	v_add_co_u32_e32 v4, vcc, s0, v4
	v_addc_co_u32_e32 v5, vcc, v39, v5, vcc
	s_waitcnt vmcnt(0)
	v_mul_f32_e32 v10, v44, v10
	global_store_dword v[8:9], v10, off
	global_load_dword v8, v[6:7], off
	s_waitcnt vmcnt(0)
	v_mul_f32_e32 v8, v37, v8
	global_store_dword v[6:7], v8, off
	global_load_dword v6, v[4:5], off
	s_waitcnt vmcnt(0)
	v_mul_f32_e32 v6, v44, v6
	global_store_dword v[4:5], v6, off
	v_lshlrev_b64 v[4:5], 2, v[0:1]
	v_add_u32_e32 v0, s4, v0
	v_add_co_u32_e32 v4, vcc, s0, v4
	v_addc_co_u32_e32 v5, vcc, v39, v5, vcc
	global_load_dword v6, v[4:5], off
	s_waitcnt vmcnt(0)
	v_mul_f32_e32 v6, v44, v6
	global_store_dword v[4:5], v6, off
	v_lshlrev_b64 v[4:5], 2, v[0:1]
	v_add_u32_e32 v0, s5, v0
	v_add_co_u32_e32 v4, vcc, s0, v4
	v_addc_co_u32_e32 v5, vcc, v39, v5, vcc
	global_load_dword v6, v[4:5], off
	s_waitcnt vmcnt(0)
	v_mul_f32_e32 v6, v44, v6
	global_store_dword v[4:5], v6, off
	v_lshlrev_b64 v[4:5], 2, v[0:1]
	v_add_u32_e32 v0, s1, v0
	v_add_co_u32_e32 v4, vcc, s0, v4
	v_addc_co_u32_e32 v5, vcc, v39, v5, vcc
	global_load_dword v6, v[4:5], off
	v_add_co_u32_e32 v2, vcc, s0, v2
	v_addc_co_u32_e32 v3, vcc, v39, v3, vcc
	s_waitcnt vmcnt(0)
	v_mul_f32_e32 v6, v43, v6
	global_store_dword v[4:5], v6, off
	global_load_dword v4, v[2:3], off
	s_waitcnt vmcnt(0)
	v_mul_f32_e32 v4, v41, v4
	global_store_dword v[2:3], v4, off
	v_lshlrev_b64 v[2:3], 2, v[0:1]
	v_add_u32_e32 v0, s4, v0
	v_add_co_u32_e32 v2, vcc, s0, v2
	v_addc_co_u32_e32 v3, vcc, v39, v3, vcc
	global_load_dword v4, v[2:3], off
	s_waitcnt vmcnt(0)
	v_mul_f32_e32 v4, v37, v4
	global_store_dword v[2:3], v4, off
	v_lshlrev_b64 v[2:3], 2, v[0:1]
	v_add_u32_e32 v0, s6, v0
	v_add_co_u32_e32 v2, vcc, s2, v2
	v_addc_co_u32_e32 v3, vcc, v32, v3, vcc
	global_load_dword v4, v[2:3], off
	s_waitcnt vmcnt(0)
	v_mul_f32_e32 v4, v37, v4
	global_store_dword v[2:3], v4, off
	v_lshlrev_b64 v[2:3], 2, v[0:1]
	v_add_u32_e32 v0, s4, v0
	v_add_co_u32_e32 v2, vcc, s0, v2
	v_addc_co_u32_e32 v3, vcc, v39, v3, vcc
	global_load_dword v4, v[2:3], off
	s_waitcnt vmcnt(0)
	v_mul_f32_e32 v4, v43, v4
	global_store_dword v[2:3], v4, off
	v_lshlrev_b64 v[2:3], 2, v[0:1]
	v_add_u32_e32 v0, s1, v0
	v_add_co_u32_e32 v4, vcc, s0, v2
	v_addc_co_u32_e32 v5, vcc, v39, v3, vcc
	global_load_dword v6, v[4:5], off
	v_add_co_u32_e32 v2, vcc, s2, v2
	v_addc_co_u32_e32 v3, vcc, v32, v3, vcc
	s_waitcnt vmcnt(0)
	v_mul_f32_e32 v6, v41, v6
	global_store_dword v[4:5], v6, off
	global_load_dword v4, v[2:3], off
	s_waitcnt vmcnt(0)
	v_mul_f32_e32 v4, v36, v4
	global_store_dword v[2:3], v4, off
	v_lshlrev_b64 v[2:3], 2, v[0:1]
	v_add_u32_e32 v0, s4, v0
	v_add_co_u32_e32 v2, vcc, s2, v2
	v_addc_co_u32_e32 v3, vcc, v32, v3, vcc
	;; [unrolled: 38-line block ×3, first 2 shown]
	global_load_dword v4, v[2:3], off
	s_waitcnt vmcnt(0)
	v_mul_f32_e32 v4, v40, v4
	global_store_dword v[2:3], v4, off
	v_lshlrev_b64 v[2:3], 2, v[0:1]
	v_add_u32_e32 v0, s4, v0
	v_add_co_u32_e32 v4, vcc, s0, v2
	v_addc_co_u32_e32 v5, vcc, v39, v3, vcc
	global_load_dword v6, v[4:5], off
	v_add_co_u32_e32 v2, vcc, s2, v2
	v_addc_co_u32_e32 v3, vcc, v32, v3, vcc
	s_waitcnt vmcnt(0)
	v_mul_f32_e32 v6, v40, v6
	global_store_dword v[4:5], v6, off
	global_load_dword v4, v[2:3], off
	s_waitcnt vmcnt(0)
	v_mul_f32_e32 v4, v41, v4
	global_store_dword v[2:3], v4, off
	v_lshlrev_b64 v[2:3], 2, v[0:1]
	v_add_u32_e32 v0, s4, v0
	v_add_co_u32_e32 v2, vcc, s0, v2
	v_addc_co_u32_e32 v3, vcc, v39, v3, vcc
	global_load_dword v4, v[2:3], off
	s_waitcnt vmcnt(0)
	v_mul_f32_e32 v4, v40, v4
	global_store_dword v[2:3], v4, off
	v_lshlrev_b64 v[2:3], 2, v[0:1]
	v_add_u32_e32 v0, s4, v0
	v_add_co_u32_e32 v4, vcc, s0, v2
	v_addc_co_u32_e32 v5, vcc, v39, v3, vcc
	global_load_dword v6, v[4:5], off
	v_add_co_u32_e32 v2, vcc, s2, v2
	v_addc_co_u32_e32 v3, vcc, v32, v3, vcc
	s_waitcnt vmcnt(0)
	v_mul_f32_e32 v6, v40, v6
	global_store_dword v[4:5], v6, off
	global_load_dword v4, v[2:3], off
	s_waitcnt vmcnt(0)
	v_mul_f32_e32 v4, v41, v4
	global_store_dword v[2:3], v4, off
	v_lshlrev_b64 v[2:3], 2, v[0:1]
	v_add_u32_e32 v0, s5, v0
	v_add_co_u32_e32 v2, vcc, s2, v2
	v_addc_co_u32_e32 v3, vcc, v32, v3, vcc
	global_load_dword v4, v[2:3], off
	s_waitcnt vmcnt(0)
	v_mul_f32_e32 v4, v42, v4
	global_store_dword v[2:3], v4, off
	v_lshlrev_b64 v[2:3], 2, v[0:1]
	v_add_u32_e32 v0, s1, v0
	v_add_co_u32_e32 v2, vcc, s2, v2
	v_addc_co_u32_e32 v3, vcc, v32, v3, vcc
	;; [unrolled: 8-line block ×5, first 2 shown]
	global_load_dword v6, v[4:5], off
	v_add_co_u32_e32 v2, vcc, s2, v2
	v_addc_co_u32_e32 v3, vcc, v32, v3, vcc
	s_waitcnt vmcnt(0)
	v_mul_f32_e32 v6, v36, v6
	global_store_dword v[4:5], v6, off
	global_load_dword v4, v[2:3], off
	s_waitcnt vmcnt(0)
	v_mul_f32_e32 v4, v40, v4
	global_store_dword v[2:3], v4, off
	v_lshlrev_b64 v[2:3], 2, v[0:1]
	v_add_u32_e32 v0, s4, v0
	v_add_co_u32_e32 v2, vcc, s0, v2
	v_addc_co_u32_e32 v3, vcc, v39, v3, vcc
	global_load_dword v4, v[2:3], off
	s_waitcnt vmcnt(0)
	v_mul_f32_e32 v4, v36, v4
	global_store_dword v[2:3], v4, off
	v_lshlrev_b64 v[2:3], 2, v[0:1]
	v_add_u32_e32 v0, s4, v0
	v_add_co_u32_e32 v2, vcc, s0, v2
	v_addc_co_u32_e32 v3, vcc, v39, v3, vcc
	;; [unrolled: 8-line block ×5, first 2 shown]
	global_load_dword v6, v[4:5], off
	v_add_co_u32_e32 v2, vcc, s2, v2
	v_addc_co_u32_e32 v3, vcc, v32, v3, vcc
	s_waitcnt vmcnt(0)
	v_mul_f32_e32 v6, v36, v6
	global_store_dword v[4:5], v6, off
	global_load_dword v4, v[2:3], off
	s_waitcnt vmcnt(0)
	v_mul_f32_e32 v4, v42, v4
	global_store_dword v[2:3], v4, off
	v_lshlrev_b64 v[2:3], 2, v[0:1]
	v_add_u32_e32 v0, s4, v0
	v_add_co_u32_e32 v4, vcc, s0, v2
	v_addc_co_u32_e32 v5, vcc, v39, v3, vcc
	global_load_dword v6, v[4:5], off
	v_add_co_u32_e32 v2, vcc, s2, v2
	v_addc_co_u32_e32 v3, vcc, v32, v3, vcc
	s_waitcnt vmcnt(0)
	v_mul_f32_e32 v6, v36, v6
	global_store_dword v[4:5], v6, off
	global_load_dword v4, v[2:3], off
	s_waitcnt vmcnt(0)
	v_mul_f32_e32 v4, v35, v4
	global_store_dword v[2:3], v4, off
	v_lshlrev_b64 v[2:3], 2, v[0:1]
	v_add_u32_e32 v0, s4, v0
	v_add_co_u32_e32 v4, vcc, s0, v2
	v_addc_co_u32_e32 v5, vcc, v39, v3, vcc
	;; [unrolled: 14-line block ×3, first 2 shown]
	global_load_dword v4, v[2:3], off
	s_waitcnt vmcnt(0)
	v_mul_f32_e32 v4, v36, v4
	global_store_dword v[2:3], v4, off
	v_lshlrev_b64 v[2:3], 2, v[0:1]
	v_add_u32_e32 v0, s4, v0
	v_add_co_u32_e32 v2, vcc, s0, v2
	v_addc_co_u32_e32 v3, vcc, v39, v3, vcc
	global_load_dword v4, v[2:3], off
	s_waitcnt vmcnt(0)
	v_mul_f32_e32 v4, v36, v4
	global_store_dword v[2:3], v4, off
	v_lshlrev_b64 v[2:3], 2, v[0:1]
	v_add_u32_e32 v0, s4, v0
	v_add_co_u32_e32 v2, vcc, s0, v2
	v_addc_co_u32_e32 v3, vcc, v39, v3, vcc
	;; [unrolled: 8-line block ×6, first 2 shown]
	global_load_dword v6, v[4:5], off
	v_add_co_u32_e32 v2, vcc, s2, v2
	v_addc_co_u32_e32 v3, vcc, v32, v3, vcc
	s_waitcnt vmcnt(0)
	v_mul_f32_e32 v6, v42, v6
	global_store_dword v[4:5], v6, off
	global_load_dword v4, v[2:3], off
	s_waitcnt vmcnt(0)
	v_mul_f32_e32 v4, v35, v4
	global_store_dword v[2:3], v4, off
	v_lshlrev_b64 v[2:3], 2, v[0:1]
	v_add_u32_e32 v0, s4, v0
	v_add_co_u32_e32 v2, vcc, s0, v2
	v_addc_co_u32_e32 v3, vcc, v39, v3, vcc
	global_load_dword v4, v[2:3], off
	s_waitcnt vmcnt(0)
	v_mul_f32_e32 v4, v42, v4
	global_store_dword v[2:3], v4, off
	v_lshlrev_b64 v[2:3], 2, v[0:1]
	v_add_u32_e32 v0, s4, v0
	v_add_co_u32_e32 v2, vcc, s0, v2
	v_addc_co_u32_e32 v3, vcc, v39, v3, vcc
	;; [unrolled: 8-line block ×14, first 2 shown]
	global_load_dword v6, v[4:5], off
	v_add_co_u32_e32 v2, vcc, s2, v2
	v_addc_co_u32_e32 v3, vcc, v32, v3, vcc
	s_waitcnt vmcnt(0)
	v_mul_f32_e32 v6, v35, v6
	global_store_dword v[4:5], v6, off
	global_load_dword v4, v[2:3], off
	s_waitcnt vmcnt(0)
	v_mul_f32_e32 v4, v34, v4
	global_store_dword v[2:3], v4, off
	v_lshlrev_b64 v[2:3], 2, v[0:1]
	v_add_u32_e32 v0, s4, v0
	v_add_co_u32_e32 v2, vcc, s0, v2
	v_addc_co_u32_e32 v3, vcc, v39, v3, vcc
	global_load_dword v4, v[2:3], off
	s_waitcnt vmcnt(0)
	v_mul_f32_e32 v4, v41, v4
	global_store_dword v[2:3], v4, off
	v_lshlrev_b64 v[2:3], 2, v[0:1]
	v_add_u32_e32 v0, s4, v0
	v_add_co_u32_e32 v4, vcc, s0, v2
	v_addc_co_u32_e32 v5, vcc, v39, v3, vcc
	global_load_dword v6, v[4:5], off
	v_add_co_u32_e32 v2, vcc, s2, v2
	v_addc_co_u32_e32 v3, vcc, v32, v3, vcc
	s_waitcnt vmcnt(0)
	v_mul_f32_e32 v6, v37, v6
	global_store_dword v[4:5], v6, off
	global_load_dword v4, v[2:3], off
	s_waitcnt vmcnt(0)
	v_mul_f32_e32 v4, v40, v4
	global_store_dword v[2:3], v4, off
	v_lshlrev_b64 v[2:3], 2, v[0:1]
	v_add_u32_e32 v0, s4, v0
	v_add_co_u32_e32 v2, vcc, s0, v2
	v_addc_co_u32_e32 v3, vcc, v39, v3, vcc
	global_load_dword v4, v[2:3], off
	s_waitcnt vmcnt(0)
	v_mul_f32_e32 v4, v37, v4
	global_store_dword v[2:3], v4, off
	v_lshlrev_b64 v[2:3], 2, v[0:1]
	v_add_u32_e32 v0, s4, v0
	v_add_co_u32_e32 v2, vcc, s2, v2
	v_addc_co_u32_e32 v3, vcc, v32, v3, vcc
	;; [unrolled: 8-line block ×16, first 2 shown]
	global_load_dword v6, v[4:5], off
	v_add_co_u32_e32 v2, vcc, s2, v2
	v_addc_co_u32_e32 v3, vcc, v32, v3, vcc
	s_waitcnt vmcnt(0)
	v_mul_f32_e32 v6, v37, v6
	global_store_dword v[4:5], v6, off
	global_load_dword v4, v[2:3], off
	s_waitcnt vmcnt(0)
	v_mul_f32_e32 v4, v34, v4
	global_store_dword v[2:3], v4, off
	v_lshlrev_b64 v[2:3], 2, v[0:1]
	v_add_u32_e32 v0, s1, v0
	v_add_co_u32_e32 v2, vcc, s2, v2
	v_addc_co_u32_e32 v3, vcc, v32, v3, vcc
	global_load_dword v4, v[2:3], off
	s_waitcnt vmcnt(0)
	v_mul_f32_e32 v4, v34, v4
	global_store_dword v[2:3], v4, off
	v_lshlrev_b64 v[2:3], 2, v[0:1]
	v_add_u32_e32 v0, s1, v0
	v_add_co_u32_e32 v2, vcc, s2, v2
	v_addc_co_u32_e32 v3, vcc, v32, v3, vcc
	;; [unrolled: 8-line block ×4, first 2 shown]
	global_load_dword v4, v[2:3], off
	s_waitcnt vmcnt(0)
	v_mul_f32_e32 v4, v35, v4
	global_store_dword v[2:3], v4, off
	v_lshlrev_b64 v[2:3], 2, v[0:1]
	v_add_co_u32_e32 v2, vcc, s2, v2
	v_addc_co_u32_e32 v3, vcc, v32, v3, vcc
	global_load_dword v4, v[2:3], off
	s_waitcnt vmcnt(0)
	v_mul_f32_e32 v4, v38, v4
	global_store_dword v[2:3], v4, off
	v_mad_u64_u32 v[2:3], s[6:7], s4, 9, v[0:1]
	v_mov_b32_e32 v3, v1
	v_lshlrev_b64 v[3:4], 2, v[2:3]
	v_add_co_u32_e32 v5, vcc, s0, v3
	v_addc_co_u32_e32 v6, vcc, v39, v4, vcc
	global_load_dword v0, v[5:6], off
	v_add_co_u32_e32 v3, vcc, s2, v3
	v_addc_co_u32_e32 v4, vcc, v32, v4, vcc
	s_waitcnt vmcnt(0)
	v_mul_f32_e32 v0, v38, v0
	global_store_dword v[5:6], v0, off
	global_load_dword v0, v[3:4], off
	s_waitcnt vmcnt(0)
	v_mul_f32_e32 v0, v34, v0
	global_store_dword v[3:4], v0, off
	v_add_u32_e32 v0, s4, v2
	v_lshlrev_b64 v[2:3], 2, v[0:1]
	v_add_u32_e32 v0, s4, v0
	v_add_co_u32_e32 v2, vcc, s0, v2
	v_addc_co_u32_e32 v3, vcc, v39, v3, vcc
	global_load_dword v4, v[2:3], off
	s_waitcnt vmcnt(0)
	v_mul_f32_e32 v4, v38, v4
	global_store_dword v[2:3], v4, off
	v_lshlrev_b64 v[2:3], 2, v[0:1]
	v_add_u32_e32 v0, s4, v0
	v_add_co_u32_e32 v4, vcc, s0, v2
	v_addc_co_u32_e32 v5, vcc, v39, v3, vcc
	global_load_dword v6, v[4:5], off
	v_add_co_u32_e32 v2, vcc, s2, v2
	v_addc_co_u32_e32 v3, vcc, v32, v3, vcc
	s_waitcnt vmcnt(0)
	v_mul_f32_e32 v6, v38, v6
	global_store_dword v[4:5], v6, off
	global_load_dword v4, v[2:3], off
	s_waitcnt vmcnt(0)
	v_mul_f32_e32 v4, v34, v4
	global_store_dword v[2:3], v4, off
	v_lshlrev_b64 v[2:3], 2, v[0:1]
	v_add_u32_e32 v0, s4, v0
	v_add_co_u32_e32 v2, vcc, s0, v2
	v_addc_co_u32_e32 v3, vcc, v39, v3, vcc
	global_load_dword v4, v[2:3], off
	s_waitcnt vmcnt(0)
	v_mul_f32_e32 v4, v38, v4
	global_store_dword v[2:3], v4, off
	v_lshlrev_b64 v[2:3], 2, v[0:1]
	v_add_u32_e32 v0, s4, v0
	v_add_co_u32_e32 v2, vcc, s0, v2
	v_addc_co_u32_e32 v3, vcc, v39, v3, vcc
	global_load_dword v4, v[2:3], off
	s_waitcnt vmcnt(0)
	v_mul_f32_e32 v4, v38, v4
	global_store_dword v[2:3], v4, off
	v_lshlrev_b64 v[2:3], 2, v[0:1]
	v_add_u32_e32 v0, s4, v0
	v_add_co_u32_e32 v4, vcc, s0, v2
	v_addc_co_u32_e32 v5, vcc, v39, v3, vcc
	global_load_dword v6, v[4:5], off
	v_add_co_u32_e32 v2, vcc, s2, v2
	v_addc_co_u32_e32 v3, vcc, v32, v3, vcc
	v_lshlrev_b64 v[0:1], 2, v[0:1]
	v_add_co_u32_e32 v0, vcc, s0, v0
	v_addc_co_u32_e32 v1, vcc, v39, v1, vcc
	s_waitcnt vmcnt(0)
	v_mul_f32_e32 v6, v38, v6
	global_store_dword v[4:5], v6, off
	global_load_dword v4, v[2:3], off
	s_waitcnt vmcnt(0)
	v_mul_f32_e32 v4, v34, v4
	global_store_dword v[2:3], v4, off
	global_load_dword v2, v[0:1], off
	s_waitcnt vmcnt(0)
	v_mul_f32_e32 v2, v38, v2
	global_store_dword v[0:1], v2, off
	s_endpgm
	.section	.rodata,"a",@progbits
	.p2align	6, 0x0
	.amdhsa_kernel _Z12qssa2_kernelIfEvPT_S1_PKS0_
		.amdhsa_group_segment_fixed_size 0
		.amdhsa_private_segment_fixed_size 0
		.amdhsa_kernarg_size 280
		.amdhsa_user_sgpr_count 6
		.amdhsa_user_sgpr_private_segment_buffer 1
		.amdhsa_user_sgpr_dispatch_ptr 0
		.amdhsa_user_sgpr_queue_ptr 0
		.amdhsa_user_sgpr_kernarg_segment_ptr 1
		.amdhsa_user_sgpr_dispatch_id 0
		.amdhsa_user_sgpr_flat_scratch_init 0
		.amdhsa_user_sgpr_private_segment_size 0
		.amdhsa_uses_dynamic_stack 0
		.amdhsa_system_sgpr_private_segment_wavefront_offset 0
		.amdhsa_system_sgpr_workgroup_id_x 1
		.amdhsa_system_sgpr_workgroup_id_y 0
		.amdhsa_system_sgpr_workgroup_id_z 0
		.amdhsa_system_sgpr_workgroup_info 0
		.amdhsa_system_vgpr_workitem_id 0
		.amdhsa_next_free_vgpr 49
		.amdhsa_next_free_sgpr 12
		.amdhsa_reserve_vcc 1
		.amdhsa_reserve_flat_scratch 0
		.amdhsa_float_round_mode_32 0
		.amdhsa_float_round_mode_16_64 0
		.amdhsa_float_denorm_mode_32 3
		.amdhsa_float_denorm_mode_16_64 3
		.amdhsa_dx10_clamp 1
		.amdhsa_ieee_mode 1
		.amdhsa_fp16_overflow 0
		.amdhsa_exception_fp_ieee_invalid_op 0
		.amdhsa_exception_fp_denorm_src 0
		.amdhsa_exception_fp_ieee_div_zero 0
		.amdhsa_exception_fp_ieee_overflow 0
		.amdhsa_exception_fp_ieee_underflow 0
		.amdhsa_exception_fp_ieee_inexact 0
		.amdhsa_exception_int_div_zero 0
	.end_amdhsa_kernel
	.section	.text._Z12qssa2_kernelIfEvPT_S1_PKS0_,"axG",@progbits,_Z12qssa2_kernelIfEvPT_S1_PKS0_,comdat
.Lfunc_end18:
	.size	_Z12qssa2_kernelIfEvPT_S1_PKS0_, .Lfunc_end18-_Z12qssa2_kernelIfEvPT_S1_PKS0_
                                        ; -- End function
	.set _Z12qssa2_kernelIfEvPT_S1_PKS0_.num_vgpr, 49
	.set _Z12qssa2_kernelIfEvPT_S1_PKS0_.num_agpr, 0
	.set _Z12qssa2_kernelIfEvPT_S1_PKS0_.numbered_sgpr, 12
	.set _Z12qssa2_kernelIfEvPT_S1_PKS0_.num_named_barrier, 0
	.set _Z12qssa2_kernelIfEvPT_S1_PKS0_.private_seg_size, 0
	.set _Z12qssa2_kernelIfEvPT_S1_PKS0_.uses_vcc, 1
	.set _Z12qssa2_kernelIfEvPT_S1_PKS0_.uses_flat_scratch, 0
	.set _Z12qssa2_kernelIfEvPT_S1_PKS0_.has_dyn_sized_stack, 0
	.set _Z12qssa2_kernelIfEvPT_S1_PKS0_.has_recursion, 0
	.set _Z12qssa2_kernelIfEvPT_S1_PKS0_.has_indirect_call, 0
	.section	.AMDGPU.csdata,"",@progbits
; Kernel info:
; codeLenInByte = 7924
; TotalNumSgprs: 16
; NumVgprs: 49
; ScratchSize: 0
; MemoryBound: 0
; FloatMode: 240
; IeeeMode: 1
; LDSByteSize: 0 bytes/workgroup (compile time only)
; SGPRBlocks: 1
; VGPRBlocks: 12
; NumSGPRsForWavesPerEU: 16
; NumVGPRsForWavesPerEU: 49
; Occupancy: 4
; WaveLimiterHint : 0
; COMPUTE_PGM_RSRC2:SCRATCH_EN: 0
; COMPUTE_PGM_RSRC2:USER_SGPR: 6
; COMPUTE_PGM_RSRC2:TRAP_HANDLER: 0
; COMPUTE_PGM_RSRC2:TGID_X_EN: 1
; COMPUTE_PGM_RSRC2:TGID_Y_EN: 0
; COMPUTE_PGM_RSRC2:TGID_Z_EN: 0
; COMPUTE_PGM_RSRC2:TIDIG_COMP_CNT: 0
	.section	.text._Z13rdwdot_kernelIfEvPKT_S2_PS0_S0_S2_,"axG",@progbits,_Z13rdwdot_kernelIfEvPKT_S2_PS0_S0_S2_,comdat
	.protected	_Z13rdwdot_kernelIfEvPKT_S2_PS0_S0_S2_ ; -- Begin function _Z13rdwdot_kernelIfEvPKT_S2_PS0_S0_S2_
	.globl	_Z13rdwdot_kernelIfEvPKT_S2_PS0_S0_S2_
	.p2align	8
	.type	_Z13rdwdot_kernelIfEvPKT_S2_PS0_S0_S2_,@function
_Z13rdwdot_kernelIfEvPKT_S2_PS0_S0_S2_: ; @_Z13rdwdot_kernelIfEvPKT_S2_PS0_S0_S2_
; %bb.0:
	s_load_dwordx4 s[0:3], s[4:5], 0x0
	s_load_dwordx2 s[8:9], s[4:5], 0x10
	s_load_dword s7, s[4:5], 0x18
	s_load_dwordx2 s[10:11], s[4:5], 0x20
	s_load_dword s12, s[4:5], 0x28
	s_load_dword s13, s[4:5], 0x34
	v_mov_b32_e32 v3, 0
	s_waitcnt lgkmcnt(0)
	v_mov_b32_e32 v4, s1
	s_and_b32 s13, s13, 0xffff
	s_mul_i32 s4, s12, s13
	s_mul_i32 s6, s6, s13
	s_lshl_b32 s5, s4, 2
	v_add_u32_e32 v0, s6, v0
	v_add_u32_e32 v2, s5, v0
	v_lshlrev_b64 v[5:6], 2, v[2:3]
	v_add_u32_e32 v2, s4, v2
	v_add_co_u32_e32 v7, vcc, s0, v5
	v_addc_co_u32_e32 v8, vcc, v4, v6, vcc
	global_load_dword v1, v[7:8], off
	v_add_co_u32_e32 v7, vcc, s2, v5
	v_mov_b32_e32 v5, s3
	v_addc_co_u32_e32 v8, vcc, v5, v6, vcc
	global_load_dword v6, v[7:8], off
	s_mul_i32 s1, s4, 6
	s_mul_i32 s3, s4, 7
	;; [unrolled: 1-line block ×3, first 2 shown]
	s_lshl_b32 s12, s4, 1
	s_mul_i32 s13, s4, 3
	s_lshl_b32 s14, s4, 3
	s_waitcnt vmcnt(0)
	v_sub_f32_e32 v1, v1, v6
	v_lshlrev_b64 v[6:7], 2, v[2:3]
	v_add_u32_e32 v2, s4, v2
	v_add_co_u32_e32 v8, vcc, s0, v6
	v_addc_co_u32_e32 v9, vcc, v4, v7, vcc
	v_add_co_u32_e32 v6, vcc, s2, v6
	v_addc_co_u32_e32 v7, vcc, v5, v7, vcc
	global_load_dword v8, v[8:9], off
	s_nop 0
	global_load_dword v6, v[6:7], off
	s_waitcnt vmcnt(0)
	v_sub_f32_e32 v6, v8, v6
	v_add_f32_e32 v1, v1, v6
	v_lshlrev_b64 v[6:7], 2, v[2:3]
	v_add_u32_e32 v2, s4, v2
	v_add_co_u32_e32 v8, vcc, s0, v6
	v_addc_co_u32_e32 v9, vcc, v4, v7, vcc
	v_add_co_u32_e32 v6, vcc, s2, v6
	v_addc_co_u32_e32 v7, vcc, v5, v7, vcc
	global_load_dword v8, v[8:9], off
	s_nop 0
	global_load_dword v6, v[6:7], off
	s_waitcnt vmcnt(0)
	v_sub_f32_e32 v6, v8, v6
	v_add_f32_e32 v1, v1, v6
	v_lshlrev_b64 v[6:7], 2, v[2:3]
	v_add_u32_e32 v2, s5, v2
	v_add_co_u32_e32 v8, vcc, s0, v6
	v_addc_co_u32_e32 v9, vcc, v4, v7, vcc
	v_add_co_u32_e32 v6, vcc, s2, v6
	v_addc_co_u32_e32 v7, vcc, v5, v7, vcc
	global_load_dword v8, v[8:9], off
	s_nop 0
	global_load_dword v6, v[6:7], off
	s_waitcnt vmcnt(0)
	v_sub_f32_e32 v6, v8, v6
	v_lshlrev_b64 v[7:8], 2, v[2:3]
	v_add_f32_e32 v6, v1, v6
	v_add_co_u32_e32 v9, vcc, s0, v7
	v_addc_co_u32_e32 v10, vcc, v4, v8, vcc
	v_add_co_u32_e32 v7, vcc, s2, v7
	v_addc_co_u32_e32 v8, vcc, v5, v8, vcc
	global_load_dword v1, v[9:10], off
	v_add_u32_e32 v2, s4, v2
	global_load_dword v7, v[7:8], off
	s_waitcnt vmcnt(0)
	v_sub_f32_e32 v1, v1, v7
	v_lshlrev_b64 v[7:8], 2, v[2:3]
	v_add_u32_e32 v2, s4, v2
	v_add_co_u32_e32 v9, vcc, s0, v7
	v_addc_co_u32_e32 v10, vcc, v4, v8, vcc
	v_add_co_u32_e32 v7, vcc, s2, v7
	v_addc_co_u32_e32 v8, vcc, v5, v8, vcc
	global_load_dword v9, v[9:10], off
	s_nop 0
	global_load_dword v7, v[7:8], off
	s_waitcnt vmcnt(0)
	v_sub_f32_e32 v7, v9, v7
	v_add_f32_e32 v1, v1, v7
	v_lshlrev_b64 v[7:8], 2, v[2:3]
	v_add_u32_e32 v2, s4, v2
	v_add_co_u32_e32 v9, vcc, s0, v7
	v_addc_co_u32_e32 v10, vcc, v4, v8, vcc
	v_add_co_u32_e32 v7, vcc, s2, v7
	v_addc_co_u32_e32 v8, vcc, v5, v8, vcc
	global_load_dword v9, v[9:10], off
	s_nop 0
	global_load_dword v7, v[7:8], off
	s_waitcnt vmcnt(0)
	v_sub_f32_e32 v7, v9, v7
	v_add_f32_e32 v9, v1, v7
	v_lshlrev_b64 v[1:2], 2, v[2:3]
	v_add_co_u32_e32 v7, vcc, s0, v1
	v_addc_co_u32_e32 v8, vcc, v4, v2, vcc
	v_add_co_u32_e32 v1, vcc, s2, v1
	v_addc_co_u32_e32 v2, vcc, v5, v2, vcc
	global_load_dword v7, v[7:8], off
	s_nop 0
	global_load_dword v1, v[1:2], off
	s_waitcnt vmcnt(0)
	v_sub_f32_e32 v1, v7, v1
	v_add_f32_e32 v7, v9, v1
	v_mov_b32_e32 v1, v3
	v_lshlrev_b64 v[1:2], 2, v[0:1]
	v_add_co_u32_e32 v8, vcc, s0, v1
	v_addc_co_u32_e32 v9, vcc, v4, v2, vcc
	v_add_co_u32_e32 v1, vcc, s2, v1
	v_addc_co_u32_e32 v2, vcc, v5, v2, vcc
	global_load_dword v8, v[8:9], off
	s_nop 0
	global_load_dword v1, v[1:2], off
	v_add_u32_e32 v2, s4, v0
	s_waitcnt vmcnt(0)
	v_sub_f32_e32 v10, v8, v1
	v_lshlrev_b64 v[0:1], 2, v[2:3]
	v_add_u32_e32 v2, s4, v2
	v_add_co_u32_e32 v8, vcc, s0, v0
	v_addc_co_u32_e32 v9, vcc, v4, v1, vcc
	global_load_dword v11, v[8:9], off
	v_add_co_u32_e32 v8, vcc, s2, v0
	v_addc_co_u32_e32 v9, vcc, v5, v1, vcc
	global_load_dword v8, v[8:9], off
	s_waitcnt vmcnt(0)
	v_sub_f32_e32 v8, v11, v8
	v_sub_f32_e32 v12, v8, v10
	v_lshlrev_b64 v[8:9], 2, v[2:3]
	v_add_u32_e32 v2, s1, v2
	v_add_co_u32_e32 v10, vcc, s0, v8
	v_addc_co_u32_e32 v11, vcc, v4, v9, vcc
	v_add_co_u32_e32 v8, vcc, s2, v8
	v_addc_co_u32_e32 v9, vcc, v5, v9, vcc
	global_load_dword v10, v[10:11], off
	s_nop 0
	global_load_dword v8, v[8:9], off
	s_waitcnt vmcnt(0)
	v_sub_f32_e32 v8, v10, v8
	v_add_f32_e32 v8, v12, v8
	v_sub_f32_e32 v8, v8, v6
	v_sub_f32_e32 v6, v8, v6
	v_lshlrev_b64 v[8:9], 2, v[2:3]
	v_add_u32_e32 v2, s4, v2
	v_add_co_u32_e32 v10, vcc, s0, v8
	v_addc_co_u32_e32 v11, vcc, v4, v9, vcc
	v_add_co_u32_e32 v8, vcc, s2, v8
	v_addc_co_u32_e32 v9, vcc, v5, v9, vcc
	global_load_dword v10, v[10:11], off
	s_nop 0
	global_load_dword v8, v[8:9], off
	s_waitcnt vmcnt(0)
	v_sub_f32_e32 v8, v10, v8
	v_sub_f32_e32 v6, v6, v8
	v_lshlrev_b64 v[8:9], 2, v[2:3]
	v_add_u32_e32 v2, s3, v2
	v_add_co_u32_e32 v10, vcc, s0, v8
	v_addc_co_u32_e32 v11, vcc, v4, v9, vcc
	v_add_co_u32_e32 v8, vcc, s2, v8
	v_addc_co_u32_e32 v9, vcc, v5, v9, vcc
	global_load_dword v10, v[10:11], off
	s_nop 0
	global_load_dword v8, v[8:9], off
	s_waitcnt vmcnt(0)
	v_sub_f32_e32 v8, v10, v8
	v_sub_f32_e32 v6, v6, v8
	;; [unrolled: 1-line block ×3, first 2 shown]
	v_lshlrev_b64 v[6:7], 2, v[2:3]
	v_add_u32_e32 v2, s4, v2
	v_add_co_u32_e32 v8, vcc, s0, v6
	v_addc_co_u32_e32 v9, vcc, v4, v7, vcc
	v_add_co_u32_e32 v6, vcc, s2, v6
	v_addc_co_u32_e32 v7, vcc, v5, v7, vcc
	global_load_dword v8, v[8:9], off
	s_nop 0
	global_load_dword v6, v[6:7], off
	s_waitcnt vmcnt(0)
	v_sub_f32_e32 v6, v8, v6
	v_sub_f32_e32 v10, v10, v6
	v_lshlrev_b64 v[6:7], 2, v[2:3]
	v_add_u32_e32 v2, s4, v2
	v_add_co_u32_e32 v8, vcc, s0, v6
	v_addc_co_u32_e32 v9, vcc, v4, v7, vcc
	v_add_co_u32_e32 v6, vcc, s2, v6
	v_addc_co_u32_e32 v7, vcc, v5, v7, vcc
	global_load_dword v8, v[8:9], off
	s_nop 0
	global_load_dword v6, v[6:7], off
	s_waitcnt vmcnt(0)
	v_sub_f32_e32 v6, v8, v6
	v_sub_f32_e32 v10, v10, v6
	;; [unrolled: 12-line block ×5, first 2 shown]
	v_lshlrev_b64 v[6:7], 2, v[2:3]
	v_add_u32_e32 v2, s5, v2
	v_add_co_u32_e32 v8, vcc, s0, v6
	v_addc_co_u32_e32 v9, vcc, v4, v7, vcc
	v_add_co_u32_e32 v6, vcc, s2, v6
	v_addc_co_u32_e32 v7, vcc, v5, v7, vcc
	global_load_dword v8, v[8:9], off
	s_nop 0
	global_load_dword v6, v[6:7], off
	s_waitcnt vmcnt(0)
	v_sub_f32_e32 v6, v8, v6
	v_add_f32_e32 v10, v10, v6
	v_lshlrev_b64 v[6:7], 2, v[2:3]
	v_add_u32_e32 v2, s4, v2
	v_add_co_u32_e32 v8, vcc, s0, v6
	v_addc_co_u32_e32 v9, vcc, v4, v7, vcc
	v_add_co_u32_e32 v6, vcc, s2, v6
	v_addc_co_u32_e32 v7, vcc, v5, v7, vcc
	global_load_dword v8, v[8:9], off
	s_nop 0
	global_load_dword v6, v[6:7], off
	s_waitcnt vmcnt(0)
	v_sub_f32_e32 v6, v8, v6
	v_add_f32_e32 v10, v10, v6
	;; [unrolled: 12-line block ×5, first 2 shown]
	v_lshlrev_b64 v[6:7], 2, v[2:3]
	v_add_u32_e32 v2, s4, v2
	v_add_co_u32_e32 v8, vcc, s0, v6
	v_addc_co_u32_e32 v9, vcc, v4, v7, vcc
	v_add_co_u32_e32 v6, vcc, s2, v6
	v_addc_co_u32_e32 v7, vcc, v5, v7, vcc
	global_load_dword v8, v[8:9], off
	s_nop 0
	global_load_dword v6, v[6:7], off
	s_waitcnt vmcnt(0)
	v_sub_f32_e32 v6, v8, v6
	v_sub_f32_e32 v10, v10, v6
	v_lshlrev_b64 v[6:7], 2, v[2:3]
	v_add_u32_e32 v2, s12, v2
	v_add_co_u32_e32 v8, vcc, s0, v6
	v_addc_co_u32_e32 v9, vcc, v4, v7, vcc
	v_add_co_u32_e32 v6, vcc, s2, v6
	v_addc_co_u32_e32 v7, vcc, v5, v7, vcc
	global_load_dword v8, v[8:9], off
	s_nop 0
	global_load_dword v6, v[6:7], off
	s_waitcnt vmcnt(0)
	v_sub_f32_e32 v6, v8, v6
	v_sub_f32_e32 v10, v10, v6
	v_lshlrev_b64 v[6:7], 2, v[2:3]
	v_add_u32_e32 v2, s12, v2
	v_add_co_u32_e32 v8, vcc, s0, v6
	v_addc_co_u32_e32 v9, vcc, v4, v7, vcc
	v_add_co_u32_e32 v6, vcc, s2, v6
	v_addc_co_u32_e32 v7, vcc, v5, v7, vcc
	global_load_dword v8, v[8:9], off
	s_nop 0
	global_load_dword v6, v[6:7], off
	s_waitcnt vmcnt(0)
	v_sub_f32_e32 v6, v8, v6
	v_add_f32_e32 v10, v10, v6
	v_lshlrev_b64 v[6:7], 2, v[2:3]
	v_add_u32_e32 v2, s12, v2
	v_add_co_u32_e32 v8, vcc, s0, v6
	v_addc_co_u32_e32 v9, vcc, v4, v7, vcc
	v_add_co_u32_e32 v6, vcc, s2, v6
	v_addc_co_u32_e32 v7, vcc, v5, v7, vcc
	global_load_dword v8, v[8:9], off
	s_nop 0
	global_load_dword v6, v[6:7], off
	s_waitcnt vmcnt(0)
	v_sub_f32_e32 v6, v8, v6
	v_add_f32_e32 v10, v10, v6
	v_lshlrev_b64 v[6:7], 2, v[2:3]
	v_add_u32_e32 v2, s4, v2
	v_add_co_u32_e32 v8, vcc, s0, v6
	v_addc_co_u32_e32 v9, vcc, v4, v7, vcc
	v_add_co_u32_e32 v6, vcc, s2, v6
	v_addc_co_u32_e32 v7, vcc, v5, v7, vcc
	global_load_dword v8, v[8:9], off
	s_nop 0
	global_load_dword v6, v[6:7], off
	s_waitcnt vmcnt(0)
	v_sub_f32_e32 v6, v8, v6
	v_sub_f32_e32 v10, v10, v6
	v_lshlrev_b64 v[6:7], 2, v[2:3]
	v_add_u32_e32 v2, s4, v2
	v_add_co_u32_e32 v8, vcc, s0, v6
	v_addc_co_u32_e32 v9, vcc, v4, v7, vcc
	v_add_co_u32_e32 v6, vcc, s2, v6
	v_addc_co_u32_e32 v7, vcc, v5, v7, vcc
	global_load_dword v8, v[8:9], off
	s_nop 0
	global_load_dword v6, v[6:7], off
	s_waitcnt vmcnt(0)
	v_sub_f32_e32 v6, v8, v6
	v_add_f32_e32 v10, v10, v6
	v_lshlrev_b64 v[6:7], 2, v[2:3]
	v_add_u32_e32 v2, s12, v2
	v_add_co_u32_e32 v8, vcc, s0, v6
	v_addc_co_u32_e32 v9, vcc, v4, v7, vcc
	v_add_co_u32_e32 v6, vcc, s2, v6
	v_addc_co_u32_e32 v7, vcc, v5, v7, vcc
	global_load_dword v8, v[8:9], off
	s_nop 0
	global_load_dword v6, v[6:7], off
	s_waitcnt vmcnt(0)
	v_sub_f32_e32 v6, v8, v6
	v_add_f32_e32 v10, v10, v6
	;; [unrolled: 12-line block ×3, first 2 shown]
	v_add_f32_e32 v10, v6, v7
	v_lshlrev_b64 v[6:7], 2, v[2:3]
	v_add_u32_e32 v2, s5, v2
	v_add_co_u32_e32 v8, vcc, s0, v6
	v_addc_co_u32_e32 v9, vcc, v4, v7, vcc
	v_add_co_u32_e32 v6, vcc, s2, v6
	v_addc_co_u32_e32 v7, vcc, v5, v7, vcc
	global_load_dword v8, v[8:9], off
	s_nop 0
	global_load_dword v6, v[6:7], off
	s_waitcnt vmcnt(0)
	v_sub_f32_e32 v6, v8, v6
	v_add_f32_e32 v10, v10, v6
	v_lshlrev_b64 v[6:7], 2, v[2:3]
	v_add_u32_e32 v2, s13, v2
	v_add_co_u32_e32 v8, vcc, s0, v6
	v_addc_co_u32_e32 v9, vcc, v4, v7, vcc
	v_add_co_u32_e32 v6, vcc, s2, v6
	v_addc_co_u32_e32 v7, vcc, v5, v7, vcc
	global_load_dword v8, v[8:9], off
	s_nop 0
	global_load_dword v6, v[6:7], off
	s_waitcnt vmcnt(0)
	v_sub_f32_e32 v6, v8, v6
	;; [unrolled: 12-line block ×3, first 2 shown]
	v_sub_f32_e32 v10, v10, v6
	v_lshlrev_b64 v[6:7], 2, v[2:3]
	v_add_u32_e32 v2, s4, v2
	v_add_co_u32_e32 v8, vcc, s0, v6
	v_addc_co_u32_e32 v9, vcc, v4, v7, vcc
	v_add_co_u32_e32 v6, vcc, s2, v6
	v_addc_co_u32_e32 v7, vcc, v5, v7, vcc
	global_load_dword v8, v[8:9], off
	s_nop 0
	global_load_dword v6, v[6:7], off
	s_waitcnt vmcnt(0)
	v_sub_f32_e32 v6, v8, v6
	v_add_f32_e32 v10, v10, v6
	v_lshlrev_b64 v[6:7], 2, v[2:3]
	v_add_u32_e32 v2, s4, v2
	v_add_co_u32_e32 v8, vcc, s0, v6
	v_addc_co_u32_e32 v9, vcc, v4, v7, vcc
	v_add_co_u32_e32 v6, vcc, s2, v6
	v_addc_co_u32_e32 v7, vcc, v5, v7, vcc
	global_load_dword v8, v[8:9], off
	s_nop 0
	global_load_dword v6, v[6:7], off
	s_waitcnt vmcnt(0)
	v_sub_f32_e32 v6, v8, v6
	v_add_f32_e32 v10, v10, v6
	;; [unrolled: 12-line block ×4, first 2 shown]
	v_lshlrev_b64 v[6:7], 2, v[2:3]
	v_add_u32_e32 v2, s4, v2
	v_add_co_u32_e32 v8, vcc, s0, v6
	v_addc_co_u32_e32 v9, vcc, v4, v7, vcc
	v_add_co_u32_e32 v6, vcc, s2, v6
	v_addc_co_u32_e32 v7, vcc, v5, v7, vcc
	global_load_dword v8, v[8:9], off
	s_nop 0
	global_load_dword v6, v[6:7], off
	s_waitcnt vmcnt(0)
	v_sub_f32_e32 v6, v8, v6
	v_sub_f32_e32 v10, v10, v6
	v_lshlrev_b64 v[6:7], 2, v[2:3]
	v_add_u32_e32 v2, s6, v2
	v_add_co_u32_e32 v8, vcc, s0, v6
	v_addc_co_u32_e32 v9, vcc, v4, v7, vcc
	v_add_co_u32_e32 v6, vcc, s2, v6
	v_addc_co_u32_e32 v7, vcc, v5, v7, vcc
	global_load_dword v8, v[8:9], off
	s_nop 0
	global_load_dword v6, v[6:7], off
	s_waitcnt vmcnt(0)
	v_sub_f32_e32 v6, v8, v6
	v_sub_f32_e32 v10, v10, v6
	v_lshlrev_b64 v[6:7], 2, v[2:3]
	v_add_u32_e32 v2, s4, v2
	v_add_co_u32_e32 v8, vcc, s0, v6
	v_addc_co_u32_e32 v9, vcc, v4, v7, vcc
	v_add_co_u32_e32 v6, vcc, s2, v6
	v_addc_co_u32_e32 v7, vcc, v5, v7, vcc
	global_load_dword v8, v[8:9], off
	s_nop 0
	global_load_dword v6, v[6:7], off
	s_waitcnt vmcnt(0)
	v_sub_f32_e32 v6, v8, v6
	v_add_f32_e32 v10, v10, v6
	v_lshlrev_b64 v[6:7], 2, v[2:3]
	v_add_u32_e32 v2, s4, v2
	v_add_co_u32_e32 v8, vcc, s0, v6
	v_addc_co_u32_e32 v9, vcc, v4, v7, vcc
	v_add_co_u32_e32 v6, vcc, s2, v6
	v_addc_co_u32_e32 v7, vcc, v5, v7, vcc
	global_load_dword v8, v[8:9], off
	s_nop 0
	global_load_dword v6, v[6:7], off
	s_waitcnt vmcnt(0)
	v_sub_f32_e32 v6, v8, v6
	v_sub_f32_e32 v10, v10, v6
	v_lshlrev_b64 v[6:7], 2, v[2:3]
	v_add_u32_e32 v2, s14, v2
	v_add_co_u32_e32 v8, vcc, s0, v6
	v_addc_co_u32_e32 v9, vcc, v4, v7, vcc
	v_add_co_u32_e32 v6, vcc, s2, v6
	v_addc_co_u32_e32 v7, vcc, v5, v7, vcc
	global_load_dword v8, v[8:9], off
	s_nop 0
	global_load_dword v6, v[6:7], off
	s_waitcnt vmcnt(0)
	v_sub_f32_e32 v6, v8, v6
	v_add_f32_e32 v10, v10, v6
	v_lshlrev_b64 v[6:7], 2, v[2:3]
	v_add_u32_e32 v2, s5, v2
	v_add_co_u32_e32 v8, vcc, s0, v6
	v_addc_co_u32_e32 v9, vcc, v4, v7, vcc
	v_add_co_u32_e32 v6, vcc, s2, v6
	v_addc_co_u32_e32 v7, vcc, v5, v7, vcc
	global_load_dword v8, v[8:9], off
	s_nop 0
	global_load_dword v6, v[6:7], off
	s_waitcnt vmcnt(0)
	v_sub_f32_e32 v6, v8, v6
	v_add_f32_e32 v10, v10, v6
	;; [unrolled: 12-line block ×5, first 2 shown]
	v_lshlrev_b64 v[6:7], 2, v[2:3]
	v_add_u32_e32 v2, s4, v2
	v_add_co_u32_e32 v8, vcc, s0, v6
	v_addc_co_u32_e32 v9, vcc, v4, v7, vcc
	v_add_co_u32_e32 v6, vcc, s2, v6
	v_addc_co_u32_e32 v7, vcc, v5, v7, vcc
	global_load_dword v8, v[8:9], off
	s_nop 0
	global_load_dword v6, v[6:7], off
	s_waitcnt vmcnt(0)
	v_sub_f32_e32 v6, v8, v6
	v_sub_f32_e32 v10, v10, v6
	v_lshlrev_b64 v[6:7], 2, v[2:3]
	v_add_u32_e32 v2, s4, v2
	v_add_co_u32_e32 v8, vcc, s0, v6
	v_addc_co_u32_e32 v9, vcc, v4, v7, vcc
	v_add_co_u32_e32 v6, vcc, s2, v6
	v_addc_co_u32_e32 v7, vcc, v5, v7, vcc
	global_load_dword v8, v[8:9], off
	s_nop 0
	global_load_dword v6, v[6:7], off
	s_waitcnt vmcnt(0)
	v_sub_f32_e32 v6, v8, v6
	v_sub_f32_e32 v10, v10, v6
	;; [unrolled: 12-line block ×4, first 2 shown]
	v_lshlrev_b64 v[6:7], 2, v[2:3]
	v_add_u32_e32 v2, s13, v2
	v_add_co_u32_e32 v8, vcc, s0, v6
	v_addc_co_u32_e32 v9, vcc, v4, v7, vcc
	v_add_co_u32_e32 v6, vcc, s2, v6
	v_addc_co_u32_e32 v7, vcc, v5, v7, vcc
	global_load_dword v8, v[8:9], off
	s_nop 0
	global_load_dword v6, v[6:7], off
	s_waitcnt vmcnt(0)
	v_sub_f32_e32 v6, v8, v6
	v_add_f32_e32 v10, v10, v6
	v_lshlrev_b64 v[6:7], 2, v[2:3]
	v_add_u32_e32 v2, s4, v2
	v_add_co_u32_e32 v8, vcc, s0, v6
	v_addc_co_u32_e32 v9, vcc, v4, v7, vcc
	v_add_co_u32_e32 v6, vcc, s2, v6
	v_addc_co_u32_e32 v7, vcc, v5, v7, vcc
	global_load_dword v8, v[8:9], off
	s_nop 0
	global_load_dword v6, v[6:7], off
	s_waitcnt vmcnt(0)
	v_sub_f32_e32 v6, v8, v6
	v_sub_f32_e32 v10, v10, v6
	v_lshlrev_b64 v[6:7], 2, v[2:3]
	v_add_u32_e32 v2, s1, v2
	v_add_co_u32_e32 v8, vcc, s0, v6
	v_addc_co_u32_e32 v9, vcc, v4, v7, vcc
	v_add_co_u32_e32 v6, vcc, s2, v6
	v_addc_co_u32_e32 v7, vcc, v5, v7, vcc
	global_load_dword v8, v[8:9], off
	s_nop 0
	global_load_dword v6, v[6:7], off
	s_waitcnt vmcnt(0)
	v_sub_f32_e32 v6, v8, v6
	v_add_f32_e32 v10, v10, v6
	v_lshlrev_b64 v[6:7], 2, v[2:3]
	v_add_u32_e32 v2, s4, v2
	v_add_co_u32_e32 v8, vcc, s0, v6
	v_addc_co_u32_e32 v9, vcc, v4, v7, vcc
	v_add_co_u32_e32 v6, vcc, s2, v6
	v_addc_co_u32_e32 v7, vcc, v5, v7, vcc
	global_load_dword v8, v[8:9], off
	s_nop 0
	global_load_dword v6, v[6:7], off
	s_waitcnt vmcnt(0)
	v_sub_f32_e32 v6, v8, v6
	v_add_f32_e32 v10, v10, v6
	;; [unrolled: 12-line block ×5, first 2 shown]
	v_lshlrev_b64 v[6:7], 2, v[2:3]
	v_add_u32_e32 v2, s4, v2
	v_add_co_u32_e32 v8, vcc, s0, v6
	v_addc_co_u32_e32 v9, vcc, v4, v7, vcc
	v_add_co_u32_e32 v6, vcc, s2, v6
	v_addc_co_u32_e32 v7, vcc, v5, v7, vcc
	global_load_dword v8, v[8:9], off
	s_nop 0
	global_load_dword v6, v[6:7], off
	s_waitcnt vmcnt(0)
	v_sub_f32_e32 v6, v8, v6
	v_sub_f32_e32 v10, v10, v6
	v_lshlrev_b64 v[6:7], 2, v[2:3]
	v_add_u32_e32 v2, s4, v2
	v_add_co_u32_e32 v8, vcc, s0, v6
	v_addc_co_u32_e32 v9, vcc, v4, v7, vcc
	v_add_co_u32_e32 v6, vcc, s2, v6
	v_addc_co_u32_e32 v7, vcc, v5, v7, vcc
	global_load_dword v8, v[8:9], off
	s_nop 0
	global_load_dword v6, v[6:7], off
	s_waitcnt vmcnt(0)
	v_sub_f32_e32 v6, v8, v6
	v_sub_f32_e32 v10, v10, v6
	;; [unrolled: 12-line block ×6, first 2 shown]
	v_lshlrev_b64 v[6:7], 2, v[2:3]
	v_add_co_u32_e32 v8, vcc, s0, v6
	v_addc_co_u32_e32 v9, vcc, v4, v7, vcc
	v_add_co_u32_e32 v6, vcc, s2, v6
	v_addc_co_u32_e32 v7, vcc, v5, v7, vcc
	global_load_dword v8, v[8:9], off
	s_nop 0
	global_load_dword v6, v[6:7], off
	s_waitcnt vmcnt(0)
	v_sub_f32_e32 v6, v8, v6
	v_add_f32_e32 v11, v10, v6
	v_mad_u64_u32 v[6:7], s[16:17], s4, 11, v[2:3]
	v_mov_b32_e32 v7, v3
	v_lshlrev_b64 v[7:8], 2, v[6:7]
	v_add_co_u32_e32 v9, vcc, s0, v7
	v_addc_co_u32_e32 v10, vcc, v4, v8, vcc
	v_add_co_u32_e32 v7, vcc, s2, v7
	v_addc_co_u32_e32 v8, vcc, v5, v8, vcc
	global_load_dword v2, v[9:10], off
	s_nop 0
	global_load_dword v7, v[7:8], off
	s_waitcnt vmcnt(0)
	v_sub_f32_e32 v2, v2, v7
	v_add_f32_e32 v10, v11, v2
	v_add_u32_e32 v2, s12, v6
	v_lshlrev_b64 v[6:7], 2, v[2:3]
	v_add_u32_e32 v2, s4, v2
	v_add_co_u32_e32 v8, vcc, s0, v6
	v_addc_co_u32_e32 v9, vcc, v4, v7, vcc
	v_add_co_u32_e32 v6, vcc, s2, v6
	v_addc_co_u32_e32 v7, vcc, v5, v7, vcc
	global_load_dword v8, v[8:9], off
	s_nop 0
	global_load_dword v6, v[6:7], off
	s_waitcnt vmcnt(0)
	v_sub_f32_e32 v6, v8, v6
	v_sub_f32_e32 v10, v10, v6
	v_lshlrev_b64 v[6:7], 2, v[2:3]
	v_add_u32_e32 v2, s4, v2
	v_add_co_u32_e32 v8, vcc, s0, v6
	v_addc_co_u32_e32 v9, vcc, v4, v7, vcc
	v_add_co_u32_e32 v6, vcc, s2, v6
	v_addc_co_u32_e32 v7, vcc, v5, v7, vcc
	global_load_dword v8, v[8:9], off
	s_nop 0
	global_load_dword v6, v[6:7], off
	s_waitcnt vmcnt(0)
	v_sub_f32_e32 v6, v8, v6
	v_sub_f32_e32 v10, v10, v6
	;; [unrolled: 12-line block ×5, first 2 shown]
	v_lshlrev_b64 v[6:7], 2, v[2:3]
	v_add_u32_e32 v2, s12, v2
	v_add_co_u32_e32 v8, vcc, s0, v6
	v_addc_co_u32_e32 v9, vcc, v4, v7, vcc
	v_add_co_u32_e32 v6, vcc, s2, v6
	v_addc_co_u32_e32 v7, vcc, v5, v7, vcc
	global_load_dword v8, v[8:9], off
	s_nop 0
	global_load_dword v6, v[6:7], off
	s_waitcnt vmcnt(0)
	v_sub_f32_e32 v6, v8, v6
	v_add_f32_e32 v10, v10, v6
	v_lshlrev_b64 v[6:7], 2, v[2:3]
	v_add_u32_e32 v2, s13, v2
	v_add_co_u32_e32 v8, vcc, s0, v6
	v_addc_co_u32_e32 v9, vcc, v4, v7, vcc
	v_add_co_u32_e32 v6, vcc, s2, v6
	v_addc_co_u32_e32 v7, vcc, v5, v7, vcc
	global_load_dword v8, v[8:9], off
	s_nop 0
	global_load_dword v6, v[6:7], off
	s_waitcnt vmcnt(0)
	v_sub_f32_e32 v6, v8, v6
	v_add_f32_e32 v10, v10, v6
	v_lshlrev_b64 v[6:7], 2, v[2:3]
	v_add_u32_e32 v2, s4, v2
	v_add_co_u32_e32 v8, vcc, s0, v6
	v_addc_co_u32_e32 v9, vcc, v4, v7, vcc
	v_add_co_u32_e32 v6, vcc, s2, v6
	v_addc_co_u32_e32 v7, vcc, v5, v7, vcc
	global_load_dword v8, v[8:9], off
	s_nop 0
	global_load_dword v6, v[6:7], off
	s_waitcnt vmcnt(0)
	v_sub_f32_e32 v6, v8, v6
	v_sub_f32_e32 v10, v10, v6
	v_lshlrev_b64 v[6:7], 2, v[2:3]
	v_add_u32_e32 v2, s12, v2
	v_add_co_u32_e32 v8, vcc, s0, v6
	v_addc_co_u32_e32 v9, vcc, v4, v7, vcc
	v_add_co_u32_e32 v6, vcc, s2, v6
	v_addc_co_u32_e32 v7, vcc, v5, v7, vcc
	global_load_dword v8, v[8:9], off
	s_nop 0
	global_load_dword v6, v[6:7], off
	s_waitcnt vmcnt(0)
	v_sub_f32_e32 v6, v8, v6
	v_sub_f32_e32 v10, v10, v6
	v_lshlrev_b64 v[6:7], 2, v[2:3]
	v_add_u32_e32 v2, s3, v2
	v_add_co_u32_e32 v8, vcc, s0, v6
	v_addc_co_u32_e32 v9, vcc, v4, v7, vcc
	v_add_co_u32_e32 v6, vcc, s2, v6
	v_addc_co_u32_e32 v7, vcc, v5, v7, vcc
	global_load_dword v8, v[8:9], off
	s_nop 0
	global_load_dword v6, v[6:7], off
	s_waitcnt vmcnt(0)
	v_sub_f32_e32 v6, v8, v6
	v_add_f32_e32 v10, v10, v6
	v_lshlrev_b64 v[6:7], 2, v[2:3]
	v_add_u32_e32 v2, s6, v2
	v_add_co_u32_e32 v8, vcc, s0, v6
	v_addc_co_u32_e32 v9, vcc, v4, v7, vcc
	v_add_co_u32_e32 v6, vcc, s2, v6
	v_addc_co_u32_e32 v7, vcc, v5, v7, vcc
	global_load_dword v8, v[8:9], off
	s_nop 0
	global_load_dword v6, v[6:7], off
	s_waitcnt vmcnt(0)
	v_sub_f32_e32 v6, v8, v6
	v_sub_f32_e32 v10, v10, v6
	v_lshlrev_b64 v[6:7], 2, v[2:3]
	v_add_u32_e32 v2, s4, v2
	v_add_co_u32_e32 v8, vcc, s0, v6
	v_addc_co_u32_e32 v9, vcc, v4, v7, vcc
	v_add_co_u32_e32 v6, vcc, s2, v6
	v_addc_co_u32_e32 v7, vcc, v5, v7, vcc
	global_load_dword v8, v[8:9], off
	s_nop 0
	global_load_dword v6, v[6:7], off
	s_waitcnt vmcnt(0)
	v_sub_f32_e32 v6, v8, v6
	v_sub_f32_e32 v10, v10, v6
	;; [unrolled: 12-line block ×6, first 2 shown]
	v_lshlrev_b64 v[6:7], 2, v[2:3]
	v_add_u32_e32 v2, s1, v2
	v_add_co_u32_e32 v8, vcc, s0, v6
	v_addc_co_u32_e32 v9, vcc, v4, v7, vcc
	v_add_co_u32_e32 v6, vcc, s2, v6
	v_addc_co_u32_e32 v7, vcc, v5, v7, vcc
	global_load_dword v8, v[8:9], off
	s_nop 0
	global_load_dword v6, v[6:7], off
	s_waitcnt vmcnt(0)
	v_sub_f32_e32 v6, v8, v6
	v_add_f32_e32 v10, v10, v6
	v_lshlrev_b64 v[6:7], 2, v[2:3]
	v_add_u32_e32 v2, s4, v2
	v_add_co_u32_e32 v8, vcc, s0, v6
	v_addc_co_u32_e32 v9, vcc, v4, v7, vcc
	v_add_co_u32_e32 v6, vcc, s2, v6
	v_addc_co_u32_e32 v7, vcc, v5, v7, vcc
	global_load_dword v8, v[8:9], off
	v_lshlrev_b64 v[2:3], 2, v[2:3]
	global_load_dword v6, v[6:7], off
	v_add_co_u32_e32 v7, vcc, s0, v2
	s_load_dword s0, s[10:11], 0x4
	s_waitcnt vmcnt(0)
	v_sub_f32_e32 v6, v8, v6
	v_addc_co_u32_e32 v8, vcc, v4, v3, vcc
	v_add_co_u32_e32 v2, vcc, s2, v2
	v_addc_co_u32_e32 v3, vcc, v5, v3, vcc
	global_load_dword v4, v[7:8], off
	v_sub_f32_e32 v6, v10, v6
	global_load_dword v2, v[2:3], off
	v_add_co_u32_e32 v0, vcc, s8, v0
	v_mov_b32_e32 v3, s9
	v_addc_co_u32_e32 v1, vcc, v3, v1, vcc
	s_waitcnt vmcnt(0)
	v_sub_f32_e32 v2, v4, v2
	v_sub_f32_e32 v2, v6, v2
	v_mul_f32_e32 v2, s7, v2
	s_waitcnt lgkmcnt(0)
	v_mul_f32_e32 v2, s0, v2
	global_store_dword v[0:1], v2, off
	s_endpgm
	.section	.rodata,"a",@progbits
	.p2align	6, 0x0
	.amdhsa_kernel _Z13rdwdot_kernelIfEvPKT_S2_PS0_S0_S2_
		.amdhsa_group_segment_fixed_size 0
		.amdhsa_private_segment_fixed_size 0
		.amdhsa_kernarg_size 296
		.amdhsa_user_sgpr_count 6
		.amdhsa_user_sgpr_private_segment_buffer 1
		.amdhsa_user_sgpr_dispatch_ptr 0
		.amdhsa_user_sgpr_queue_ptr 0
		.amdhsa_user_sgpr_kernarg_segment_ptr 1
		.amdhsa_user_sgpr_dispatch_id 0
		.amdhsa_user_sgpr_flat_scratch_init 0
		.amdhsa_user_sgpr_private_segment_size 0
		.amdhsa_uses_dynamic_stack 0
		.amdhsa_system_sgpr_private_segment_wavefront_offset 0
		.amdhsa_system_sgpr_workgroup_id_x 1
		.amdhsa_system_sgpr_workgroup_id_y 0
		.amdhsa_system_sgpr_workgroup_id_z 0
		.amdhsa_system_sgpr_workgroup_info 0
		.amdhsa_system_vgpr_workitem_id 0
		.amdhsa_next_free_vgpr 13
		.amdhsa_next_free_sgpr 18
		.amdhsa_reserve_vcc 1
		.amdhsa_reserve_flat_scratch 0
		.amdhsa_float_round_mode_32 0
		.amdhsa_float_round_mode_16_64 0
		.amdhsa_float_denorm_mode_32 3
		.amdhsa_float_denorm_mode_16_64 3
		.amdhsa_dx10_clamp 1
		.amdhsa_ieee_mode 1
		.amdhsa_fp16_overflow 0
		.amdhsa_exception_fp_ieee_invalid_op 0
		.amdhsa_exception_fp_denorm_src 0
		.amdhsa_exception_fp_ieee_div_zero 0
		.amdhsa_exception_fp_ieee_overflow 0
		.amdhsa_exception_fp_ieee_underflow 0
		.amdhsa_exception_fp_ieee_inexact 0
		.amdhsa_exception_int_div_zero 0
	.end_amdhsa_kernel
	.section	.text._Z13rdwdot_kernelIfEvPKT_S2_PS0_S0_S2_,"axG",@progbits,_Z13rdwdot_kernelIfEvPKT_S2_PS0_S0_S2_,comdat
.Lfunc_end19:
	.size	_Z13rdwdot_kernelIfEvPKT_S2_PS0_S0_S2_, .Lfunc_end19-_Z13rdwdot_kernelIfEvPKT_S2_PS0_S0_S2_
                                        ; -- End function
	.set _Z13rdwdot_kernelIfEvPKT_S2_PS0_S0_S2_.num_vgpr, 13
	.set _Z13rdwdot_kernelIfEvPKT_S2_PS0_S0_S2_.num_agpr, 0
	.set _Z13rdwdot_kernelIfEvPKT_S2_PS0_S0_S2_.numbered_sgpr, 18
	.set _Z13rdwdot_kernelIfEvPKT_S2_PS0_S0_S2_.num_named_barrier, 0
	.set _Z13rdwdot_kernelIfEvPKT_S2_PS0_S0_S2_.private_seg_size, 0
	.set _Z13rdwdot_kernelIfEvPKT_S2_PS0_S0_S2_.uses_vcc, 1
	.set _Z13rdwdot_kernelIfEvPKT_S2_PS0_S0_S2_.uses_flat_scratch, 0
	.set _Z13rdwdot_kernelIfEvPKT_S2_PS0_S0_S2_.has_dyn_sized_stack, 0
	.set _Z13rdwdot_kernelIfEvPKT_S2_PS0_S0_S2_.has_recursion, 0
	.set _Z13rdwdot_kernelIfEvPKT_S2_PS0_S0_S2_.has_indirect_call, 0
	.section	.AMDGPU.csdata,"",@progbits
; Kernel info:
; codeLenInByte = 5248
; TotalNumSgprs: 22
; NumVgprs: 13
; ScratchSize: 0
; MemoryBound: 0
; FloatMode: 240
; IeeeMode: 1
; LDSByteSize: 0 bytes/workgroup (compile time only)
; SGPRBlocks: 2
; VGPRBlocks: 3
; NumSGPRsForWavesPerEU: 22
; NumVGPRsForWavesPerEU: 13
; Occupancy: 10
; WaveLimiterHint : 0
; COMPUTE_PGM_RSRC2:SCRATCH_EN: 0
; COMPUTE_PGM_RSRC2:USER_SGPR: 6
; COMPUTE_PGM_RSRC2:TRAP_HANDLER: 0
; COMPUTE_PGM_RSRC2:TGID_X_EN: 1
; COMPUTE_PGM_RSRC2:TGID_Y_EN: 0
; COMPUTE_PGM_RSRC2:TGID_Z_EN: 0
; COMPUTE_PGM_RSRC2:TIDIG_COMP_CNT: 0
	.section	.text._Z14rdwdot2_kernelIfEvPKT_S2_PS0_S0_S2_,"axG",@progbits,_Z14rdwdot2_kernelIfEvPKT_S2_PS0_S0_S2_,comdat
	.protected	_Z14rdwdot2_kernelIfEvPKT_S2_PS0_S0_S2_ ; -- Begin function _Z14rdwdot2_kernelIfEvPKT_S2_PS0_S0_S2_
	.globl	_Z14rdwdot2_kernelIfEvPKT_S2_PS0_S0_S2_
	.p2align	8
	.type	_Z14rdwdot2_kernelIfEvPKT_S2_PS0_S0_S2_,@function
_Z14rdwdot2_kernelIfEvPKT_S2_PS0_S0_S2_: ; @_Z14rdwdot2_kernelIfEvPKT_S2_PS0_S0_S2_
; %bb.0:
	s_load_dwordx4 s[0:3], s[4:5], 0x0
	s_load_dwordx2 s[8:9], s[4:5], 0x10
	s_load_dword s7, s[4:5], 0x18
	s_load_dwordx2 s[10:11], s[4:5], 0x20
	s_load_dword s12, s[4:5], 0x28
	s_load_dword s13, s[4:5], 0x34
	v_mov_b32_e32 v1, 0
	s_waitcnt lgkmcnt(0)
	v_mov_b32_e32 v2, s1
	s_and_b32 s4, s13, 0xffff
	s_mul_i32 s12, s12, s4
	s_mul_i32 s5, s12, 0x78
	;; [unrolled: 1-line block ×3, first 2 shown]
	s_add_i32 s5, s5, s6
	v_add_u32_e32 v0, s5, v0
	v_lshlrev_b64 v[3:4], 2, v[0:1]
	s_lshl_b32 s1, s12, 1
	v_add_co_u32_e32 v5, vcc, s0, v3
	v_addc_co_u32_e32 v6, vcc, v2, v4, vcc
	global_load_dword v7, v[5:6], off
	v_add_co_u32_e32 v5, vcc, s2, v3
	v_mov_b32_e32 v3, s3
	v_addc_co_u32_e32 v6, vcc, v3, v4, vcc
	global_load_dword v4, v[5:6], off
	s_mul_i32 s3, s12, 3
	s_waitcnt vmcnt(0)
	v_sub_f32_e32 v9, v7, v4
	v_mad_u64_u32 v[4:5], s[4:5], s12, 25, v[0:1]
	v_mov_b32_e32 v5, v1
	v_lshlrev_b64 v[5:6], 2, v[4:5]
	v_add_co_u32_e32 v7, vcc, s0, v5
	v_addc_co_u32_e32 v8, vcc, v2, v6, vcc
	v_add_co_u32_e32 v5, vcc, s2, v5
	v_addc_co_u32_e32 v6, vcc, v3, v6, vcc
	global_load_dword v0, v[7:8], off
	s_nop 0
	global_load_dword v5, v[5:6], off
	s_waitcnt vmcnt(0)
	v_sub_f32_e32 v0, v0, v5
	v_mad_u64_u32 v[4:5], s[4:5], s12, 19, v[4:5]
	v_mov_b32_e32 v5, v1
	v_add_f32_e32 v0, v9, v0
	v_lshlrev_b64 v[5:6], 2, v[4:5]
	v_add_co_u32_e32 v7, vcc, s0, v5
	v_addc_co_u32_e32 v8, vcc, v2, v6, vcc
	v_add_co_u32_e32 v5, vcc, s2, v5
	v_addc_co_u32_e32 v6, vcc, v3, v6, vcc
	global_load_dword v7, v[7:8], off
	s_nop 0
	global_load_dword v5, v[5:6], off
	s_waitcnt vmcnt(0)
	v_sub_f32_e32 v5, v7, v5
	v_add_f32_e32 v8, v0, v5
	v_add_u32_e32 v0, s1, v4
	v_lshlrev_b64 v[4:5], 2, v[0:1]
	v_add_co_u32_e32 v6, vcc, s0, v4
	v_addc_co_u32_e32 v7, vcc, v2, v5, vcc
	v_add_co_u32_e32 v4, vcc, s2, v4
	v_addc_co_u32_e32 v5, vcc, v3, v5, vcc
	global_load_dword v6, v[6:7], off
	s_nop 0
	global_load_dword v4, v[4:5], off
	s_waitcnt vmcnt(0)
	v_sub_f32_e32 v4, v6, v4
	v_mad_u64_u32 v[5:6], s[4:5], s12, 18, v[0:1]
	v_mov_b32_e32 v6, v1
	v_add_f32_e32 v10, v8, v4
	v_lshlrev_b64 v[6:7], 2, v[5:6]
	s_load_dwordx2 s[4:5], s[10:11], 0x4c
	v_add_co_u32_e32 v8, vcc, s0, v6
	v_addc_co_u32_e32 v9, vcc, v2, v7, vcc
	v_add_co_u32_e32 v6, vcc, s2, v6
	v_addc_co_u32_e32 v7, vcc, v3, v7, vcc
	global_load_dword v0, v[8:9], off
	global_load_dword v4, v[6:7], off
	s_waitcnt vmcnt(0)
	v_sub_f32_e32 v4, v0, v4
	v_add_u32_e32 v0, s12, v5
	v_lshlrev_b64 v[5:6], 2, v[0:1]
	v_sub_f32_e32 v9, v10, v4
	v_add_co_u32_e32 v7, vcc, s0, v5
	v_addc_co_u32_e32 v8, vcc, v2, v6, vcc
	v_add_co_u32_e32 v5, vcc, s2, v5
	v_addc_co_u32_e32 v6, vcc, v3, v6, vcc
	global_load_dword v7, v[7:8], off
	v_add_u32_e32 v0, s12, v0
	global_load_dword v5, v[5:6], off
	s_waitcnt vmcnt(0)
	v_sub_f32_e32 v5, v7, v5
	v_sub_f32_e32 v9, v9, v5
	v_lshlrev_b64 v[5:6], 2, v[0:1]
	v_add_u32_e32 v0, s12, v0
	v_add_co_u32_e32 v7, vcc, s0, v5
	v_addc_co_u32_e32 v8, vcc, v2, v6, vcc
	v_add_co_u32_e32 v5, vcc, s2, v5
	v_addc_co_u32_e32 v6, vcc, v3, v6, vcc
	global_load_dword v7, v[7:8], off
	s_nop 0
	global_load_dword v5, v[5:6], off
	s_waitcnt vmcnt(0)
	v_sub_f32_e32 v7, v7, v5
	v_lshlrev_b64 v[5:6], 2, v[0:1]
	v_sub_f32_e32 v10, v9, v7
	v_add_co_u32_e32 v8, vcc, s0, v5
	v_addc_co_u32_e32 v9, vcc, v2, v6, vcc
	v_add_co_u32_e32 v5, vcc, s2, v5
	v_addc_co_u32_e32 v6, vcc, v3, v6, vcc
	global_load_dword v8, v[8:9], off
	v_add_u32_e32 v0, s12, v0
	global_load_dword v5, v[5:6], off
	s_waitcnt vmcnt(0)
	v_sub_f32_e32 v5, v8, v5
	v_sub_f32_e32 v10, v10, v5
	v_lshlrev_b64 v[5:6], 2, v[0:1]
	v_add_u32_e32 v0, s3, v0
	v_add_co_u32_e32 v8, vcc, s0, v5
	v_addc_co_u32_e32 v9, vcc, v2, v6, vcc
	v_add_co_u32_e32 v5, vcc, s2, v5
	v_addc_co_u32_e32 v6, vcc, v3, v6, vcc
	global_load_dword v8, v[8:9], off
	s_nop 0
	global_load_dword v5, v[5:6], off
	s_waitcnt vmcnt(0)
	v_sub_f32_e32 v11, v8, v5
	v_lshlrev_b64 v[5:6], 2, v[0:1]
	v_add_u32_e32 v0, s3, v0
	v_add_co_u32_e32 v8, vcc, s0, v5
	v_addc_co_u32_e32 v9, vcc, v2, v6, vcc
	v_add_co_u32_e32 v5, vcc, s2, v5
	v_addc_co_u32_e32 v6, vcc, v3, v6, vcc
	global_load_dword v8, v[8:9], off
	v_sub_f32_e32 v10, v10, v11
	global_load_dword v5, v[5:6], off
	s_mul_i32 s3, s12, 0xffffff46
	s_waitcnt vmcnt(0)
	v_sub_f32_e32 v9, v8, v5
	v_lshlrev_b64 v[5:6], 2, v[0:1]
	v_add_f32_e32 v8, v10, v9
	v_add_co_u32_e32 v12, vcc, s0, v5
	v_addc_co_u32_e32 v13, vcc, v2, v6, vcc
	v_add_co_u32_e32 v5, vcc, s2, v5
	v_addc_co_u32_e32 v6, vcc, v3, v6, vcc
	global_load_dword v10, v[12:13], off
	v_add_u32_e32 v0, s12, v0
	global_load_dword v5, v[5:6], off
	v_lshlrev_b64 v[12:13], 2, v[0:1]
	v_add_u32_e32 v0, s12, v0
	v_add_co_u32_e32 v14, vcc, s0, v12
	v_addc_co_u32_e32 v15, vcc, v2, v13, vcc
	v_add_co_u32_e32 v12, vcc, s2, v12
	v_addc_co_u32_e32 v13, vcc, v3, v13, vcc
	s_waitcnt vmcnt(0)
	v_sub_f32_e32 v6, v10, v5
	v_add_f32_e32 v5, v8, v6
	global_load_dword v8, v[14:15], off
	global_load_dword v10, v[12:13], off
	v_lshlrev_b64 v[12:13], 2, v[0:1]
	v_add_u32_e32 v0, s12, v0
	v_add_co_u32_e32 v14, vcc, s0, v12
	v_addc_co_u32_e32 v15, vcc, v2, v13, vcc
	v_add_co_u32_e32 v12, vcc, s2, v12
	v_addc_co_u32_e32 v13, vcc, v3, v13, vcc
	global_load_dword v12, v[12:13], off
	s_waitcnt vmcnt(1)
	v_sub_f32_e32 v8, v8, v10
	global_load_dword v10, v[14:15], off
	v_add_f32_e32 v5, v5, v8
	s_waitcnt vmcnt(0)
	v_sub_f32_e32 v10, v10, v12
	v_lshlrev_b64 v[12:13], 2, v[0:1]
	v_lshl_add_u32 v0, s12, 3, v0
	v_add_co_u32_e32 v14, vcc, s0, v12
	v_addc_co_u32_e32 v15, vcc, v2, v13, vcc
	v_add_co_u32_e32 v12, vcc, s2, v12
	v_addc_co_u32_e32 v13, vcc, v3, v13, vcc
	global_load_dword v14, v[14:15], off
	v_add_f32_e32 v5, v5, v10
	global_load_dword v12, v[12:13], off
	s_waitcnt vmcnt(0)
	v_sub_f32_e32 v12, v14, v12
	v_lshlrev_b64 v[13:14], 2, v[0:1]
	v_add_f32_e32 v5, v5, v12
	v_add_co_u32_e32 v15, vcc, s0, v13
	v_addc_co_u32_e32 v16, vcc, v2, v14, vcc
	v_add_co_u32_e32 v13, vcc, s2, v13
	v_addc_co_u32_e32 v14, vcc, v3, v14, vcc
	global_load_dword v15, v[15:16], off
	v_add_u32_e32 v0, s3, v0
	global_load_dword v13, v[13:14], off
	s_mul_i32 s3, s12, 0x7d
	s_waitcnt vmcnt(0)
	v_sub_f32_e32 v13, v15, v13
	v_add_f32_e32 v5, v5, v13
	v_lshlrev_b64 v[14:15], 2, v[0:1]
	v_mul_f32_e32 v5, s7, v5
	s_waitcnt lgkmcnt(0)
	v_mul_f32_e32 v13, s4, v5
	v_add_co_u32_e32 v14, vcc, s8, v14
	v_mov_b32_e32 v5, s9
	v_addc_co_u32_e32 v15, vcc, v5, v15, vcc
	v_add_u32_e32 v0, s3, v0
	global_store_dword v[14:15], v13, off
	v_lshlrev_b64 v[13:14], 2, v[0:1]
	v_add_co_u32_e32 v15, vcc, s0, v13
	v_addc_co_u32_e32 v16, vcc, v2, v14, vcc
	v_add_co_u32_e32 v13, vcc, s2, v13
	v_addc_co_u32_e32 v14, vcc, v3, v14, vcc
	global_load_dword v15, v[15:16], off
	s_nop 0
	global_load_dword v13, v[13:14], off
	s_waitcnt vmcnt(0)
	v_sub_f32_e32 v13, v15, v13
	v_add_f32_e32 v4, v4, v13
	v_mad_u64_u32 v[13:14], s[10:11], s12, 45, v[0:1]
	v_mov_b32_e32 v14, v1
	v_add_f32_e32 v4, v7, v4
	v_lshlrev_b64 v[14:15], 2, v[13:14]
	v_add_f32_e32 v4, v11, v4
	v_add_co_u32_e32 v16, vcc, s0, v14
	v_addc_co_u32_e32 v17, vcc, v2, v15, vcc
	v_add_co_u32_e32 v14, vcc, s2, v14
	v_addc_co_u32_e32 v15, vcc, v3, v15, vcc
	global_load_dword v0, v[16:17], off
	global_load_dword v7, v[14:15], off
	s_waitcnt vmcnt(0)
	v_sub_f32_e32 v0, v0, v7
	v_sub_f32_e32 v4, v4, v0
	v_add_u32_e32 v0, s12, v13
	v_lshlrev_b64 v[13:14], 2, v[0:1]
	v_add_u32_e32 v0, s1, v0
	v_add_co_u32_e32 v15, vcc, s0, v13
	v_addc_co_u32_e32 v16, vcc, v2, v14, vcc
	v_add_co_u32_e32 v13, vcc, s2, v13
	v_addc_co_u32_e32 v14, vcc, v3, v14, vcc
	global_load_dword v7, v[15:16], off
	global_load_dword v11, v[13:14], off
	v_lshlrev_b64 v[13:14], 2, v[0:1]
	v_add_u32_e32 v0, s12, v0
	v_add_co_u32_e32 v15, vcc, s0, v13
	v_addc_co_u32_e32 v16, vcc, v2, v14, vcc
	v_add_co_u32_e32 v13, vcc, s2, v13
	v_addc_co_u32_e32 v14, vcc, v3, v14, vcc
	s_waitcnt vmcnt(0)
	v_sub_f32_e32 v7, v7, v11
	v_sub_f32_e32 v4, v4, v7
	;; [unrolled: 1-line block ×3, first 2 shown]
	global_load_dword v7, v[15:16], off
	global_load_dword v9, v[13:14], off
	v_lshlrev_b64 v[13:14], 2, v[0:1]
	v_add_co_u32_e32 v15, vcc, s0, v13
	v_addc_co_u32_e32 v16, vcc, v2, v14, vcc
	v_add_co_u32_e32 v13, vcc, s2, v13
	v_addc_co_u32_e32 v14, vcc, v3, v14, vcc
	s_waitcnt vmcnt(0)
	v_sub_f32_e32 v7, v7, v9
	v_sub_f32_e32 v4, v4, v7
	global_load_dword v7, v[15:16], off
	global_load_dword v9, v[13:14], off
	s_waitcnt vmcnt(0)
	v_sub_f32_e32 v7, v7, v9
	v_sub_f32_e32 v4, v4, v7
	;; [unrolled: 1-line block ×3, first 2 shown]
	v_mad_u64_u32 v[6:7], s[10:11], s12, 6, v[0:1]
	v_mov_b32_e32 v7, v1
	v_sub_f32_e32 v4, v4, v8
	v_lshlrev_b64 v[7:8], 2, v[6:7]
	v_sub_f32_e32 v4, v4, v10
	v_add_co_u32_e32 v9, vcc, s0, v7
	v_addc_co_u32_e32 v10, vcc, v2, v8, vcc
	v_add_co_u32_e32 v7, vcc, s2, v7
	v_addc_co_u32_e32 v8, vcc, v3, v8, vcc
	global_load_dword v0, v[9:10], off
	v_sub_f32_e32 v4, v4, v12
	global_load_dword v7, v[7:8], off
	s_waitcnt vmcnt(0)
	v_sub_f32_e32 v0, v0, v7
	v_add_f32_e32 v4, v0, v4
	v_add_u32_e32 v0, s1, v6
	v_lshlrev_b64 v[6:7], 2, v[0:1]
	v_add_u32_e32 v0, s12, v0
	v_add_co_u32_e32 v8, vcc, s0, v6
	v_addc_co_u32_e32 v9, vcc, v2, v7, vcc
	v_add_co_u32_e32 v6, vcc, s2, v6
	v_addc_co_u32_e32 v7, vcc, v3, v7, vcc
	global_load_dword v8, v[8:9], off
	s_nop 0
	global_load_dword v6, v[6:7], off
	s_waitcnt vmcnt(0)
	v_sub_f32_e32 v6, v8, v6
	v_add_f32_e32 v4, v6, v4
	v_lshlrev_b64 v[6:7], 2, v[0:1]
	v_add_u32_e32 v0, s1, v0
	v_add_co_u32_e32 v8, vcc, s0, v6
	v_addc_co_u32_e32 v9, vcc, v2, v7, vcc
	v_add_co_u32_e32 v6, vcc, s2, v6
	v_addc_co_u32_e32 v7, vcc, v3, v7, vcc
	global_load_dword v8, v[8:9], off
	s_nop 0
	global_load_dword v6, v[6:7], off
	s_waitcnt vmcnt(0)
	v_sub_f32_e32 v6, v8, v6
	v_add_f32_e32 v4, v6, v4
	v_lshlrev_b64 v[6:7], 2, v[0:1]
	v_add_co_u32_e32 v8, vcc, s0, v6
	v_addc_co_u32_e32 v9, vcc, v2, v7, vcc
	v_add_co_u32_e32 v2, vcc, s2, v6
	v_addc_co_u32_e32 v3, vcc, v3, v7, vcc
	global_load_dword v8, v[8:9], off
	s_mul_i32 s0, s12, 0xffffff48
	global_load_dword v2, v[2:3], off
	v_add_u32_e32 v0, s0, v0
	s_waitcnt vmcnt(0)
	v_sub_f32_e32 v2, v8, v2
	v_add_f32_e32 v2, v4, v2
	v_mul_f32_e32 v2, s7, v2
	v_mul_f32_e32 v4, s5, v2
	v_lshlrev_b64 v[2:3], 2, v[0:1]
	v_add_u32_e32 v0, s12, v0
	v_add_co_u32_e32 v2, vcc, s8, v2
	v_addc_co_u32_e32 v3, vcc, v5, v3, vcc
	global_store_dword v[2:3], v4, off
	v_lshlrev_b64 v[2:3], 2, v[0:1]
	v_add_co_u32_e32 v2, vcc, s8, v2
	v_addc_co_u32_e32 v3, vcc, v5, v3, vcc
	global_store_dword v[2:3], v1, off
	s_endpgm
	.section	.rodata,"a",@progbits
	.p2align	6, 0x0
	.amdhsa_kernel _Z14rdwdot2_kernelIfEvPKT_S2_PS0_S0_S2_
		.amdhsa_group_segment_fixed_size 0
		.amdhsa_private_segment_fixed_size 0
		.amdhsa_kernarg_size 296
		.amdhsa_user_sgpr_count 6
		.amdhsa_user_sgpr_private_segment_buffer 1
		.amdhsa_user_sgpr_dispatch_ptr 0
		.amdhsa_user_sgpr_queue_ptr 0
		.amdhsa_user_sgpr_kernarg_segment_ptr 1
		.amdhsa_user_sgpr_dispatch_id 0
		.amdhsa_user_sgpr_flat_scratch_init 0
		.amdhsa_user_sgpr_private_segment_size 0
		.amdhsa_uses_dynamic_stack 0
		.amdhsa_system_sgpr_private_segment_wavefront_offset 0
		.amdhsa_system_sgpr_workgroup_id_x 1
		.amdhsa_system_sgpr_workgroup_id_y 0
		.amdhsa_system_sgpr_workgroup_id_z 0
		.amdhsa_system_sgpr_workgroup_info 0
		.amdhsa_system_vgpr_workitem_id 0
		.amdhsa_next_free_vgpr 18
		.amdhsa_next_free_sgpr 14
		.amdhsa_reserve_vcc 1
		.amdhsa_reserve_flat_scratch 0
		.amdhsa_float_round_mode_32 0
		.amdhsa_float_round_mode_16_64 0
		.amdhsa_float_denorm_mode_32 3
		.amdhsa_float_denorm_mode_16_64 3
		.amdhsa_dx10_clamp 1
		.amdhsa_ieee_mode 1
		.amdhsa_fp16_overflow 0
		.amdhsa_exception_fp_ieee_invalid_op 0
		.amdhsa_exception_fp_denorm_src 0
		.amdhsa_exception_fp_ieee_div_zero 0
		.amdhsa_exception_fp_ieee_overflow 0
		.amdhsa_exception_fp_ieee_underflow 0
		.amdhsa_exception_fp_ieee_inexact 0
		.amdhsa_exception_int_div_zero 0
	.end_amdhsa_kernel
	.section	.text._Z14rdwdot2_kernelIfEvPKT_S2_PS0_S0_S2_,"axG",@progbits,_Z14rdwdot2_kernelIfEvPKT_S2_PS0_S0_S2_,comdat
.Lfunc_end20:
	.size	_Z14rdwdot2_kernelIfEvPKT_S2_PS0_S0_S2_, .Lfunc_end20-_Z14rdwdot2_kernelIfEvPKT_S2_PS0_S0_S2_
                                        ; -- End function
	.set _Z14rdwdot2_kernelIfEvPKT_S2_PS0_S0_S2_.num_vgpr, 18
	.set _Z14rdwdot2_kernelIfEvPKT_S2_PS0_S0_S2_.num_agpr, 0
	.set _Z14rdwdot2_kernelIfEvPKT_S2_PS0_S0_S2_.numbered_sgpr, 14
	.set _Z14rdwdot2_kernelIfEvPKT_S2_PS0_S0_S2_.num_named_barrier, 0
	.set _Z14rdwdot2_kernelIfEvPKT_S2_PS0_S0_S2_.private_seg_size, 0
	.set _Z14rdwdot2_kernelIfEvPKT_S2_PS0_S0_S2_.uses_vcc, 1
	.set _Z14rdwdot2_kernelIfEvPKT_S2_PS0_S0_S2_.uses_flat_scratch, 0
	.set _Z14rdwdot2_kernelIfEvPKT_S2_PS0_S0_S2_.has_dyn_sized_stack, 0
	.set _Z14rdwdot2_kernelIfEvPKT_S2_PS0_S0_S2_.has_recursion, 0
	.set _Z14rdwdot2_kernelIfEvPKT_S2_PS0_S0_S2_.has_indirect_call, 0
	.section	.AMDGPU.csdata,"",@progbits
; Kernel info:
; codeLenInByte = 1688
; TotalNumSgprs: 18
; NumVgprs: 18
; ScratchSize: 0
; MemoryBound: 0
; FloatMode: 240
; IeeeMode: 1
; LDSByteSize: 0 bytes/workgroup (compile time only)
; SGPRBlocks: 2
; VGPRBlocks: 4
; NumSGPRsForWavesPerEU: 18
; NumVGPRsForWavesPerEU: 18
; Occupancy: 10
; WaveLimiterHint : 0
; COMPUTE_PGM_RSRC2:SCRATCH_EN: 0
; COMPUTE_PGM_RSRC2:USER_SGPR: 6
; COMPUTE_PGM_RSRC2:TRAP_HANDLER: 0
; COMPUTE_PGM_RSRC2:TGID_X_EN: 1
; COMPUTE_PGM_RSRC2:TGID_Y_EN: 0
; COMPUTE_PGM_RSRC2:TGID_Z_EN: 0
; COMPUTE_PGM_RSRC2:TIDIG_COMP_CNT: 0
	.section	.text._Z14rdwdot3_kernelIfEvPKT_S2_PS0_S0_S2_,"axG",@progbits,_Z14rdwdot3_kernelIfEvPKT_S2_PS0_S0_S2_,comdat
	.protected	_Z14rdwdot3_kernelIfEvPKT_S2_PS0_S0_S2_ ; -- Begin function _Z14rdwdot3_kernelIfEvPKT_S2_PS0_S0_S2_
	.globl	_Z14rdwdot3_kernelIfEvPKT_S2_PS0_S0_S2_
	.p2align	8
	.type	_Z14rdwdot3_kernelIfEvPKT_S2_PS0_S0_S2_,@function
_Z14rdwdot3_kernelIfEvPKT_S2_PS0_S0_S2_: ; @_Z14rdwdot3_kernelIfEvPKT_S2_PS0_S0_S2_
; %bb.0:
	s_load_dwordx4 s[0:3], s[4:5], 0x0
	s_load_dwordx2 s[8:9], s[4:5], 0x10
	s_load_dword s14, s[4:5], 0x18
	s_load_dwordx2 s[12:13], s[4:5], 0x20
	s_load_dword s15, s[4:5], 0x28
	s_load_dword s7, s[4:5], 0x34
	v_mov_b32_e32 v1, 0
	s_waitcnt lgkmcnt(0)
	v_mov_b32_e32 v30, s1
	v_mov_b32_e32 v31, s3
	;; [unrolled: 1-line block ×3, first 2 shown]
	s_and_b32 s4, s7, 0xffff
	s_mul_i32 s15, s15, s4
	s_mul_i32 s5, s15, 0x71
	;; [unrolled: 1-line block ×3, first 2 shown]
	s_add_i32 s5, s5, s6
	v_add_u32_e32 v0, s5, v0
	v_lshlrev_b64 v[2:3], 2, v[0:1]
	s_lshl_b32 s1, s15, 3
	v_add_co_u32_e32 v4, vcc, s0, v2
	v_addc_co_u32_e32 v5, vcc, v30, v3, vcc
	v_add_co_u32_e32 v2, vcc, s2, v2
	v_addc_co_u32_e32 v3, vcc, v31, v3, vcc
	global_load_dword v4, v[4:5], off
	v_add_u32_e32 v0, s1, v0
	global_load_dword v2, v[2:3], off
	s_mul_i32 s3, s15, 0xffffffa5
	s_mul_i32 s18, s15, 6
	s_lshl_b32 s19, s15, 2
	s_mul_i32 s17, s15, 12
	s_mul_i32 s21, s15, 3
	;; [unrolled: 1-line block ×4, first 2 shown]
	s_waitcnt vmcnt(0)
	v_sub_f32_e32 v6, v4, v2
	v_lshlrev_b64 v[2:3], 2, v[0:1]
	v_add_u32_e32 v0, s3, v0
	v_add_co_u32_e32 v4, vcc, s0, v2
	v_addc_co_u32_e32 v5, vcc, v30, v3, vcc
	v_add_co_u32_e32 v2, vcc, s2, v2
	v_addc_co_u32_e32 v3, vcc, v31, v3, vcc
	global_load_dword v4, v[4:5], off
	s_lshl_b32 s3, s15, 1
	global_load_dword v2, v[2:3], off
	s_waitcnt vmcnt(0)
	v_sub_f32_e32 v2, v4, v2
	v_sub_f32_e32 v4, v6, v2
	v_lshlrev_b64 v[2:3], 2, v[0:1]
	v_add_u32_e32 v0, s18, v0
	v_add_co_u32_e32 v5, vcc, s0, v2
	v_addc_co_u32_e32 v6, vcc, v30, v3, vcc
	v_add_co_u32_e32 v2, vcc, s2, v2
	v_addc_co_u32_e32 v3, vcc, v31, v3, vcc
	global_load_dword v5, v[5:6], off
	s_nop 0
	global_load_dword v2, v[2:3], off
	s_waitcnt vmcnt(0)
	v_sub_f32_e32 v7, v5, v2
	v_lshlrev_b64 v[2:3], 2, v[0:1]
	v_add_u32_e32 v0, s19, v0
	v_add_co_u32_e32 v5, vcc, s0, v2
	v_addc_co_u32_e32 v6, vcc, v30, v3, vcc
	v_add_co_u32_e32 v2, vcc, s2, v2
	v_addc_co_u32_e32 v3, vcc, v31, v3, vcc
	global_load_dword v5, v[5:6], off
	s_nop 0
	global_load_dword v2, v[2:3], off
	s_waitcnt vmcnt(0)
	v_sub_f32_e32 v2, v5, v2
	v_add_f32_e32 v7, v7, v2
	v_lshlrev_b64 v[2:3], 2, v[0:1]
	v_add_u32_e32 v0, s17, v0
	v_add_co_u32_e32 v5, vcc, s0, v2
	v_addc_co_u32_e32 v6, vcc, v30, v3, vcc
	v_add_co_u32_e32 v2, vcc, s2, v2
	v_addc_co_u32_e32 v3, vcc, v31, v3, vcc
	global_load_dword v5, v[5:6], off
	s_nop 0
	global_load_dword v2, v[2:3], off
	s_waitcnt vmcnt(0)
	v_sub_f32_e32 v2, v5, v2
	v_add_f32_e32 v7, v7, v2
	;; [unrolled: 12-line block ×3, first 2 shown]
	v_lshlrev_b64 v[2:3], 2, v[0:1]
	v_add_u32_e32 v0, s1, v0
	v_add_co_u32_e32 v5, vcc, s0, v2
	v_addc_co_u32_e32 v6, vcc, v30, v3, vcc
	v_add_co_u32_e32 v2, vcc, s2, v2
	v_addc_co_u32_e32 v3, vcc, v31, v3, vcc
	global_load_dword v5, v[5:6], off
	s_mul_i32 s1, s15, 7
	global_load_dword v2, v[2:3], off
	s_waitcnt vmcnt(0)
	v_sub_f32_e32 v2, v5, v2
	v_add_f32_e32 v7, v7, v2
	v_lshlrev_b64 v[2:3], 2, v[0:1]
	v_add_u32_e32 v0, s1, v0
	v_add_co_u32_e32 v5, vcc, s0, v2
	v_addc_co_u32_e32 v6, vcc, v30, v3, vcc
	v_add_co_u32_e32 v2, vcc, s2, v2
	v_addc_co_u32_e32 v3, vcc, v31, v3, vcc
	global_load_dword v5, v[5:6], off
	s_nop 0
	global_load_dword v2, v[2:3], off
	s_waitcnt vmcnt(0)
	v_sub_f32_e32 v2, v5, v2
	v_add_f32_e32 v7, v7, v2
	v_lshlrev_b64 v[2:3], 2, v[0:1]
	v_add_u32_e32 v0, s15, v0
	v_add_co_u32_e32 v5, vcc, s0, v2
	v_addc_co_u32_e32 v6, vcc, v30, v3, vcc
	v_add_co_u32_e32 v2, vcc, s2, v2
	v_addc_co_u32_e32 v3, vcc, v31, v3, vcc
	global_load_dword v5, v[5:6], off
	s_nop 0
	;; [unrolled: 12-line block ×3, first 2 shown]
	global_load_dword v2, v[2:3], off
	s_waitcnt vmcnt(0)
	v_sub_f32_e32 v2, v5, v2
	v_sub_f32_e32 v7, v7, v2
	v_lshlrev_b64 v[2:3], 2, v[0:1]
	v_add_u32_e32 v0, s15, v0
	v_add_co_u32_e32 v5, vcc, s0, v2
	v_addc_co_u32_e32 v6, vcc, v30, v3, vcc
	v_add_co_u32_e32 v2, vcc, s2, v2
	v_addc_co_u32_e32 v3, vcc, v31, v3, vcc
	global_load_dword v5, v[5:6], off
	s_nop 0
	global_load_dword v2, v[2:3], off
	s_waitcnt vmcnt(0)
	v_sub_f32_e32 v2, v5, v2
	v_sub_f32_e32 v7, v7, v2
	v_lshlrev_b64 v[2:3], 2, v[0:1]
	v_add_u32_e32 v0, s15, v0
	v_add_co_u32_e32 v5, vcc, s0, v2
	v_addc_co_u32_e32 v6, vcc, v30, v3, vcc
	v_add_co_u32_e32 v2, vcc, s2, v2
	v_addc_co_u32_e32 v3, vcc, v31, v3, vcc
	global_load_dword v5, v[5:6], off
	s_nop 0
	;; [unrolled: 12-line block ×5, first 2 shown]
	global_load_dword v2, v[2:3], off
	s_waitcnt vmcnt(0)
	v_sub_f32_e32 v2, v5, v2
	v_sub_f32_e32 v5, v7, v2
	v_lshlrev_b64 v[2:3], 2, v[0:1]
	v_add_u32_e32 v0, s3, v0
	v_add_co_u32_e32 v6, vcc, s0, v2
	v_addc_co_u32_e32 v7, vcc, v30, v3, vcc
	v_add_co_u32_e32 v8, vcc, s2, v2
	v_addc_co_u32_e32 v9, vcc, v31, v3, vcc
	global_load_dword v10, v[6:7], off
	global_load_dword v2, v[8:9], off
	s_waitcnt vmcnt(0)
	v_sub_f32_e32 v2, v10, v2
	v_sub_f32_e32 v5, v5, v2
	v_lshlrev_b64 v[2:3], 2, v[0:1]
	v_add_u32_e32 v0, s19, v0
	v_add_co_u32_e32 v10, vcc, s0, v2
	v_addc_co_u32_e32 v11, vcc, v30, v3, vcc
	v_add_co_u32_e32 v2, vcc, s2, v2
	v_addc_co_u32_e32 v3, vcc, v31, v3, vcc
	global_load_dword v10, v[10:11], off
	s_nop 0
	global_load_dword v2, v[2:3], off
	s_waitcnt vmcnt(0)
	v_sub_f32_e32 v2, v10, v2
	v_add_f32_e32 v5, v5, v2
	v_lshlrev_b64 v[2:3], 2, v[0:1]
	v_add_u32_e32 v0, s1, v0
	v_add_co_u32_e32 v10, vcc, s0, v2
	v_addc_co_u32_e32 v11, vcc, v30, v3, vcc
	v_add_co_u32_e32 v2, vcc, s2, v2
	v_addc_co_u32_e32 v3, vcc, v31, v3, vcc
	global_load_dword v10, v[10:11], off
	s_nop 0
	global_load_dword v2, v[2:3], off
	s_waitcnt vmcnt(0)
	v_sub_f32_e32 v2, v10, v2
	v_add_f32_e32 v5, v5, v2
	v_lshlrev_b64 v[2:3], 2, v[0:1]
	v_add_u32_e32 v0, s18, v0
	v_add_co_u32_e32 v10, vcc, s0, v2
	v_addc_co_u32_e32 v11, vcc, v30, v3, vcc
	v_add_co_u32_e32 v2, vcc, s2, v2
	v_addc_co_u32_e32 v3, vcc, v31, v3, vcc
	global_load_dword v10, v[10:11], off
	s_nop 0
	global_load_dword v2, v[2:3], off
	s_waitcnt vmcnt(0)
	v_sub_f32_e32 v2, v10, v2
	v_sub_f32_e32 v5, v5, v2
	v_lshlrev_b64 v[2:3], 2, v[0:1]
	v_add_u32_e32 v0, s21, v0
	v_add_co_u32_e32 v10, vcc, s0, v2
	v_addc_co_u32_e32 v11, vcc, v30, v3, vcc
	v_add_co_u32_e32 v2, vcc, s2, v2
	v_addc_co_u32_e32 v3, vcc, v31, v3, vcc
	global_load_dword v10, v[10:11], off
	s_nop 0
	global_load_dword v2, v[2:3], off
	s_waitcnt vmcnt(0)
	v_sub_f32_e32 v2, v10, v2
	v_add_f32_e32 v5, v5, v2
	v_lshlrev_b64 v[2:3], 2, v[0:1]
	v_add_u32_e32 v0, s15, v0
	v_add_co_u32_e32 v10, vcc, s0, v2
	v_addc_co_u32_e32 v11, vcc, v30, v3, vcc
	v_add_co_u32_e32 v2, vcc, s2, v2
	v_addc_co_u32_e32 v3, vcc, v31, v3, vcc
	global_load_dword v10, v[10:11], off
	s_nop 0
	global_load_dword v2, v[2:3], off
	s_waitcnt vmcnt(0)
	v_sub_f32_e32 v2, v10, v2
	v_add_f32_e32 v5, v5, v2
	;; [unrolled: 12-line block ×4, first 2 shown]
	v_lshlrev_b64 v[2:3], 2, v[0:1]
	v_add_co_u32_e32 v10, vcc, s0, v2
	v_addc_co_u32_e32 v11, vcc, v30, v3, vcc
	v_add_co_u32_e32 v2, vcc, s2, v2
	v_addc_co_u32_e32 v3, vcc, v31, v3, vcc
	global_load_dword v10, v[10:11], off
	s_nop 0
	global_load_dword v2, v[2:3], off
	s_waitcnt vmcnt(0)
	v_sub_f32_e32 v2, v10, v2
	v_add_f32_e32 v5, v5, v2
	v_mad_u64_u32 v[2:3], s[4:5], s15, 14, v[0:1]
	v_mov_b32_e32 v3, v1
	v_lshlrev_b64 v[10:11], 2, v[2:3]
	v_add_co_u32_e32 v12, vcc, s0, v10
	v_addc_co_u32_e32 v13, vcc, v30, v11, vcc
	v_add_co_u32_e32 v10, vcc, s2, v10
	v_addc_co_u32_e32 v11, vcc, v31, v11, vcc
	global_load_dword v0, v[12:13], off
	global_load_dword v3, v[10:11], off
	s_waitcnt vmcnt(0)
	v_sub_f32_e32 v0, v0, v3
	v_add_f32_e32 v12, v5, v0
	v_add_u32_e32 v0, s18, v2
	v_lshlrev_b64 v[2:3], 2, v[0:1]
	v_add_u32_e32 v0, s17, v0
	v_add_co_u32_e32 v10, vcc, s0, v2
	v_addc_co_u32_e32 v11, vcc, v30, v3, vcc
	v_add_co_u32_e32 v2, vcc, s2, v2
	v_addc_co_u32_e32 v3, vcc, v31, v3, vcc
	global_load_dword v5, v[10:11], off
	s_nop 0
	global_load_dword v2, v[2:3], off
	s_waitcnt vmcnt(0)
	v_sub_f32_e32 v5, v5, v2
	v_lshlrev_b64 v[2:3], 2, v[0:1]
	v_add_f32_e32 v12, v12, v5
	v_add_co_u32_e32 v10, vcc, s0, v2
	v_addc_co_u32_e32 v11, vcc, v30, v3, vcc
	v_add_co_u32_e32 v2, vcc, s2, v2
	v_addc_co_u32_e32 v3, vcc, v31, v3, vcc
	global_load_dword v10, v[10:11], off
	v_add_u32_e32 v0, s16, v0
	global_load_dword v2, v[2:3], off
	s_waitcnt vmcnt(0)
	v_sub_f32_e32 v2, v10, v2
	v_add_f32_e32 v12, v12, v2
	v_lshlrev_b64 v[2:3], 2, v[0:1]
	v_add_co_u32_e32 v10, vcc, s0, v2
	v_addc_co_u32_e32 v11, vcc, v30, v3, vcc
	v_add_co_u32_e32 v2, vcc, s2, v2
	v_addc_co_u32_e32 v3, vcc, v31, v3, vcc
	global_load_dword v10, v[10:11], off
	s_nop 0
	global_load_dword v2, v[2:3], off
	s_waitcnt vmcnt(0)
	v_sub_f32_e32 v2, v10, v2
	v_add_f32_e32 v14, v12, v2
	v_mad_u64_u32 v[2:3], s[4:5], s15, 11, v[0:1]
	v_mov_b32_e32 v3, v1
	v_lshlrev_b64 v[10:11], 2, v[2:3]
	v_add_co_u32_e32 v12, vcc, s0, v10
	v_addc_co_u32_e32 v13, vcc, v30, v11, vcc
	v_add_co_u32_e32 v10, vcc, s2, v10
	v_addc_co_u32_e32 v11, vcc, v31, v11, vcc
	global_load_dword v0, v[12:13], off
	global_load_dword v3, v[10:11], off
	s_waitcnt vmcnt(0)
	v_sub_f32_e32 v0, v0, v3
	v_mad_u64_u32 v[2:3], s[4:5], s15, 13, v[2:3]
	v_mov_b32_e32 v3, v1
	v_add_f32_e32 v0, v14, v0
	v_lshlrev_b64 v[10:11], 2, v[2:3]
	v_add_co_u32_e32 v12, vcc, s0, v10
	v_addc_co_u32_e32 v13, vcc, v30, v11, vcc
	v_add_co_u32_e32 v10, vcc, s2, v10
	v_addc_co_u32_e32 v11, vcc, v31, v11, vcc
	global_load_dword v3, v[12:13], off
	s_nop 0
	global_load_dword v10, v[10:11], off
	s_waitcnt vmcnt(0)
	v_sub_f32_e32 v3, v3, v10
	v_add_f32_e32 v10, v0, v3
	v_add_u32_e32 v0, s21, v2
	v_lshlrev_b64 v[2:3], 2, v[0:1]
	v_add_co_u32_e32 v11, vcc, s0, v2
	v_addc_co_u32_e32 v12, vcc, v30, v3, vcc
	v_add_co_u32_e32 v2, vcc, s2, v2
	v_addc_co_u32_e32 v3, vcc, v31, v3, vcc
	global_load_dword v11, v[11:12], off
	s_nop 0
	global_load_dword v2, v[2:3], off
	s_load_dwordx4 s[4:7], s[12:13], 0x30
	s_load_dwordx2 s[10:11], s[12:13], 0x40
	s_load_dword s1, s[12:13], 0x48
	s_waitcnt vmcnt(0)
	v_sub_f32_e32 v2, v11, v2
	v_add_f32_e32 v2, v10, v2
	v_mul_f32_e32 v2, s14, v2
	s_waitcnt lgkmcnt(0)
	v_mul_f32_e32 v10, s4, v2
	s_mul_i32 s4, s15, 0xffffff41
	v_add_u32_e32 v0, s4, v0
	v_lshlrev_b64 v[2:3], 2, v[0:1]
	s_mul_i32 s4, s15, 0xffffff7e
	v_add_co_u32_e32 v2, vcc, s8, v2
	v_addc_co_u32_e32 v3, vcc, v32, v3, vcc
	global_store_dword v[2:3], v10, off
	v_mad_u64_u32 v[2:3], s[12:13], s15, 44, v[0:1]
	v_mov_b32_e32 v3, v1
	v_lshlrev_b64 v[10:11], 2, v[2:3]
	v_add_co_u32_e32 v12, vcc, s0, v10
	v_addc_co_u32_e32 v13, vcc, v30, v11, vcc
	v_add_co_u32_e32 v10, vcc, s2, v10
	v_addc_co_u32_e32 v11, vcc, v31, v11, vcc
	global_load_dword v0, v[12:13], off
	global_load_dword v3, v[10:11], off
	s_waitcnt vmcnt(0)
	v_sub_f32_e32 v12, v0, v3
	v_add_u32_e32 v0, s15, v2
	v_lshlrev_b64 v[2:3], 2, v[0:1]
	v_add_co_u32_e32 v10, vcc, s0, v2
	v_addc_co_u32_e32 v11, vcc, v30, v3, vcc
	v_add_co_u32_e32 v2, vcc, s2, v2
	v_addc_co_u32_e32 v3, vcc, v31, v3, vcc
	global_load_dword v10, v[10:11], off
	s_nop 0
	global_load_dword v2, v[2:3], off
	s_waitcnt vmcnt(0)
	v_sub_f32_e32 v2, v10, v2
	v_add_f32_e32 v12, v12, v2
	v_mad_u64_u32 v[2:3], s[12:13], s15, 53, v[0:1]
	v_mov_b32_e32 v3, v1
	v_lshlrev_b64 v[10:11], 2, v[2:3]
	v_add_co_u32_e32 v18, vcc, s0, v10
	v_addc_co_u32_e32 v19, vcc, v30, v11, vcc
	v_add_co_u32_e32 v20, vcc, s2, v10
	v_addc_co_u32_e32 v21, vcc, v31, v11, vcc
	global_load_dword v0, v[18:19], off
	global_load_dword v3, v[20:21], off
	s_waitcnt vmcnt(0)
	v_sub_f32_e32 v0, v0, v3
	v_add_f32_e32 v10, v12, v0
	v_add_u32_e32 v0, s3, v2
	v_lshlrev_b64 v[2:3], 2, v[0:1]
	v_add_u32_e32 v0, s3, v0
	v_add_co_u32_e32 v14, vcc, s0, v2
	v_addc_co_u32_e32 v15, vcc, v30, v3, vcc
	v_add_co_u32_e32 v16, vcc, s2, v2
	v_addc_co_u32_e32 v17, vcc, v31, v3, vcc
	global_load_dword v11, v[14:15], off
	global_load_dword v2, v[16:17], off
	s_waitcnt vmcnt(0)
	v_sub_f32_e32 v2, v11, v2
	v_add_f32_e32 v2, v10, v2
	v_sub_f32_e32 v4, v2, v4
	v_lshlrev_b64 v[2:3], 2, v[0:1]
	v_add_u32_e32 v0, s15, v0
	v_add_co_u32_e32 v10, vcc, s0, v2
	v_addc_co_u32_e32 v11, vcc, v30, v3, vcc
	v_add_co_u32_e32 v2, vcc, s2, v2
	v_addc_co_u32_e32 v3, vcc, v31, v3, vcc
	global_load_dword v10, v[10:11], off
	s_nop 0
	global_load_dword v2, v[2:3], off
	s_waitcnt vmcnt(0)
	v_sub_f32_e32 v2, v10, v2
	v_add_f32_e32 v4, v4, v2
	v_lshlrev_b64 v[2:3], 2, v[0:1]
	v_add_u32_e32 v0, s15, v0
	v_add_co_u32_e32 v22, vcc, s0, v2
	v_addc_co_u32_e32 v23, vcc, v30, v3, vcc
	v_add_co_u32_e32 v24, vcc, s2, v2
	v_addc_co_u32_e32 v25, vcc, v31, v3, vcc
	global_load_dword v10, v[22:23], off
	global_load_dword v2, v[24:25], off
	s_waitcnt vmcnt(0)
	v_sub_f32_e32 v2, v10, v2
	v_sub_f32_e32 v4, v4, v2
	v_lshlrev_b64 v[2:3], 2, v[0:1]
	v_add_u32_e32 v0, s15, v0
	v_add_co_u32_e32 v10, vcc, s0, v2
	v_addc_co_u32_e32 v11, vcc, v30, v3, vcc
	v_add_co_u32_e32 v2, vcc, s2, v2
	v_addc_co_u32_e32 v3, vcc, v31, v3, vcc
	global_load_dword v10, v[10:11], off
	s_nop 0
	global_load_dword v2, v[2:3], off
	s_waitcnt vmcnt(0)
	v_sub_f32_e32 v2, v10, v2
	v_sub_f32_e32 v4, v4, v2
	v_lshlrev_b64 v[2:3], 2, v[0:1]
	v_add_u32_e32 v0, s15, v0
	v_add_co_u32_e32 v10, vcc, s0, v2
	v_addc_co_u32_e32 v11, vcc, v30, v3, vcc
	v_add_co_u32_e32 v12, vcc, s2, v2
	v_addc_co_u32_e32 v13, vcc, v31, v3, vcc
	global_load_dword v26, v[10:11], off
	global_load_dword v2, v[12:13], off
	s_waitcnt vmcnt(0)
	v_sub_f32_e32 v2, v26, v2
	v_sub_f32_e32 v4, v4, v2
	v_lshlrev_b64 v[2:3], 2, v[0:1]
	v_add_u32_e32 v0, s15, v0
	v_add_co_u32_e32 v26, vcc, s0, v2
	v_addc_co_u32_e32 v27, vcc, v30, v3, vcc
	v_add_co_u32_e32 v2, vcc, s2, v2
	v_addc_co_u32_e32 v3, vcc, v31, v3, vcc
	global_load_dword v26, v[26:27], off
	s_nop 0
	global_load_dword v2, v[2:3], off
	s_waitcnt vmcnt(0)
	v_sub_f32_e32 v2, v26, v2
	v_sub_f32_e32 v4, v4, v2
	v_lshlrev_b64 v[2:3], 2, v[0:1]
	v_add_u32_e32 v0, s15, v0
	v_add_co_u32_e32 v26, vcc, s0, v2
	v_addc_co_u32_e32 v27, vcc, v30, v3, vcc
	v_add_co_u32_e32 v2, vcc, s2, v2
	v_addc_co_u32_e32 v3, vcc, v31, v3, vcc
	global_load_dword v26, v[26:27], off
	s_nop 0
	;; [unrolled: 12-line block ×4, first 2 shown]
	global_load_dword v2, v[2:3], off
	s_waitcnt vmcnt(0)
	v_sub_f32_e32 v2, v26, v2
	v_add_f32_e32 v4, v4, v2
	v_lshlrev_b64 v[2:3], 2, v[0:1]
	v_add_u32_e32 v0, s15, v0
	v_add_co_u32_e32 v26, vcc, s0, v2
	v_addc_co_u32_e32 v27, vcc, v30, v3, vcc
	v_add_co_u32_e32 v2, vcc, s2, v2
	v_addc_co_u32_e32 v3, vcc, v31, v3, vcc
	global_load_dword v26, v[26:27], off
	s_nop 0
	global_load_dword v2, v[2:3], off
	s_waitcnt vmcnt(0)
	v_sub_f32_e32 v2, v26, v2
	v_add_f32_e32 v4, v4, v2
	v_lshlrev_b64 v[2:3], 2, v[0:1]
	v_add_u32_e32 v0, s18, v0
	v_add_co_u32_e32 v26, vcc, s0, v2
	v_addc_co_u32_e32 v27, vcc, v30, v3, vcc
	v_add_co_u32_e32 v2, vcc, s2, v2
	v_addc_co_u32_e32 v3, vcc, v31, v3, vcc
	global_load_dword v26, v[26:27], off
	s_nop 0
	global_load_dword v2, v[2:3], off
	s_waitcnt vmcnt(0)
	v_sub_f32_e32 v2, v26, v2
	v_add_f32_e32 v4, v4, v2
	v_lshlrev_b64 v[2:3], 2, v[0:1]
	v_add_u32_e32 v0, s4, v0
	v_add_co_u32_e32 v26, vcc, s0, v2
	v_addc_co_u32_e32 v27, vcc, v30, v3, vcc
	v_add_co_u32_e32 v2, vcc, s2, v2
	v_addc_co_u32_e32 v3, vcc, v31, v3, vcc
	global_load_dword v26, v[26:27], off
	s_mul_i32 s4, s15, 10
	global_load_dword v2, v[2:3], off
	s_waitcnt vmcnt(0)
	v_sub_f32_e32 v2, v26, v2
	v_add_f32_e32 v2, v4, v2
	v_mul_f32_e32 v2, s14, v2
	v_mul_f32_e32 v4, s5, v2
	v_lshlrev_b64 v[2:3], 2, v[0:1]
	s_mul_i32 s5, s15, 0x4d
	v_add_co_u32_e32 v2, vcc, s8, v2
	v_addc_co_u32_e32 v3, vcc, v32, v3, vcc
	v_add_u32_e32 v0, s5, v0
	global_store_dword v[2:3], v4, off
	v_lshlrev_b64 v[2:3], 2, v[0:1]
	v_add_u32_e32 v0, s15, v0
	v_add_co_u32_e32 v26, vcc, s0, v2
	v_addc_co_u32_e32 v27, vcc, v30, v3, vcc
	v_add_co_u32_e32 v2, vcc, s2, v2
	v_addc_co_u32_e32 v3, vcc, v31, v3, vcc
	global_load_dword v4, v[26:27], off
	s_nop 0
	global_load_dword v2, v[2:3], off
	s_waitcnt vmcnt(0)
	v_sub_f32_e32 v4, v4, v2
	v_lshlrev_b64 v[2:3], 2, v[0:1]
	v_add_u32_e32 v0, s21, v0
	v_add_co_u32_e32 v26, vcc, s0, v2
	v_addc_co_u32_e32 v27, vcc, v30, v3, vcc
	v_add_co_u32_e32 v2, vcc, s2, v2
	v_addc_co_u32_e32 v3, vcc, v31, v3, vcc
	global_load_dword v26, v[26:27], off
	s_nop 0
	global_load_dword v2, v[2:3], off
	s_waitcnt vmcnt(0)
	v_sub_f32_e32 v2, v26, v2
	v_add_f32_e32 v4, v4, v2
	v_lshlrev_b64 v[2:3], 2, v[0:1]
	v_add_u32_e32 v0, s4, v0
	v_add_co_u32_e32 v26, vcc, s0, v2
	v_addc_co_u32_e32 v27, vcc, v30, v3, vcc
	v_add_co_u32_e32 v28, vcc, s2, v2
	v_addc_co_u32_e32 v29, vcc, v31, v3, vcc
	global_load_dword v33, v[26:27], off
	global_load_dword v2, v[28:29], off
	s_waitcnt vmcnt(0)
	v_sub_f32_e32 v2, v33, v2
	v_add_f32_e32 v4, v4, v2
	v_lshlrev_b64 v[2:3], 2, v[0:1]
	v_add_co_u32_e32 v33, vcc, s0, v2
	v_addc_co_u32_e32 v34, vcc, v30, v3, vcc
	v_add_co_u32_e32 v2, vcc, s2, v2
	v_addc_co_u32_e32 v3, vcc, v31, v3, vcc
	global_load_dword v33, v[33:34], off
	s_nop 0
	global_load_dword v2, v[2:3], off
	s_waitcnt vmcnt(0)
	v_sub_f32_e32 v2, v33, v2
	v_add_f32_e32 v35, v4, v2
	v_mad_u64_u32 v[2:3], s[12:13], s15, 27, v[0:1]
	v_mov_b32_e32 v3, v1
	v_lshlrev_b64 v[3:4], 2, v[2:3]
	v_add_co_u32_e32 v33, vcc, s0, v3
	v_addc_co_u32_e32 v34, vcc, v30, v4, vcc
	v_add_co_u32_e32 v3, vcc, s2, v3
	v_addc_co_u32_e32 v4, vcc, v31, v4, vcc
	global_load_dword v0, v[33:34], off
	s_nop 0
	global_load_dword v3, v[3:4], off
	s_waitcnt vmcnt(0)
	v_sub_f32_e32 v0, v0, v3
	v_add_f32_e32 v4, v35, v0
	v_add_u32_e32 v0, s4, v2
	v_lshlrev_b64 v[2:3], 2, v[0:1]
	v_add_u32_e32 v0, s15, v0
	v_add_co_u32_e32 v33, vcc, s0, v2
	v_addc_co_u32_e32 v34, vcc, v30, v3, vcc
	v_add_co_u32_e32 v2, vcc, s2, v2
	v_addc_co_u32_e32 v3, vcc, v31, v3, vcc
	global_load_dword v33, v[33:34], off
	s_mul_i32 s4, s15, 15
	global_load_dword v2, v[2:3], off
	s_waitcnt vmcnt(0)
	v_sub_f32_e32 v2, v33, v2
	v_add_f32_e32 v4, v4, v2
	v_lshlrev_b64 v[2:3], 2, v[0:1]
	v_add_u32_e32 v0, s17, v0
	v_add_co_u32_e32 v33, vcc, s0, v2
	v_addc_co_u32_e32 v34, vcc, v30, v3, vcc
	v_add_co_u32_e32 v2, vcc, s2, v2
	v_addc_co_u32_e32 v3, vcc, v31, v3, vcc
	global_load_dword v33, v[33:34], off
	s_nop 0
	global_load_dword v2, v[2:3], off
	s_waitcnt vmcnt(0)
	v_sub_f32_e32 v2, v33, v2
	v_add_f32_e32 v4, v4, v2
	v_lshlrev_b64 v[2:3], 2, v[0:1]
	v_add_u32_e32 v0, s15, v0
	v_add_co_u32_e32 v33, vcc, s0, v2
	v_addc_co_u32_e32 v34, vcc, v30, v3, vcc
	v_add_co_u32_e32 v2, vcc, s2, v2
	v_addc_co_u32_e32 v3, vcc, v31, v3, vcc
	global_load_dword v33, v[33:34], off
	s_nop 0
	global_load_dword v2, v[2:3], off
	s_waitcnt vmcnt(0)
	v_sub_f32_e32 v2, v33, v2
	v_sub_f32_e32 v4, v4, v2
	v_lshlrev_b64 v[2:3], 2, v[0:1]
	v_add_u32_e32 v0, s15, v0
	v_add_co_u32_e32 v33, vcc, s0, v2
	v_addc_co_u32_e32 v34, vcc, v30, v3, vcc
	v_add_co_u32_e32 v2, vcc, s2, v2
	v_addc_co_u32_e32 v3, vcc, v31, v3, vcc
	global_load_dword v33, v[33:34], off
	s_nop 0
	global_load_dword v2, v[2:3], off
	s_waitcnt vmcnt(0)
	v_sub_f32_e32 v2, v33, v2
	v_sub_f32_e32 v4, v4, v2
	;; [unrolled: 12-line block ×5, first 2 shown]
	v_sub_f32_e32 v33, v2, v5
	v_lshlrev_b64 v[2:3], 2, v[0:1]
	v_add_u32_e32 v0, s15, v0
	v_add_co_u32_e32 v4, vcc, s0, v2
	v_addc_co_u32_e32 v5, vcc, v30, v3, vcc
	v_add_co_u32_e32 v2, vcc, s2, v2
	v_addc_co_u32_e32 v3, vcc, v31, v3, vcc
	global_load_dword v4, v[4:5], off
	s_nop 0
	global_load_dword v2, v[2:3], off
	s_waitcnt vmcnt(0)
	v_sub_f32_e32 v2, v4, v2
	v_sub_f32_e32 v33, v33, v2
	v_lshlrev_b64 v[2:3], 2, v[0:1]
	v_add_u32_e32 v0, s15, v0
	v_add_co_u32_e32 v4, vcc, s0, v2
	v_addc_co_u32_e32 v5, vcc, v30, v3, vcc
	v_add_co_u32_e32 v2, vcc, s2, v2
	v_addc_co_u32_e32 v3, vcc, v31, v3, vcc
	global_load_dword v4, v[4:5], off
	s_nop 0
	global_load_dword v2, v[2:3], off
	s_waitcnt vmcnt(0)
	v_sub_f32_e32 v2, v4, v2
	v_lshlrev_b64 v[4:5], 2, v[0:1]
	v_sub_f32_e32 v33, v33, v2
	v_add_co_u32_e32 v2, vcc, s0, v4
	v_addc_co_u32_e32 v3, vcc, v30, v5, vcc
	v_add_co_u32_e32 v4, vcc, s2, v4
	v_addc_co_u32_e32 v5, vcc, v31, v5, vcc
	global_load_dword v34, v[2:3], off
	global_load_dword v35, v[4:5], off
	v_add_u32_e32 v0, s15, v0
	s_waitcnt vmcnt(0)
	v_sub_f32_e32 v34, v34, v35
	v_sub_f32_e32 v37, v33, v34
	v_lshlrev_b64 v[33:34], 2, v[0:1]
	v_add_u32_e32 v0, s15, v0
	v_add_co_u32_e32 v35, vcc, s0, v33
	v_addc_co_u32_e32 v36, vcc, v30, v34, vcc
	v_add_co_u32_e32 v33, vcc, s2, v33
	v_addc_co_u32_e32 v34, vcc, v31, v34, vcc
	global_load_dword v35, v[35:36], off
	s_nop 0
	global_load_dword v33, v[33:34], off
	s_waitcnt vmcnt(0)
	v_sub_f32_e32 v33, v35, v33
	v_sub_f32_e32 v37, v37, v33
	v_lshlrev_b64 v[33:34], 2, v[0:1]
	v_add_u32_e32 v0, s15, v0
	v_add_co_u32_e32 v35, vcc, s0, v33
	v_addc_co_u32_e32 v36, vcc, v30, v34, vcc
	v_add_co_u32_e32 v33, vcc, s2, v33
	v_addc_co_u32_e32 v34, vcc, v31, v34, vcc
	global_load_dword v35, v[35:36], off
	s_nop 0
	global_load_dword v33, v[33:34], off
	;; [unrolled: 12-line block ×7, first 2 shown]
	s_waitcnt vmcnt(0)
	v_sub_f32_e32 v33, v35, v33
	v_add_f32_e32 v37, v37, v33
	v_lshlrev_b64 v[33:34], 2, v[0:1]
	v_add_u32_e32 v0, s3, v0
	v_add_co_u32_e32 v35, vcc, s0, v33
	v_addc_co_u32_e32 v36, vcc, v30, v34, vcc
	v_add_co_u32_e32 v33, vcc, s2, v33
	v_addc_co_u32_e32 v34, vcc, v31, v34, vcc
	global_load_dword v35, v[35:36], off
	s_nop 0
	global_load_dword v33, v[33:34], off
	s_waitcnt vmcnt(0)
	v_sub_f32_e32 v33, v35, v33
	v_add_f32_e32 v37, v37, v33
	v_lshlrev_b64 v[33:34], 2, v[0:1]
	v_add_u32_e32 v0, s4, v0
	v_add_co_u32_e32 v35, vcc, s0, v33
	v_addc_co_u32_e32 v36, vcc, v30, v34, vcc
	v_add_co_u32_e32 v33, vcc, s2, v33
	v_addc_co_u32_e32 v34, vcc, v31, v34, vcc
	global_load_dword v35, v[35:36], off
	s_nop 0
	global_load_dword v33, v[33:34], off
	s_waitcnt vmcnt(0)
	v_sub_f32_e32 v33, v35, v33
	v_add_f32_e32 v37, v37, v33
	v_lshlrev_b64 v[33:34], 2, v[0:1]
	v_add_co_u32_e32 v35, vcc, s0, v33
	v_addc_co_u32_e32 v36, vcc, v30, v34, vcc
	v_add_co_u32_e32 v33, vcc, s2, v33
	v_addc_co_u32_e32 v34, vcc, v31, v34, vcc
	global_load_dword v35, v[35:36], off
	s_nop 0
	global_load_dword v33, v[33:34], off
	s_waitcnt vmcnt(0)
	v_sub_f32_e32 v33, v35, v33
	v_add_f32_e32 v33, v37, v33
	v_mul_f32_e32 v33, s14, v33
	v_mul_f32_e32 v35, s6, v33
	s_mul_i32 s6, s15, 0xffffff50
	v_add_u32_e32 v0, s6, v0
	v_lshlrev_b64 v[33:34], 2, v[0:1]
	s_mul_i32 s6, s15, 0x4e
	v_add_co_u32_e32 v33, vcc, s8, v33
	v_addc_co_u32_e32 v34, vcc, v32, v34, vcc
	v_add_u32_e32 v0, s6, v0
	global_store_dword v[33:34], v35, off
	v_lshlrev_b64 v[33:34], 2, v[0:1]
	v_add_u32_e32 v0, s5, v0
	v_add_co_u32_e32 v35, vcc, s0, v33
	v_addc_co_u32_e32 v36, vcc, v30, v34, vcc
	v_add_co_u32_e32 v33, vcc, s2, v33
	v_addc_co_u32_e32 v34, vcc, v31, v34, vcc
	global_load_dword v35, v[35:36], off
	s_mul_i32 s5, s15, 0xffffff58
	global_load_dword v33, v[33:34], off
	s_waitcnt vmcnt(0)
	v_sub_f32_e32 v37, v35, v33
	v_lshlrev_b64 v[33:34], 2, v[0:1]
	v_add_u32_e32 v0, s16, v0
	v_add_co_u32_e32 v35, vcc, s0, v33
	v_addc_co_u32_e32 v36, vcc, v30, v34, vcc
	v_add_co_u32_e32 v33, vcc, s2, v33
	v_addc_co_u32_e32 v34, vcc, v31, v34, vcc
	global_load_dword v35, v[35:36], off
	s_nop 0
	global_load_dword v33, v[33:34], off
	s_waitcnt vmcnt(0)
	v_sub_f32_e32 v33, v35, v33
	v_add_f32_e32 v37, v37, v33
	v_lshlrev_b64 v[33:34], 2, v[0:1]
	v_add_u32_e32 v0, s21, v0
	v_add_co_u32_e32 v35, vcc, s0, v33
	v_addc_co_u32_e32 v36, vcc, v30, v34, vcc
	v_add_co_u32_e32 v33, vcc, s2, v33
	v_addc_co_u32_e32 v34, vcc, v31, v34, vcc
	global_load_dword v35, v[35:36], off
	s_nop 0
	global_load_dword v33, v[33:34], off
	s_waitcnt vmcnt(0)
	v_sub_f32_e32 v33, v35, v33
	v_add_f32_e32 v37, v37, v33
	;; [unrolled: 12-line block ×4, first 2 shown]
	v_lshlrev_b64 v[33:34], 2, v[0:1]
	v_add_u32_e32 v0, s15, v0
	v_add_co_u32_e32 v35, vcc, s0, v33
	v_addc_co_u32_e32 v36, vcc, v30, v34, vcc
	v_add_co_u32_e32 v33, vcc, s2, v33
	v_addc_co_u32_e32 v34, vcc, v31, v34, vcc
	global_load_dword v35, v[35:36], off
	s_nop 0
	global_load_dword v33, v[33:34], off
	s_waitcnt vmcnt(0)
	v_sub_f32_e32 v33, v35, v33
	v_sub_f32_e32 v37, v37, v33
	v_lshlrev_b64 v[33:34], 2, v[0:1]
	v_add_u32_e32 v0, s15, v0
	v_add_co_u32_e32 v35, vcc, s0, v33
	v_addc_co_u32_e32 v36, vcc, v30, v34, vcc
	v_add_co_u32_e32 v33, vcc, s2, v33
	v_addc_co_u32_e32 v34, vcc, v31, v34, vcc
	global_load_dword v35, v[35:36], off
	s_nop 0
	global_load_dword v33, v[33:34], off
	s_waitcnt vmcnt(0)
	v_sub_f32_e32 v33, v35, v33
	v_sub_f32_e32 v37, v37, v33
	;; [unrolled: 12-line block ×4, first 2 shown]
	v_lshlrev_b64 v[33:34], 2, v[0:1]
	v_add_u32_e32 v0, s5, v0
	v_add_co_u32_e32 v35, vcc, s0, v33
	v_addc_co_u32_e32 v36, vcc, v30, v34, vcc
	v_add_co_u32_e32 v33, vcc, s2, v33
	v_addc_co_u32_e32 v34, vcc, v31, v34, vcc
	global_load_dword v35, v[35:36], off
	s_mul_i32 s5, s15, 0x45
	global_load_dword v33, v[33:34], off
	s_waitcnt vmcnt(0)
	v_sub_f32_e32 v33, v35, v33
	v_sub_f32_e32 v33, v37, v33
	v_mul_f32_e32 v33, s14, v33
	v_mul_f32_e32 v35, s7, v33
	v_lshlrev_b64 v[33:34], 2, v[0:1]
	v_add_co_u32_e32 v33, vcc, s8, v33
	v_addc_co_u32_e32 v34, vcc, v32, v34, vcc
	global_store_dword v[33:34], v35, off
	v_mad_u64_u32 v[33:34], s[6:7], s15, 23, v[0:1]
	v_mov_b32_e32 v34, v1
	v_lshlrev_b64 v[34:35], 2, v[33:34]
	v_add_co_u32_e32 v36, vcc, s0, v34
	v_addc_co_u32_e32 v37, vcc, v30, v35, vcc
	v_add_co_u32_e32 v34, vcc, s2, v34
	v_addc_co_u32_e32 v35, vcc, v31, v35, vcc
	global_load_dword v0, v[36:37], off
	s_nop 0
	global_load_dword v34, v[34:35], off
	s_nop 0
	;; [unrolled: 2-line block ×3, first 2 shown]
	global_load_dword v27, v[28:29], off
	s_waitcnt vmcnt(2)
	v_sub_f32_e32 v0, v0, v34
	s_waitcnt vmcnt(0)
	v_sub_f32_e32 v26, v26, v27
	v_sub_f32_e32 v34, v0, v26
	v_add_u32_e32 v0, s5, v33
	v_lshlrev_b64 v[26:27], 2, v[0:1]
	v_add_u32_e32 v0, s15, v0
	v_add_co_u32_e32 v28, vcc, s0, v26
	v_addc_co_u32_e32 v29, vcc, v30, v27, vcc
	v_add_co_u32_e32 v26, vcc, s2, v26
	v_addc_co_u32_e32 v27, vcc, v31, v27, vcc
	global_load_dword v28, v[28:29], off
	s_mul_i32 s5, s15, 0xffffff8e
	global_load_dword v26, v[26:27], off
	s_waitcnt vmcnt(0)
	v_sub_f32_e32 v26, v28, v26
	v_sub_f32_e32 v33, v34, v26
	v_lshlrev_b64 v[26:27], 2, v[0:1]
	v_add_u32_e32 v0, s15, v0
	v_add_co_u32_e32 v28, vcc, s0, v26
	v_addc_co_u32_e32 v29, vcc, v30, v27, vcc
	v_add_co_u32_e32 v26, vcc, s2, v26
	v_addc_co_u32_e32 v27, vcc, v31, v27, vcc
	global_load_dword v28, v[28:29], off
	s_nop 0
	global_load_dword v26, v[26:27], off
	s_waitcnt vmcnt(0)
	v_sub_f32_e32 v26, v28, v26
	v_sub_f32_e32 v33, v33, v26
	v_lshlrev_b64 v[26:27], 2, v[0:1]
	v_add_u32_e32 v0, s3, v0
	v_add_co_u32_e32 v28, vcc, s0, v26
	v_addc_co_u32_e32 v29, vcc, v30, v27, vcc
	v_add_co_u32_e32 v26, vcc, s2, v26
	v_addc_co_u32_e32 v27, vcc, v31, v27, vcc
	global_load_dword v28, v[28:29], off
	s_nop 0
	global_load_dword v26, v[26:27], off
	s_nop 0
	;; [unrolled: 2-line block ×3, first 2 shown]
	global_load_dword v19, v[20:21], off
	s_waitcnt vmcnt(2)
	v_sub_f32_e32 v26, v28, v26
	v_sub_f32_e32 v26, v33, v26
	s_waitcnt vmcnt(0)
	v_sub_f32_e32 v18, v18, v19
	v_sub_f32_e32 v26, v26, v18
	v_lshlrev_b64 v[18:19], 2, v[0:1]
	v_add_u32_e32 v0, s4, v0
	v_add_co_u32_e32 v20, vcc, s0, v18
	v_addc_co_u32_e32 v21, vcc, v30, v19, vcc
	v_add_co_u32_e32 v18, vcc, s2, v18
	v_addc_co_u32_e32 v19, vcc, v31, v19, vcc
	global_load_dword v20, v[20:21], off
	s_nop 0
	global_load_dword v18, v[18:19], off
	s_waitcnt vmcnt(0)
	v_sub_f32_e32 v18, v20, v18
	global_load_dword v19, v[14:15], off
	global_load_dword v20, v[16:17], off
	v_sub_f32_e32 v18, v26, v18
	s_waitcnt vmcnt(0)
	v_sub_f32_e32 v14, v19, v20
	v_sub_f32_e32 v15, v18, v14
	v_sub_f32_e32 v14, v15, v14
	global_load_dword v15, v[22:23], off
	global_load_dword v16, v[24:25], off
	s_waitcnt vmcnt(0)
	v_sub_f32_e32 v15, v15, v16
	v_add_f32_e32 v18, v14, v15
	v_lshlrev_b64 v[14:15], 2, v[0:1]
	v_add_u32_e32 v0, s3, v0
	v_add_co_u32_e32 v16, vcc, s0, v14
	v_addc_co_u32_e32 v17, vcc, v30, v15, vcc
	v_add_co_u32_e32 v14, vcc, s2, v14
	v_addc_co_u32_e32 v15, vcc, v31, v15, vcc
	global_load_dword v16, v[16:17], off
	s_nop 0
	global_load_dword v14, v[14:15], off
	s_waitcnt vmcnt(0)
	v_sub_f32_e32 v16, v16, v14
	v_lshlrev_b64 v[14:15], 2, v[0:1]
	v_add_f32_e32 v19, v18, v16
	v_add_co_u32_e32 v17, vcc, s0, v14
	v_addc_co_u32_e32 v18, vcc, v30, v15, vcc
	v_add_co_u32_e32 v14, vcc, s2, v14
	v_addc_co_u32_e32 v15, vcc, v31, v15, vcc
	global_load_dword v17, v[17:18], off
	v_add_u32_e32 v0, s3, v0
	global_load_dword v14, v[14:15], off
	s_waitcnt vmcnt(0)
	v_sub_f32_e32 v15, v17, v14
	v_lshlrev_b64 v[17:18], 2, v[0:1]
	v_add_f32_e32 v21, v19, v15
	v_add_co_u32_e32 v19, vcc, s0, v17
	v_addc_co_u32_e32 v20, vcc, v30, v18, vcc
	v_add_co_u32_e32 v17, vcc, s2, v17
	v_addc_co_u32_e32 v18, vcc, v31, v18, vcc
	global_load_dword v14, v[19:20], off
	v_add_u32_e32 v0, s5, v0
	global_load_dword v17, v[17:18], off
	s_mul_i32 s5, s15, 0x44
	s_waitcnt vmcnt(0)
	v_sub_f32_e32 v14, v14, v17
	v_add_f32_e32 v17, v21, v14
	v_mul_f32_e32 v17, s14, v17
	v_mul_f32_e32 v19, s10, v17
	v_lshlrev_b64 v[17:18], 2, v[0:1]
	v_add_u32_e32 v0, s20, v0
	v_add_co_u32_e32 v17, vcc, s8, v17
	v_addc_co_u32_e32 v18, vcc, v32, v18, vcc
	global_store_dword v[17:18], v19, off
	v_lshlrev_b64 v[17:18], 2, v[0:1]
	v_add_u32_e32 v0, s5, v0
	v_add_co_u32_e32 v19, vcc, s0, v17
	v_addc_co_u32_e32 v20, vcc, v30, v18, vcc
	v_add_co_u32_e32 v17, vcc, s2, v17
	v_addc_co_u32_e32 v18, vcc, v31, v18, vcc
	global_load_dword v19, v[19:20], off
	s_nop 0
	global_load_dword v17, v[17:18], off
	s_waitcnt vmcnt(0)
	v_sub_f32_e32 v17, v19, v17
	global_load_dword v18, v[6:7], off
	global_load_dword v19, v[8:9], off
	s_nop 0
	global_load_dword v7, v[10:11], off
	global_load_dword v8, v[12:13], off
	s_waitcnt vmcnt(2)
	v_sub_f32_e32 v6, v18, v19
	v_add_f32_e32 v6, v17, v6
	s_waitcnt vmcnt(0)
	v_sub_f32_e32 v7, v7, v8
	v_add_f32_e32 v10, v6, v7
	v_lshlrev_b64 v[6:7], 2, v[0:1]
	v_add_u32_e32 v0, s3, v0
	v_add_co_u32_e32 v8, vcc, s0, v6
	v_addc_co_u32_e32 v9, vcc, v30, v7, vcc
	v_add_co_u32_e32 v6, vcc, s2, v6
	v_addc_co_u32_e32 v7, vcc, v31, v7, vcc
	global_load_dword v8, v[8:9], off
	s_nop 0
	global_load_dword v6, v[6:7], off
	s_waitcnt vmcnt(0)
	v_sub_f32_e32 v6, v8, v6
	v_add_f32_e32 v10, v10, v6
	v_lshlrev_b64 v[6:7], 2, v[0:1]
	v_add_u32_e32 v0, s3, v0
	v_add_co_u32_e32 v8, vcc, s0, v6
	v_addc_co_u32_e32 v9, vcc, v30, v7, vcc
	v_add_co_u32_e32 v6, vcc, s2, v6
	v_addc_co_u32_e32 v7, vcc, v31, v7, vcc
	global_load_dword v8, v[8:9], off
	s_nop 0
	global_load_dword v6, v[6:7], off
	s_waitcnt vmcnt(0)
	v_sub_f32_e32 v6, v8, v6
	v_sub_f32_e32 v6, v10, v6
	;; [unrolled: 1-line block ×3, first 2 shown]
	v_lshlrev_b64 v[6:7], 2, v[0:1]
	v_add_u32_e32 v0, s3, v0
	v_add_co_u32_e32 v8, vcc, s0, v6
	v_addc_co_u32_e32 v9, vcc, v30, v7, vcc
	v_add_co_u32_e32 v6, vcc, s2, v6
	v_addc_co_u32_e32 v7, vcc, v31, v7, vcc
	global_load_dword v8, v[8:9], off
	s_mul_i32 s3, s15, 0xffffff51
	global_load_dword v6, v[6:7], off
	s_waitcnt vmcnt(0)
	v_sub_f32_e32 v6, v8, v6
	v_sub_f32_e32 v6, v10, v6
	;; [unrolled: 1-line block ×3, first 2 shown]
	v_lshlrev_b64 v[6:7], 2, v[0:1]
	v_add_u32_e32 v0, s16, v0
	v_add_co_u32_e32 v8, vcc, s0, v6
	v_addc_co_u32_e32 v9, vcc, v30, v7, vcc
	v_add_co_u32_e32 v6, vcc, s2, v6
	v_addc_co_u32_e32 v7, vcc, v31, v7, vcc
	global_load_dword v8, v[8:9], off
	s_nop 0
	global_load_dword v6, v[6:7], off
	s_waitcnt vmcnt(0)
	v_sub_f32_e32 v6, v8, v6
	v_sub_f32_e32 v6, v10, v6
	;; [unrolled: 1-line block ×3, first 2 shown]
	v_lshlrev_b64 v[6:7], 2, v[0:1]
	v_add_u32_e32 v0, s4, v0
	v_add_co_u32_e32 v8, vcc, s0, v6
	v_addc_co_u32_e32 v9, vcc, v30, v7, vcc
	v_add_co_u32_e32 v6, vcc, s2, v6
	v_addc_co_u32_e32 v7, vcc, v31, v7, vcc
	global_load_dword v8, v[8:9], off
	s_nop 0
	global_load_dword v6, v[6:7], off
	s_waitcnt vmcnt(0)
	v_sub_f32_e32 v6, v8, v6
	v_add_f32_e32 v10, v10, v6
	v_lshlrev_b64 v[6:7], 2, v[0:1]
	v_add_u32_e32 v0, s15, v0
	v_add_co_u32_e32 v8, vcc, s0, v6
	v_addc_co_u32_e32 v9, vcc, v30, v7, vcc
	v_add_co_u32_e32 v6, vcc, s2, v6
	v_addc_co_u32_e32 v7, vcc, v31, v7, vcc
	global_load_dword v8, v[8:9], off
	s_nop 0
	global_load_dword v6, v[6:7], off
	s_waitcnt vmcnt(0)
	v_sub_f32_e32 v6, v8, v6
	v_add_f32_e32 v10, v10, v6
	;; [unrolled: 12-line block ×4, first 2 shown]
	v_lshlrev_b64 v[6:7], 2, v[0:1]
	v_add_co_u32_e32 v8, vcc, s0, v6
	v_addc_co_u32_e32 v9, vcc, v30, v7, vcc
	v_add_co_u32_e32 v6, vcc, s2, v6
	v_addc_co_u32_e32 v7, vcc, v31, v7, vcc
	global_load_dword v8, v[8:9], off
	s_nop 0
	global_load_dword v6, v[6:7], off
	s_waitcnt vmcnt(0)
	v_sub_f32_e32 v6, v8, v6
	v_add_f32_e32 v11, v10, v6
	v_mad_u64_u32 v[6:7], s[4:5], s15, 40, v[0:1]
	v_mov_b32_e32 v7, v1
	v_lshlrev_b64 v[7:8], 2, v[6:7]
	v_add_co_u32_e32 v9, vcc, s0, v7
	v_addc_co_u32_e32 v10, vcc, v30, v8, vcc
	v_add_co_u32_e32 v7, vcc, s2, v7
	v_addc_co_u32_e32 v8, vcc, v31, v8, vcc
	global_load_dword v0, v[9:10], off
	s_nop 0
	global_load_dword v7, v[7:8], off
	s_waitcnt vmcnt(0)
	v_sub_f32_e32 v0, v0, v7
	v_add_f32_e32 v0, v11, v0
	v_mul_f32_e32 v0, s14, v0
	v_mul_f32_e32 v8, s11, v0
	v_add_u32_e32 v0, s3, v6
	v_lshlrev_b64 v[6:7], 2, v[0:1]
	s_mul_i32 s3, s15, 0x47
	v_add_co_u32_e32 v6, vcc, s8, v6
	v_addc_co_u32_e32 v7, vcc, v32, v7, vcc
	v_add_u32_e32 v0, s3, v0
	global_store_dword v[6:7], v8, off
	v_lshlrev_b64 v[6:7], 2, v[0:1]
	v_add_co_u32_e32 v8, vcc, s0, v6
	v_addc_co_u32_e32 v9, vcc, v30, v7, vcc
	v_add_co_u32_e32 v6, vcc, s2, v6
	v_addc_co_u32_e32 v7, vcc, v31, v7, vcc
	global_load_dword v8, v[8:9], off
	s_nop 0
	global_load_dword v6, v[6:7], off
	s_waitcnt vmcnt(0)
	v_sub_f32_e32 v11, v8, v6
	v_mad_u64_u32 v[6:7], s[4:5], s15, 59, v[0:1]
	v_mov_b32_e32 v7, v1
	v_lshlrev_b64 v[7:8], 2, v[6:7]
	v_add_co_u32_e32 v9, vcc, s0, v7
	v_addc_co_u32_e32 v10, vcc, v30, v8, vcc
	v_add_co_u32_e32 v7, vcc, s2, v7
	v_addc_co_u32_e32 v8, vcc, v31, v8, vcc
	global_load_dword v0, v[9:10], off
	s_nop 0
	global_load_dword v7, v[7:8], off
	s_waitcnt vmcnt(0)
	v_sub_f32_e32 v0, v0, v7
	global_load_dword v7, v[2:3], off
	global_load_dword v8, v[4:5], off
	v_add_f32_e32 v0, v11, v0
	s_waitcnt vmcnt(0)
	v_sub_f32_e32 v2, v7, v8
	v_add_f32_e32 v0, v0, v2
	v_mad_u64_u32 v[2:3], s[4:5], s15, 25, v[6:7]
	v_mov_b32_e32 v3, v1
	s_mulk_i32 s15, 0xff66
	v_lshlrev_b64 v[4:5], 2, v[2:3]
	v_add_co_u32_e32 v6, vcc, s0, v4
	v_addc_co_u32_e32 v7, vcc, v30, v5, vcc
	v_add_co_u32_e32 v4, vcc, s2, v4
	v_addc_co_u32_e32 v5, vcc, v31, v5, vcc
	global_load_dword v3, v[6:7], off
	s_nop 0
	global_load_dword v4, v[4:5], off
	s_waitcnt vmcnt(0)
	v_sub_f32_e32 v3, v3, v4
	v_add_f32_e32 v0, v0, v3
	v_mul_f32_e32 v0, s14, v0
	v_mul_f32_e32 v3, s1, v0
	v_add_u32_e32 v0, s15, v2
	v_lshlrev_b64 v[0:1], 2, v[0:1]
	v_add_co_u32_e32 v0, vcc, s8, v0
	v_addc_co_u32_e32 v1, vcc, v32, v1, vcc
	global_store_dword v[0:1], v3, off
	s_endpgm
	.section	.rodata,"a",@progbits
	.p2align	6, 0x0
	.amdhsa_kernel _Z14rdwdot3_kernelIfEvPKT_S2_PS0_S0_S2_
		.amdhsa_group_segment_fixed_size 0
		.amdhsa_private_segment_fixed_size 0
		.amdhsa_kernarg_size 296
		.amdhsa_user_sgpr_count 6
		.amdhsa_user_sgpr_private_segment_buffer 1
		.amdhsa_user_sgpr_dispatch_ptr 0
		.amdhsa_user_sgpr_queue_ptr 0
		.amdhsa_user_sgpr_kernarg_segment_ptr 1
		.amdhsa_user_sgpr_dispatch_id 0
		.amdhsa_user_sgpr_flat_scratch_init 0
		.amdhsa_user_sgpr_private_segment_size 0
		.amdhsa_uses_dynamic_stack 0
		.amdhsa_system_sgpr_private_segment_wavefront_offset 0
		.amdhsa_system_sgpr_workgroup_id_x 1
		.amdhsa_system_sgpr_workgroup_id_y 0
		.amdhsa_system_sgpr_workgroup_id_z 0
		.amdhsa_system_sgpr_workgroup_info 0
		.amdhsa_system_vgpr_workitem_id 0
		.amdhsa_next_free_vgpr 38
		.amdhsa_next_free_sgpr 22
		.amdhsa_reserve_vcc 1
		.amdhsa_reserve_flat_scratch 0
		.amdhsa_float_round_mode_32 0
		.amdhsa_float_round_mode_16_64 0
		.amdhsa_float_denorm_mode_32 3
		.amdhsa_float_denorm_mode_16_64 3
		.amdhsa_dx10_clamp 1
		.amdhsa_ieee_mode 1
		.amdhsa_fp16_overflow 0
		.amdhsa_exception_fp_ieee_invalid_op 0
		.amdhsa_exception_fp_denorm_src 0
		.amdhsa_exception_fp_ieee_div_zero 0
		.amdhsa_exception_fp_ieee_overflow 0
		.amdhsa_exception_fp_ieee_underflow 0
		.amdhsa_exception_fp_ieee_inexact 0
		.amdhsa_exception_int_div_zero 0
	.end_amdhsa_kernel
	.section	.text._Z14rdwdot3_kernelIfEvPKT_S2_PS0_S0_S2_,"axG",@progbits,_Z14rdwdot3_kernelIfEvPKT_S2_PS0_S0_S2_,comdat
.Lfunc_end21:
	.size	_Z14rdwdot3_kernelIfEvPKT_S2_PS0_S0_S2_, .Lfunc_end21-_Z14rdwdot3_kernelIfEvPKT_S2_PS0_S0_S2_
                                        ; -- End function
	.set _Z14rdwdot3_kernelIfEvPKT_S2_PS0_S0_S2_.num_vgpr, 38
	.set _Z14rdwdot3_kernelIfEvPKT_S2_PS0_S0_S2_.num_agpr, 0
	.set _Z14rdwdot3_kernelIfEvPKT_S2_PS0_S0_S2_.numbered_sgpr, 22
	.set _Z14rdwdot3_kernelIfEvPKT_S2_PS0_S0_S2_.num_named_barrier, 0
	.set _Z14rdwdot3_kernelIfEvPKT_S2_PS0_S0_S2_.private_seg_size, 0
	.set _Z14rdwdot3_kernelIfEvPKT_S2_PS0_S0_S2_.uses_vcc, 1
	.set _Z14rdwdot3_kernelIfEvPKT_S2_PS0_S0_S2_.uses_flat_scratch, 0
	.set _Z14rdwdot3_kernelIfEvPKT_S2_PS0_S0_S2_.has_dyn_sized_stack, 0
	.set _Z14rdwdot3_kernelIfEvPKT_S2_PS0_S0_S2_.has_recursion, 0
	.set _Z14rdwdot3_kernelIfEvPKT_S2_PS0_S0_S2_.has_indirect_call, 0
	.section	.AMDGPU.csdata,"",@progbits
; Kernel info:
; codeLenInByte = 6904
; TotalNumSgprs: 26
; NumVgprs: 38
; ScratchSize: 0
; MemoryBound: 0
; FloatMode: 240
; IeeeMode: 1
; LDSByteSize: 0 bytes/workgroup (compile time only)
; SGPRBlocks: 3
; VGPRBlocks: 9
; NumSGPRsForWavesPerEU: 26
; NumVGPRsForWavesPerEU: 38
; Occupancy: 6
; WaveLimiterHint : 0
; COMPUTE_PGM_RSRC2:SCRATCH_EN: 0
; COMPUTE_PGM_RSRC2:USER_SGPR: 6
; COMPUTE_PGM_RSRC2:TRAP_HANDLER: 0
; COMPUTE_PGM_RSRC2:TGID_X_EN: 1
; COMPUTE_PGM_RSRC2:TGID_Y_EN: 0
; COMPUTE_PGM_RSRC2:TGID_Z_EN: 0
; COMPUTE_PGM_RSRC2:TIDIG_COMP_CNT: 0
	.section	.text._Z14rdwdot6_kernelIfEvPKT_S2_PS0_S0_S2_,"axG",@progbits,_Z14rdwdot6_kernelIfEvPKT_S2_PS0_S0_S2_,comdat
	.protected	_Z14rdwdot6_kernelIfEvPKT_S2_PS0_S0_S2_ ; -- Begin function _Z14rdwdot6_kernelIfEvPKT_S2_PS0_S0_S2_
	.globl	_Z14rdwdot6_kernelIfEvPKT_S2_PS0_S0_S2_
	.p2align	8
	.type	_Z14rdwdot6_kernelIfEvPKT_S2_PS0_S0_S2_,@function
_Z14rdwdot6_kernelIfEvPKT_S2_PS0_S0_S2_: ; @_Z14rdwdot6_kernelIfEvPKT_S2_PS0_S0_S2_
; %bb.0:
	s_load_dwordx4 s[0:3], s[4:5], 0x0
	s_load_dwordx2 s[8:9], s[4:5], 0x10
	s_load_dword s7, s[4:5], 0x18
	s_load_dwordx2 s[10:11], s[4:5], 0x20
	s_load_dword s12, s[4:5], 0x28
	s_load_dword s13, s[4:5], 0x34
	v_mov_b32_e32 v1, 0
	s_waitcnt lgkmcnt(0)
	v_mov_b32_e32 v4, s1
	s_and_b32 s4, s13, 0xffff
	s_mul_i32 s12, s12, s4
	s_mul_i32 s5, s12, 28
	;; [unrolled: 1-line block ×3, first 2 shown]
	s_add_i32 s5, s5, s6
	v_add_u32_e32 v0, s5, v0
	v_lshlrev_b64 v[2:3], 2, v[0:1]
	v_add_u32_e32 v0, s12, v0
	v_add_co_u32_e32 v5, vcc, s0, v2
	v_addc_co_u32_e32 v6, vcc, v4, v3, vcc
	global_load_dword v6, v[5:6], off
	v_add_co_u32_e32 v2, vcc, s2, v2
	v_mov_b32_e32 v5, s3
	v_addc_co_u32_e32 v3, vcc, v5, v3, vcc
	global_load_dword v2, v[2:3], off
	s_mul_i32 s1, s12, 5
	s_lshl_b32 s3, s12, 1
	s_mul_i32 s6, s12, 10
	s_waitcnt vmcnt(0)
	v_sub_f32_e32 v6, v6, v2
	v_lshlrev_b64 v[2:3], 2, v[0:1]
	v_add_u32_e32 v0, s12, v0
	v_add_co_u32_e32 v7, vcc, s0, v2
	v_addc_co_u32_e32 v8, vcc, v4, v3, vcc
	v_add_co_u32_e32 v2, vcc, s2, v2
	v_addc_co_u32_e32 v3, vcc, v5, v3, vcc
	global_load_dword v7, v[7:8], off
	s_nop 0
	global_load_dword v2, v[2:3], off
	s_waitcnt vmcnt(0)
	v_sub_f32_e32 v7, v7, v2
	v_lshlrev_b64 v[2:3], 2, v[0:1]
	v_sub_f32_e64 v10, -v6, v7
	v_add_co_u32_e32 v8, vcc, s0, v2
	v_addc_co_u32_e32 v9, vcc, v4, v3, vcc
	v_add_co_u32_e32 v2, vcc, s2, v2
	v_addc_co_u32_e32 v3, vcc, v5, v3, vcc
	global_load_dword v8, v[8:9], off
	v_add_u32_e32 v0, s12, v0
	global_load_dword v2, v[2:3], off
	s_waitcnt vmcnt(0)
	v_sub_f32_e32 v2, v8, v2
	v_sub_f32_e32 v10, v10, v2
	v_lshlrev_b64 v[2:3], 2, v[0:1]
	v_add_u32_e32 v0, s12, v0
	v_add_co_u32_e32 v8, vcc, s0, v2
	v_addc_co_u32_e32 v9, vcc, v4, v3, vcc
	v_add_co_u32_e32 v2, vcc, s2, v2
	v_addc_co_u32_e32 v3, vcc, v5, v3, vcc
	global_load_dword v8, v[8:9], off
	s_nop 0
	global_load_dword v2, v[2:3], off
	s_waitcnt vmcnt(0)
	v_sub_f32_e32 v8, v8, v2
	v_lshlrev_b64 v[2:3], 2, v[0:1]
	v_sub_f32_e32 v11, v10, v8
	v_add_co_u32_e32 v9, vcc, s0, v2
	v_addc_co_u32_e32 v10, vcc, v4, v3, vcc
	v_add_co_u32_e32 v2, vcc, s2, v2
	v_addc_co_u32_e32 v3, vcc, v5, v3, vcc
	global_load_dword v9, v[9:10], off
	v_add_u32_e32 v0, s12, v0
	global_load_dword v2, v[2:3], off
	s_waitcnt vmcnt(0)
	v_sub_f32_e32 v9, v9, v2
	v_lshlrev_b64 v[2:3], 2, v[0:1]
	v_sub_f32_e32 v12, v11, v9
	v_add_co_u32_e32 v10, vcc, s0, v2
	v_addc_co_u32_e32 v11, vcc, v4, v3, vcc
	v_add_co_u32_e32 v2, vcc, s2, v2
	v_addc_co_u32_e32 v3, vcc, v5, v3, vcc
	global_load_dword v10, v[10:11], off
	v_add_u32_e32 v0, s1, v0
	global_load_dword v2, v[2:3], off
	s_waitcnt vmcnt(0)
	v_sub_f32_e32 v2, v10, v2
	v_add_f32_e32 v12, v12, v2
	v_lshlrev_b64 v[2:3], 2, v[0:1]
	v_add_u32_e32 v0, s12, v0
	v_add_co_u32_e32 v10, vcc, s0, v2
	v_addc_co_u32_e32 v11, vcc, v4, v3, vcc
	v_add_co_u32_e32 v2, vcc, s2, v2
	v_addc_co_u32_e32 v3, vcc, v5, v3, vcc
	global_load_dword v10, v[10:11], off
	s_nop 0
	global_load_dword v2, v[2:3], off
	s_waitcnt vmcnt(0)
	v_sub_f32_e32 v2, v10, v2
	v_sub_f32_e32 v12, v12, v2
	v_lshlrev_b64 v[2:3], 2, v[0:1]
	v_add_u32_e32 v0, s3, v0
	v_add_co_u32_e32 v10, vcc, s0, v2
	v_addc_co_u32_e32 v11, vcc, v4, v3, vcc
	v_add_co_u32_e32 v2, vcc, s2, v2
	v_addc_co_u32_e32 v3, vcc, v5, v3, vcc
	global_load_dword v10, v[10:11], off
	s_nop 0
	global_load_dword v2, v[2:3], off
	s_waitcnt vmcnt(0)
	v_sub_f32_e32 v10, v10, v2
	v_lshlrev_b64 v[2:3], 2, v[0:1]
	v_add_f32_e32 v13, v12, v10
	v_add_co_u32_e32 v11, vcc, s0, v2
	v_addc_co_u32_e32 v12, vcc, v4, v3, vcc
	v_add_co_u32_e32 v2, vcc, s2, v2
	v_addc_co_u32_e32 v3, vcc, v5, v3, vcc
	global_load_dword v11, v[11:12], off
	v_add_u32_e32 v0, s12, v0
	global_load_dword v2, v[2:3], off
	s_waitcnt vmcnt(0)
	v_sub_f32_e32 v2, v11, v2
	v_add_f32_e32 v13, v13, v2
	v_lshlrev_b64 v[2:3], 2, v[0:1]
	v_add_u32_e32 v0, s3, v0
	v_add_co_u32_e32 v11, vcc, s0, v2
	v_addc_co_u32_e32 v12, vcc, v4, v3, vcc
	v_add_co_u32_e32 v2, vcc, s2, v2
	v_addc_co_u32_e32 v3, vcc, v5, v3, vcc
	global_load_dword v11, v[11:12], off
	s_nop 0
	global_load_dword v2, v[2:3], off
	s_waitcnt vmcnt(0)
	v_sub_f32_e32 v2, v11, v2
	v_add_f32_e32 v13, v13, v2
	v_lshlrev_b64 v[2:3], 2, v[0:1]
	v_add_u32_e32 v0, s12, v0
	v_add_co_u32_e32 v11, vcc, s0, v2
	v_addc_co_u32_e32 v12, vcc, v4, v3, vcc
	v_add_co_u32_e32 v2, vcc, s2, v2
	v_addc_co_u32_e32 v3, vcc, v5, v3, vcc
	global_load_dword v11, v[11:12], off
	s_nop 0
	;; [unrolled: 12-line block ×3, first 2 shown]
	global_load_dword v2, v[2:3], off
	s_waitcnt vmcnt(0)
	v_sub_f32_e32 v2, v11, v2
	v_add_f32_e32 v13, v13, v2
	v_lshlrev_b64 v[2:3], 2, v[0:1]
	v_add_co_u32_e32 v11, vcc, s0, v2
	v_addc_co_u32_e32 v12, vcc, v4, v3, vcc
	v_add_co_u32_e32 v2, vcc, s2, v2
	v_addc_co_u32_e32 v3, vcc, v5, v3, vcc
	global_load_dword v11, v[11:12], off
	s_nop 0
	global_load_dword v2, v[2:3], off
	s_waitcnt vmcnt(0)
	v_sub_f32_e32 v2, v11, v2
	v_add_f32_e32 v15, v13, v2
	v_mad_u64_u32 v[2:3], s[4:5], s12, 9, v[0:1]
	v_mov_b32_e32 v3, v1
	s_lshl_b32 s4, s12, 2
	v_lshlrev_b64 v[11:12], 2, v[2:3]
	s_mul_i32 s5, s12, 7
	v_add_co_u32_e32 v13, vcc, s0, v11
	v_addc_co_u32_e32 v14, vcc, v4, v12, vcc
	v_add_co_u32_e32 v11, vcc, s2, v11
	v_addc_co_u32_e32 v12, vcc, v5, v12, vcc
	global_load_dword v0, v[13:14], off
	global_load_dword v3, v[11:12], off
	s_waitcnt vmcnt(0)
	v_sub_f32_e32 v0, v0, v3
	v_sub_f32_e32 v13, v15, v0
	v_add_u32_e32 v0, s1, v2
	v_lshlrev_b64 v[2:3], 2, v[0:1]
	v_add_u32_e32 v0, s4, v0
	v_add_co_u32_e32 v11, vcc, s0, v2
	v_addc_co_u32_e32 v12, vcc, v4, v3, vcc
	v_add_co_u32_e32 v2, vcc, s2, v2
	v_addc_co_u32_e32 v3, vcc, v5, v3, vcc
	global_load_dword v11, v[11:12], off
	s_nop 0
	global_load_dword v2, v[2:3], off
	s_waitcnt vmcnt(0)
	v_sub_f32_e32 v2, v11, v2
	v_add_f32_e32 v13, v13, v2
	v_lshlrev_b64 v[2:3], 2, v[0:1]
	v_add_u32_e32 v0, s12, v0
	v_add_co_u32_e32 v11, vcc, s0, v2
	v_addc_co_u32_e32 v12, vcc, v4, v3, vcc
	v_add_co_u32_e32 v2, vcc, s2, v2
	v_addc_co_u32_e32 v3, vcc, v5, v3, vcc
	global_load_dword v11, v[11:12], off
	s_nop 0
	global_load_dword v2, v[2:3], off
	s_waitcnt vmcnt(0)
	v_sub_f32_e32 v2, v11, v2
	v_add_f32_e32 v13, v13, v2
	;; [unrolled: 12-line block ×3, first 2 shown]
	v_lshlrev_b64 v[2:3], 2, v[0:1]
	v_add_co_u32_e32 v11, vcc, s0, v2
	v_addc_co_u32_e32 v12, vcc, v4, v3, vcc
	v_add_co_u32_e32 v2, vcc, s2, v2
	v_addc_co_u32_e32 v3, vcc, v5, v3, vcc
	global_load_dword v11, v[11:12], off
	s_nop 0
	global_load_dword v2, v[2:3], off
	s_waitcnt vmcnt(0)
	v_sub_f32_e32 v11, v11, v2
	v_mad_u64_u32 v[2:3], s[14:15], s12, 18, v[0:1]
	v_mov_b32_e32 v3, v1
	v_add_f32_e32 v16, v13, v11
	v_lshlrev_b64 v[12:13], 2, v[2:3]
	v_add_co_u32_e32 v14, vcc, s0, v12
	v_addc_co_u32_e32 v15, vcc, v4, v13, vcc
	v_add_co_u32_e32 v12, vcc, s2, v12
	v_addc_co_u32_e32 v13, vcc, v5, v13, vcc
	global_load_dword v0, v[14:15], off
	global_load_dword v3, v[12:13], off
	s_waitcnt vmcnt(0)
	v_sub_f32_e32 v0, v0, v3
	v_add_f32_e32 v14, v16, v0
	v_add_u32_e32 v0, s5, v2
	v_lshlrev_b64 v[2:3], 2, v[0:1]
	v_add_co_u32_e32 v12, vcc, s0, v2
	v_addc_co_u32_e32 v13, vcc, v4, v3, vcc
	v_add_co_u32_e32 v2, vcc, s2, v2
	v_addc_co_u32_e32 v3, vcc, v5, v3, vcc
	global_load_dword v12, v[12:13], off
	s_nop 0
	global_load_dword v2, v[2:3], off
	s_waitcnt vmcnt(0)
	v_sub_f32_e32 v2, v12, v2
	v_add_f32_e32 v16, v14, v2
	v_mad_u64_u32 v[2:3], s[14:15], s12, 13, v[0:1]
	v_mov_b32_e32 v3, v1
	v_lshlrev_b64 v[12:13], 2, v[2:3]
	v_add_co_u32_e32 v14, vcc, s0, v12
	v_addc_co_u32_e32 v15, vcc, v4, v13, vcc
	v_add_co_u32_e32 v12, vcc, s2, v12
	v_addc_co_u32_e32 v13, vcc, v5, v13, vcc
	global_load_dword v0, v[14:15], off
	global_load_dword v3, v[12:13], off
	s_waitcnt vmcnt(0)
	v_sub_f32_e32 v0, v0, v3
	v_add_f32_e32 v14, v16, v0
	v_add_u32_e32 v0, s12, v2
	v_lshlrev_b64 v[2:3], 2, v[0:1]
	v_add_u32_e32 v0, s12, v0
	v_add_co_u32_e32 v12, vcc, s0, v2
	v_addc_co_u32_e32 v13, vcc, v4, v3, vcc
	v_add_co_u32_e32 v2, vcc, s2, v2
	v_addc_co_u32_e32 v3, vcc, v5, v3, vcc
	global_load_dword v12, v[12:13], off
	s_nop 0
	global_load_dword v2, v[2:3], off
	s_waitcnt vmcnt(0)
	v_sub_f32_e32 v2, v12, v2
	v_add_f32_e32 v3, v14, v2
	v_add_f32_e32 v14, v2, v3
	v_lshlrev_b64 v[2:3], 2, v[0:1]
	v_add_u32_e32 v0, s12, v0
	v_add_co_u32_e32 v12, vcc, s0, v2
	v_addc_co_u32_e32 v13, vcc, v4, v3, vcc
	v_add_co_u32_e32 v2, vcc, s2, v2
	v_addc_co_u32_e32 v3, vcc, v5, v3, vcc
	global_load_dword v12, v[12:13], off
	s_nop 0
	global_load_dword v2, v[2:3], off
	s_waitcnt vmcnt(0)
	v_sub_f32_e32 v2, v12, v2
	v_add_f32_e32 v3, v14, v2
	v_add_f32_e32 v14, v2, v3
	v_lshlrev_b64 v[2:3], 2, v[0:1]
	v_add_u32_e32 v0, s12, v0
	v_add_co_u32_e32 v12, vcc, s0, v2
	v_addc_co_u32_e32 v13, vcc, v4, v3, vcc
	v_add_co_u32_e32 v2, vcc, s2, v2
	v_addc_co_u32_e32 v3, vcc, v5, v3, vcc
	global_load_dword v12, v[12:13], off
	s_nop 0
	global_load_dword v2, v[2:3], off
	s_waitcnt vmcnt(0)
	v_sub_f32_e32 v2, v12, v2
	v_add_f32_e32 v14, v14, v2
	v_lshlrev_b64 v[2:3], 2, v[0:1]
	v_add_u32_e32 v0, s12, v0
	v_add_co_u32_e32 v12, vcc, s0, v2
	v_addc_co_u32_e32 v13, vcc, v4, v3, vcc
	v_add_co_u32_e32 v2, vcc, s2, v2
	v_addc_co_u32_e32 v3, vcc, v5, v3, vcc
	global_load_dword v12, v[12:13], off
	s_nop 0
	global_load_dword v2, v[2:3], off
	s_waitcnt vmcnt(0)
	v_sub_f32_e32 v2, v12, v2
	;; [unrolled: 12-line block ×3, first 2 shown]
	v_add_f32_e32 v3, v14, v2
	v_add_f32_e32 v14, v2, v3
	v_lshlrev_b64 v[2:3], 2, v[0:1]
	v_add_u32_e32 v0, s3, v0
	v_add_co_u32_e32 v12, vcc, s0, v2
	v_addc_co_u32_e32 v13, vcc, v4, v3, vcc
	v_add_co_u32_e32 v2, vcc, s2, v2
	v_addc_co_u32_e32 v3, vcc, v5, v3, vcc
	global_load_dword v12, v[12:13], off
	s_lshl_b32 s3, s12, 3
	global_load_dword v2, v[2:3], off
	s_waitcnt vmcnt(0)
	v_sub_f32_e32 v2, v12, v2
	v_add_f32_e32 v14, v14, v2
	v_lshlrev_b64 v[2:3], 2, v[0:1]
	v_add_u32_e32 v0, s12, v0
	v_add_co_u32_e32 v12, vcc, s0, v2
	v_addc_co_u32_e32 v13, vcc, v4, v3, vcc
	v_add_co_u32_e32 v2, vcc, s2, v2
	v_addc_co_u32_e32 v3, vcc, v5, v3, vcc
	global_load_dword v12, v[12:13], off
	s_nop 0
	global_load_dword v2, v[2:3], off
	s_waitcnt vmcnt(0)
	v_sub_f32_e32 v2, v12, v2
	v_add_f32_e32 v14, v14, v2
	v_lshlrev_b64 v[2:3], 2, v[0:1]
	v_add_co_u32_e32 v12, vcc, s0, v2
	v_addc_co_u32_e32 v13, vcc, v4, v3, vcc
	v_add_co_u32_e32 v2, vcc, s2, v2
	v_addc_co_u32_e32 v3, vcc, v5, v3, vcc
	global_load_dword v12, v[12:13], off
	s_nop 0
	global_load_dword v2, v[2:3], off
	s_waitcnt vmcnt(0)
	v_sub_f32_e32 v2, v12, v2
	v_add_f32_e32 v16, v14, v2
	v_mad_u64_u32 v[2:3], s[14:15], s12, 3, v[0:1]
	v_mov_b32_e32 v3, v1
	v_lshlrev_b64 v[12:13], 2, v[2:3]
	v_add_co_u32_e32 v14, vcc, s0, v12
	v_addc_co_u32_e32 v15, vcc, v4, v13, vcc
	v_add_co_u32_e32 v12, vcc, s2, v12
	v_addc_co_u32_e32 v13, vcc, v5, v13, vcc
	global_load_dword v0, v[14:15], off
	global_load_dword v3, v[12:13], off
	s_waitcnt vmcnt(0)
	v_sub_f32_e32 v0, v0, v3
	v_add_f32_e32 v14, v16, v0
	v_add_u32_e32 v0, s1, v2
	v_lshlrev_b64 v[2:3], 2, v[0:1]
	v_add_u32_e32 v0, s3, v0
	v_add_co_u32_e32 v12, vcc, s0, v2
	v_addc_co_u32_e32 v13, vcc, v4, v3, vcc
	v_add_co_u32_e32 v2, vcc, s2, v2
	v_addc_co_u32_e32 v3, vcc, v5, v3, vcc
	global_load_dword v12, v[12:13], off
	s_nop 0
	global_load_dword v2, v[2:3], off
	s_waitcnt vmcnt(0)
	v_sub_f32_e32 v2, v12, v2
	v_add_f32_e32 v14, v14, v2
	v_lshlrev_b64 v[2:3], 2, v[0:1]
	v_add_u32_e32 v0, s5, v0
	v_add_co_u32_e32 v12, vcc, s0, v2
	v_addc_co_u32_e32 v13, vcc, v4, v3, vcc
	v_add_co_u32_e32 v2, vcc, s2, v2
	v_addc_co_u32_e32 v3, vcc, v5, v3, vcc
	global_load_dword v12, v[12:13], off
	s_nop 0
	global_load_dword v2, v[2:3], off
	s_waitcnt vmcnt(0)
	v_sub_f32_e32 v2, v12, v2
	v_add_f32_e32 v14, v14, v2
	;; [unrolled: 12-line block ×5, first 2 shown]
	v_lshlrev_b64 v[2:3], 2, v[0:1]
	v_add_co_u32_e32 v12, vcc, s0, v2
	v_addc_co_u32_e32 v13, vcc, v4, v3, vcc
	v_add_co_u32_e32 v2, vcc, s2, v2
	v_addc_co_u32_e32 v3, vcc, v5, v3, vcc
	global_load_dword v12, v[12:13], off
	s_nop 0
	global_load_dword v2, v[2:3], off
	s_waitcnt vmcnt(0)
	v_sub_f32_e32 v2, v12, v2
	v_add_f32_e32 v16, v14, v2
	v_mad_u64_u32 v[2:3], s[4:5], s12, 15, v[0:1]
	v_mov_b32_e32 v3, v1
	s_load_dwordx2 s[4:5], s[10:11], 0x28
	v_lshlrev_b64 v[12:13], 2, v[2:3]
	v_add_co_u32_e32 v14, vcc, s0, v12
	v_addc_co_u32_e32 v15, vcc, v4, v13, vcc
	v_add_co_u32_e32 v12, vcc, s2, v12
	v_addc_co_u32_e32 v13, vcc, v5, v13, vcc
	global_load_dword v0, v[14:15], off
	global_load_dword v3, v[12:13], off
	s_waitcnt vmcnt(0)
	v_sub_f32_e32 v0, v0, v3
	v_add_f32_e32 v14, v16, v0
	v_add_u32_e32 v0, s6, v2
	v_lshlrev_b64 v[2:3], 2, v[0:1]
	v_add_co_u32_e32 v12, vcc, s0, v2
	v_addc_co_u32_e32 v13, vcc, v4, v3, vcc
	v_add_co_u32_e32 v2, vcc, s2, v2
	v_addc_co_u32_e32 v3, vcc, v5, v3, vcc
	global_load_dword v12, v[12:13], off
	s_nop 0
	global_load_dword v2, v[2:3], off
	s_waitcnt vmcnt(0)
	v_sub_f32_e32 v2, v12, v2
	v_add_f32_e32 v2, v14, v2
	v_mul_f32_e32 v2, s7, v2
	s_waitcnt lgkmcnt(0)
	v_mul_f32_e32 v13, s4, v2
	s_mul_i32 s4, s12, 0xffffff4e
	v_add_u32_e32 v0, s4, v0
	v_lshlrev_b64 v[2:3], 2, v[0:1]
	v_mov_b32_e32 v12, s9
	v_add_co_u32_e32 v2, vcc, s8, v2
	v_addc_co_u32_e32 v3, vcc, v12, v3, vcc
	global_store_dword v[2:3], v13, off
	v_add_f32_e32 v2, v6, v7
	v_add_f32_e32 v2, v2, v8
	;; [unrolled: 1-line block ×3, first 2 shown]
	v_sub_f32_e32 v10, v2, v10
	v_mad_u64_u32 v[2:3], s[10:11], s12, 33, v[0:1]
	v_mov_b32_e32 v3, v1
	v_lshlrev_b64 v[6:7], 2, v[2:3]
	v_add_co_u32_e32 v8, vcc, s0, v6
	v_addc_co_u32_e32 v9, vcc, v4, v7, vcc
	v_add_co_u32_e32 v6, vcc, s2, v6
	v_addc_co_u32_e32 v7, vcc, v5, v7, vcc
	global_load_dword v0, v[8:9], off
	global_load_dword v3, v[6:7], off
	s_waitcnt vmcnt(0)
	v_sub_f32_e32 v0, v0, v3
	v_add_f32_e32 v8, v10, v0
	v_add_u32_e32 v0, s3, v2
	v_lshlrev_b64 v[2:3], 2, v[0:1]
	s_mul_i32 s3, s12, 0x49
	v_add_co_u32_e32 v6, vcc, s0, v2
	v_addc_co_u32_e32 v7, vcc, v4, v3, vcc
	v_add_co_u32_e32 v2, vcc, s2, v2
	v_addc_co_u32_e32 v3, vcc, v5, v3, vcc
	global_load_dword v6, v[6:7], off
	v_add_u32_e32 v0, s3, v0
	global_load_dword v2, v[2:3], off
	s_mulk_i32 s12, 0xff8a
	s_waitcnt vmcnt(0)
	v_sub_f32_e32 v2, v6, v2
	v_add_f32_e32 v2, v8, v2
	v_sub_f32_e32 v8, v2, v11
	v_lshlrev_b64 v[2:3], 2, v[0:1]
	v_add_u32_e32 v0, s1, v0
	v_add_co_u32_e32 v6, vcc, s0, v2
	v_addc_co_u32_e32 v7, vcc, v4, v3, vcc
	v_add_co_u32_e32 v2, vcc, s2, v2
	v_addc_co_u32_e32 v3, vcc, v5, v3, vcc
	global_load_dword v6, v[6:7], off
	s_nop 0
	global_load_dword v2, v[2:3], off
	s_waitcnt vmcnt(0)
	v_sub_f32_e32 v2, v6, v2
	v_lshlrev_b64 v[6:7], 2, v[0:1]
	v_add_u32_e32 v0, s12, v0
	v_add_co_u32_e32 v3, vcc, s0, v6
	v_addc_co_u32_e32 v4, vcc, v4, v7, vcc
	global_load_dword v3, v[3:4], off
	v_add_co_u32_e32 v4, vcc, s2, v6
	v_addc_co_u32_e32 v5, vcc, v5, v7, vcc
	global_load_dword v4, v[4:5], off
	v_add_f32_e32 v2, v8, v2
	v_lshlrev_b64 v[0:1], 2, v[0:1]
	v_add_co_u32_e32 v0, vcc, s8, v0
	v_addc_co_u32_e32 v1, vcc, v12, v1, vcc
	s_waitcnt vmcnt(0)
	v_sub_f32_e32 v3, v3, v4
	v_add_f32_e32 v2, v2, v3
	v_mul_f32_e32 v2, s7, v2
	v_mul_f32_e32 v2, s5, v2
	global_store_dword v[0:1], v2, off
	s_endpgm
	.section	.rodata,"a",@progbits
	.p2align	6, 0x0
	.amdhsa_kernel _Z14rdwdot6_kernelIfEvPKT_S2_PS0_S0_S2_
		.amdhsa_group_segment_fixed_size 0
		.amdhsa_private_segment_fixed_size 0
		.amdhsa_kernarg_size 296
		.amdhsa_user_sgpr_count 6
		.amdhsa_user_sgpr_private_segment_buffer 1
		.amdhsa_user_sgpr_dispatch_ptr 0
		.amdhsa_user_sgpr_queue_ptr 0
		.amdhsa_user_sgpr_kernarg_segment_ptr 1
		.amdhsa_user_sgpr_dispatch_id 0
		.amdhsa_user_sgpr_flat_scratch_init 0
		.amdhsa_user_sgpr_private_segment_size 0
		.amdhsa_uses_dynamic_stack 0
		.amdhsa_system_sgpr_private_segment_wavefront_offset 0
		.amdhsa_system_sgpr_workgroup_id_x 1
		.amdhsa_system_sgpr_workgroup_id_y 0
		.amdhsa_system_sgpr_workgroup_id_z 0
		.amdhsa_system_sgpr_workgroup_info 0
		.amdhsa_system_vgpr_workitem_id 0
		.amdhsa_next_free_vgpr 17
		.amdhsa_next_free_sgpr 16
		.amdhsa_reserve_vcc 1
		.amdhsa_reserve_flat_scratch 0
		.amdhsa_float_round_mode_32 0
		.amdhsa_float_round_mode_16_64 0
		.amdhsa_float_denorm_mode_32 3
		.amdhsa_float_denorm_mode_16_64 3
		.amdhsa_dx10_clamp 1
		.amdhsa_ieee_mode 1
		.amdhsa_fp16_overflow 0
		.amdhsa_exception_fp_ieee_invalid_op 0
		.amdhsa_exception_fp_denorm_src 0
		.amdhsa_exception_fp_ieee_div_zero 0
		.amdhsa_exception_fp_ieee_overflow 0
		.amdhsa_exception_fp_ieee_underflow 0
		.amdhsa_exception_fp_ieee_inexact 0
		.amdhsa_exception_int_div_zero 0
	.end_amdhsa_kernel
	.section	.text._Z14rdwdot6_kernelIfEvPKT_S2_PS0_S0_S2_,"axG",@progbits,_Z14rdwdot6_kernelIfEvPKT_S2_PS0_S0_S2_,comdat
.Lfunc_end22:
	.size	_Z14rdwdot6_kernelIfEvPKT_S2_PS0_S0_S2_, .Lfunc_end22-_Z14rdwdot6_kernelIfEvPKT_S2_PS0_S0_S2_
                                        ; -- End function
	.set _Z14rdwdot6_kernelIfEvPKT_S2_PS0_S0_S2_.num_vgpr, 17
	.set _Z14rdwdot6_kernelIfEvPKT_S2_PS0_S0_S2_.num_agpr, 0
	.set _Z14rdwdot6_kernelIfEvPKT_S2_PS0_S0_S2_.numbered_sgpr, 16
	.set _Z14rdwdot6_kernelIfEvPKT_S2_PS0_S0_S2_.num_named_barrier, 0
	.set _Z14rdwdot6_kernelIfEvPKT_S2_PS0_S0_S2_.private_seg_size, 0
	.set _Z14rdwdot6_kernelIfEvPKT_S2_PS0_S0_S2_.uses_vcc, 1
	.set _Z14rdwdot6_kernelIfEvPKT_S2_PS0_S0_S2_.uses_flat_scratch, 0
	.set _Z14rdwdot6_kernelIfEvPKT_S2_PS0_S0_S2_.has_dyn_sized_stack, 0
	.set _Z14rdwdot6_kernelIfEvPKT_S2_PS0_S0_S2_.has_recursion, 0
	.set _Z14rdwdot6_kernelIfEvPKT_S2_PS0_S0_S2_.has_indirect_call, 0
	.section	.AMDGPU.csdata,"",@progbits
; Kernel info:
; codeLenInByte = 2768
; TotalNumSgprs: 20
; NumVgprs: 17
; ScratchSize: 0
; MemoryBound: 0
; FloatMode: 240
; IeeeMode: 1
; LDSByteSize: 0 bytes/workgroup (compile time only)
; SGPRBlocks: 2
; VGPRBlocks: 4
; NumSGPRsForWavesPerEU: 20
; NumVGPRsForWavesPerEU: 17
; Occupancy: 10
; WaveLimiterHint : 0
; COMPUTE_PGM_RSRC2:SCRATCH_EN: 0
; COMPUTE_PGM_RSRC2:USER_SGPR: 6
; COMPUTE_PGM_RSRC2:TRAP_HANDLER: 0
; COMPUTE_PGM_RSRC2:TGID_X_EN: 1
; COMPUTE_PGM_RSRC2:TGID_Y_EN: 0
; COMPUTE_PGM_RSRC2:TGID_Z_EN: 0
; COMPUTE_PGM_RSRC2:TIDIG_COMP_CNT: 0
	.section	.text._Z14rdwdot7_kernelIfEvPKT_S2_PS0_S0_S2_,"axG",@progbits,_Z14rdwdot7_kernelIfEvPKT_S2_PS0_S0_S2_,comdat
	.protected	_Z14rdwdot7_kernelIfEvPKT_S2_PS0_S0_S2_ ; -- Begin function _Z14rdwdot7_kernelIfEvPKT_S2_PS0_S0_S2_
	.globl	_Z14rdwdot7_kernelIfEvPKT_S2_PS0_S0_S2_
	.p2align	8
	.type	_Z14rdwdot7_kernelIfEvPKT_S2_PS0_S0_S2_,@function
_Z14rdwdot7_kernelIfEvPKT_S2_PS0_S0_S2_: ; @_Z14rdwdot7_kernelIfEvPKT_S2_PS0_S0_S2_
; %bb.0:
	s_load_dwordx4 s[0:3], s[4:5], 0x0
	s_load_dwordx2 s[8:9], s[4:5], 0x10
	s_load_dword s7, s[4:5], 0x18
	s_load_dwordx2 s[10:11], s[4:5], 0x20
	s_load_dword s12, s[4:5], 0x28
	s_load_dword s13, s[4:5], 0x34
	v_mov_b32_e32 v1, 0
	s_waitcnt lgkmcnt(0)
	v_mov_b32_e32 v4, s1
	s_and_b32 s4, s13, 0xffff
	s_mul_i32 s12, s12, s4
	s_mul_i32 s5, s12, 47
	;; [unrolled: 1-line block ×3, first 2 shown]
	s_add_i32 s5, s5, s6
	v_add_u32_e32 v0, s5, v0
	v_lshlrev_b64 v[2:3], 2, v[0:1]
	v_add_u32_e32 v0, s12, v0
	v_add_co_u32_e32 v5, vcc, s0, v2
	v_addc_co_u32_e32 v6, vcc, v4, v3, vcc
	global_load_dword v6, v[5:6], off
	v_add_co_u32_e32 v2, vcc, s2, v2
	v_mov_b32_e32 v5, s3
	v_addc_co_u32_e32 v3, vcc, v5, v3, vcc
	global_load_dword v2, v[2:3], off
	s_lshl_b32 s1, s12, 1
	s_mul_i32 s3, s12, 5
	s_waitcnt vmcnt(0)
	v_sub_f32_e32 v8, v6, v2
	v_lshlrev_b64 v[2:3], 2, v[0:1]
	v_add_co_u32_e32 v6, vcc, s0, v2
	v_addc_co_u32_e32 v7, vcc, v4, v3, vcc
	v_add_co_u32_e32 v2, vcc, s2, v2
	v_addc_co_u32_e32 v3, vcc, v5, v3, vcc
	global_load_dword v6, v[6:7], off
	s_nop 0
	global_load_dword v2, v[2:3], off
	s_waitcnt vmcnt(0)
	v_sub_f32_e32 v2, v6, v2
	v_add_f32_e32 v10, v8, v2
	v_mad_u64_u32 v[2:3], s[4:5], s12, 15, v[0:1]
	v_mov_b32_e32 v3, v1
	v_lshlrev_b64 v[6:7], 2, v[2:3]
	v_add_co_u32_e32 v8, vcc, s0, v6
	v_addc_co_u32_e32 v9, vcc, v4, v7, vcc
	v_add_co_u32_e32 v6, vcc, s2, v6
	v_addc_co_u32_e32 v7, vcc, v5, v7, vcc
	global_load_dword v0, v[8:9], off
	global_load_dword v3, v[6:7], off
	s_waitcnt vmcnt(0)
	v_sub_f32_e32 v0, v0, v3
	v_mad_u64_u32 v[2:3], s[4:5], s12, 14, v[2:3]
	v_mov_b32_e32 v3, v1
	v_add_f32_e32 v0, v10, v0
	v_lshlrev_b64 v[6:7], 2, v[2:3]
	v_add_co_u32_e32 v8, vcc, s0, v6
	v_addc_co_u32_e32 v9, vcc, v4, v7, vcc
	v_add_co_u32_e32 v6, vcc, s2, v6
	v_addc_co_u32_e32 v7, vcc, v5, v7, vcc
	global_load_dword v3, v[8:9], off
	s_nop 0
	global_load_dword v6, v[6:7], off
	s_waitcnt vmcnt(0)
	v_sub_f32_e32 v6, v3, v6
	v_sub_f32_e32 v9, v0, v6
	v_add_u32_e32 v0, s12, v2
	v_lshlrev_b64 v[2:3], 2, v[0:1]
	v_add_u32_e32 v0, s12, v0
	v_add_co_u32_e32 v7, vcc, s0, v2
	v_addc_co_u32_e32 v8, vcc, v4, v3, vcc
	v_add_co_u32_e32 v2, vcc, s2, v2
	v_addc_co_u32_e32 v3, vcc, v5, v3, vcc
	global_load_dword v7, v[7:8], off
	s_nop 0
	global_load_dword v2, v[2:3], off
	s_waitcnt vmcnt(0)
	v_sub_f32_e32 v2, v7, v2
	v_sub_f32_e32 v9, v9, v2
	v_lshlrev_b64 v[2:3], 2, v[0:1]
	v_add_u32_e32 v0, s12, v0
	v_add_co_u32_e32 v7, vcc, s0, v2
	v_addc_co_u32_e32 v8, vcc, v4, v3, vcc
	v_add_co_u32_e32 v2, vcc, s2, v2
	v_addc_co_u32_e32 v3, vcc, v5, v3, vcc
	global_load_dword v7, v[7:8], off
	s_nop 0
	global_load_dword v2, v[2:3], off
	s_waitcnt vmcnt(0)
	v_sub_f32_e32 v2, v7, v2
	v_sub_f32_e32 v9, v9, v2
	v_lshlrev_b64 v[2:3], 2, v[0:1]
	v_add_u32_e32 v0, s12, v0
	v_add_co_u32_e32 v7, vcc, s0, v2
	v_addc_co_u32_e32 v8, vcc, v4, v3, vcc
	v_add_co_u32_e32 v2, vcc, s2, v2
	v_addc_co_u32_e32 v3, vcc, v5, v3, vcc
	global_load_dword v7, v[7:8], off
	s_nop 0
	global_load_dword v2, v[2:3], off
	s_waitcnt vmcnt(0)
	v_sub_f32_e32 v2, v7, v2
	v_sub_f32_e32 v9, v9, v2
	v_lshlrev_b64 v[2:3], 2, v[0:1]
	v_add_u32_e32 v0, s12, v0
	v_add_co_u32_e32 v7, vcc, s0, v2
	v_addc_co_u32_e32 v8, vcc, v4, v3, vcc
	v_add_co_u32_e32 v2, vcc, s2, v2
	v_addc_co_u32_e32 v3, vcc, v5, v3, vcc
	global_load_dword v7, v[7:8], off
	s_nop 0
	global_load_dword v2, v[2:3], off
	s_waitcnt vmcnt(0)
	v_sub_f32_e32 v2, v7, v2
	v_sub_f32_e32 v9, v9, v2
	v_lshlrev_b64 v[2:3], 2, v[0:1]
	v_add_u32_e32 v0, s12, v0
	v_add_co_u32_e32 v7, vcc, s0, v2
	v_addc_co_u32_e32 v8, vcc, v4, v3, vcc
	v_add_co_u32_e32 v2, vcc, s2, v2
	v_addc_co_u32_e32 v3, vcc, v5, v3, vcc
	global_load_dword v7, v[7:8], off
	s_nop 0
	global_load_dword v2, v[2:3], off
	s_waitcnt vmcnt(0)
	v_sub_f32_e32 v2, v7, v2
	v_sub_f32_e32 v9, v9, v2
	v_lshlrev_b64 v[2:3], 2, v[0:1]
	v_add_u32_e32 v0, s12, v0
	v_add_co_u32_e32 v7, vcc, s0, v2
	v_addc_co_u32_e32 v8, vcc, v4, v3, vcc
	v_add_co_u32_e32 v2, vcc, s2, v2
	v_addc_co_u32_e32 v3, vcc, v5, v3, vcc
	global_load_dword v7, v[7:8], off
	s_nop 0
	global_load_dword v2, v[2:3], off
	s_waitcnt vmcnt(0)
	v_sub_f32_e32 v7, v7, v2
	v_lshlrev_b64 v[2:3], 2, v[0:1]
	v_sub_f32_e32 v10, v9, v7
	v_add_co_u32_e32 v8, vcc, s0, v2
	v_addc_co_u32_e32 v9, vcc, v4, v3, vcc
	v_add_co_u32_e32 v2, vcc, s2, v2
	v_addc_co_u32_e32 v3, vcc, v5, v3, vcc
	global_load_dword v8, v[8:9], off
	v_add_u32_e32 v0, s12, v0
	global_load_dword v2, v[2:3], off
	s_waitcnt vmcnt(0)
	v_sub_f32_e32 v2, v8, v2
	v_sub_f32_e32 v10, v10, v2
	v_lshlrev_b64 v[2:3], 2, v[0:1]
	v_add_u32_e32 v0, s12, v0
	v_add_co_u32_e32 v8, vcc, s0, v2
	v_addc_co_u32_e32 v9, vcc, v4, v3, vcc
	v_add_co_u32_e32 v2, vcc, s2, v2
	v_addc_co_u32_e32 v3, vcc, v5, v3, vcc
	global_load_dword v8, v[8:9], off
	s_nop 0
	global_load_dword v2, v[2:3], off
	s_waitcnt vmcnt(0)
	v_sub_f32_e32 v8, v8, v2
	v_lshlrev_b64 v[2:3], 2, v[0:1]
	v_sub_f32_e32 v11, v10, v8
	v_add_co_u32_e32 v9, vcc, s0, v2
	v_addc_co_u32_e32 v10, vcc, v4, v3, vcc
	v_add_co_u32_e32 v2, vcc, s2, v2
	v_addc_co_u32_e32 v3, vcc, v5, v3, vcc
	global_load_dword v9, v[9:10], off
	v_add_u32_e32 v0, s12, v0
	global_load_dword v2, v[2:3], off
	s_waitcnt vmcnt(0)
	v_sub_f32_e32 v2, v9, v2
	v_sub_f32_e32 v11, v11, v2
	;; [unrolled: 23-line block ×4, first 2 shown]
	v_lshlrev_b64 v[2:3], 2, v[0:1]
	v_add_u32_e32 v0, s12, v0
	v_add_co_u32_e32 v11, vcc, s0, v2
	v_addc_co_u32_e32 v12, vcc, v4, v3, vcc
	v_add_co_u32_e32 v2, vcc, s2, v2
	v_addc_co_u32_e32 v3, vcc, v5, v3, vcc
	global_load_dword v11, v[11:12], off
	s_nop 0
	global_load_dword v2, v[2:3], off
	s_waitcnt vmcnt(0)
	v_sub_f32_e32 v2, v11, v2
	v_sub_f32_e32 v13, v13, v2
	v_lshlrev_b64 v[2:3], 2, v[0:1]
	v_add_u32_e32 v0, s12, v0
	v_add_co_u32_e32 v11, vcc, s0, v2
	v_addc_co_u32_e32 v12, vcc, v4, v3, vcc
	v_add_co_u32_e32 v2, vcc, s2, v2
	v_addc_co_u32_e32 v3, vcc, v5, v3, vcc
	global_load_dword v11, v[11:12], off
	s_nop 0
	global_load_dword v2, v[2:3], off
	s_waitcnt vmcnt(0)
	v_sub_f32_e32 v2, v11, v2
	v_sub_f32_e32 v3, v13, v2
	v_sub_f32_e32 v13, v3, v2
	v_lshlrev_b64 v[2:3], 2, v[0:1]
	v_add_u32_e32 v0, s12, v0
	v_add_co_u32_e32 v11, vcc, s0, v2
	v_addc_co_u32_e32 v12, vcc, v4, v3, vcc
	v_add_co_u32_e32 v2, vcc, s2, v2
	v_addc_co_u32_e32 v3, vcc, v5, v3, vcc
	global_load_dword v11, v[11:12], off
	s_nop 0
	global_load_dword v2, v[2:3], off
	s_waitcnt vmcnt(0)
	v_sub_f32_e32 v2, v11, v2
	;; [unrolled: 13-line block ×3, first 2 shown]
	v_sub_f32_e32 v13, v13, v2
	v_lshlrev_b64 v[2:3], 2, v[0:1]
	v_add_u32_e32 v0, s3, v0
	v_add_co_u32_e32 v11, vcc, s0, v2
	v_addc_co_u32_e32 v12, vcc, v4, v3, vcc
	v_add_co_u32_e32 v2, vcc, s2, v2
	v_addc_co_u32_e32 v3, vcc, v5, v3, vcc
	global_load_dword v11, v[11:12], off
	s_nop 0
	global_load_dword v2, v[2:3], off
	s_waitcnt vmcnt(0)
	v_sub_f32_e32 v2, v11, v2
	v_add_f32_e32 v13, v13, v2
	v_lshlrev_b64 v[2:3], 2, v[0:1]
	v_add_u32_e32 v0, s12, v0
	v_add_co_u32_e32 v11, vcc, s0, v2
	v_addc_co_u32_e32 v12, vcc, v4, v3, vcc
	v_add_co_u32_e32 v2, vcc, s2, v2
	v_addc_co_u32_e32 v3, vcc, v5, v3, vcc
	global_load_dword v11, v[11:12], off
	s_nop 0
	global_load_dword v2, v[2:3], off
	s_waitcnt vmcnt(0)
	v_sub_f32_e32 v11, v11, v2
	v_lshlrev_b64 v[2:3], 2, v[0:1]
	v_add_f32_e32 v14, v13, v11
	v_add_co_u32_e32 v12, vcc, s0, v2
	v_addc_co_u32_e32 v13, vcc, v4, v3, vcc
	v_add_co_u32_e32 v2, vcc, s2, v2
	v_addc_co_u32_e32 v3, vcc, v5, v3, vcc
	global_load_dword v12, v[12:13], off
	v_add_u32_e32 v0, s12, v0
	global_load_dword v2, v[2:3], off
	s_waitcnt vmcnt(0)
	v_sub_f32_e32 v12, v12, v2
	v_lshlrev_b64 v[2:3], 2, v[0:1]
	v_add_f32_e32 v15, v14, v12
	v_add_co_u32_e32 v13, vcc, s0, v2
	v_addc_co_u32_e32 v14, vcc, v4, v3, vcc
	v_add_co_u32_e32 v2, vcc, s2, v2
	v_addc_co_u32_e32 v3, vcc, v5, v3, vcc
	global_load_dword v13, v[13:14], off
	v_add_u32_e32 v0, s1, v0
	;; [unrolled: 11-line block ×3, first 2 shown]
	global_load_dword v2, v[2:3], off
	s_waitcnt vmcnt(0)
	v_sub_f32_e32 v13, v13, v2
	v_add_f32_e32 v2, v17, v13
	v_add_f32_e32 v17, v13, v2
	v_lshlrev_b64 v[2:3], 2, v[0:1]
	v_add_co_u32_e32 v15, vcc, s0, v2
	v_addc_co_u32_e32 v16, vcc, v4, v3, vcc
	v_add_co_u32_e32 v2, vcc, s2, v2
	v_addc_co_u32_e32 v3, vcc, v5, v3, vcc
	global_load_dword v15, v[15:16], off
	s_nop 0
	global_load_dword v2, v[2:3], off
	s_waitcnt vmcnt(0)
	v_sub_f32_e32 v15, v15, v2
	v_add_f32_e32 v2, v17, v15
	v_add_f32_e32 v20, v15, v2
	v_mad_u64_u32 v[2:3], s[4:5], s12, 12, v[0:1]
	v_mov_b32_e32 v3, v1
	s_mul_i32 s4, s12, 7
	v_lshlrev_b64 v[16:17], 2, v[2:3]
	s_lshl_b32 s5, s12, 3
	v_add_co_u32_e32 v18, vcc, s0, v16
	v_addc_co_u32_e32 v19, vcc, v4, v17, vcc
	v_add_co_u32_e32 v16, vcc, s2, v16
	v_addc_co_u32_e32 v17, vcc, v5, v17, vcc
	global_load_dword v0, v[18:19], off
	global_load_dword v3, v[16:17], off
	s_waitcnt vmcnt(0)
	v_sub_f32_e32 v0, v0, v3
	v_add_f32_e32 v18, v20, v0
	v_add_u32_e32 v0, s1, v2
	v_lshlrev_b64 v[2:3], 2, v[0:1]
	v_add_u32_e32 v0, s4, v0
	v_add_co_u32_e32 v16, vcc, s0, v2
	v_addc_co_u32_e32 v17, vcc, v4, v3, vcc
	v_add_co_u32_e32 v2, vcc, s2, v2
	v_addc_co_u32_e32 v3, vcc, v5, v3, vcc
	global_load_dword v16, v[16:17], off
	s_nop 0
	global_load_dword v2, v[2:3], off
	s_waitcnt vmcnt(0)
	v_sub_f32_e32 v2, v16, v2
	v_sub_f32_e32 v18, v18, v2
	v_lshlrev_b64 v[2:3], 2, v[0:1]
	v_add_u32_e32 v0, s5, v0
	v_add_co_u32_e32 v16, vcc, s0, v2
	v_addc_co_u32_e32 v17, vcc, v4, v3, vcc
	v_add_co_u32_e32 v2, vcc, s2, v2
	v_addc_co_u32_e32 v3, vcc, v5, v3, vcc
	global_load_dword v16, v[16:17], off
	s_nop 0
	global_load_dword v2, v[2:3], off
	s_waitcnt vmcnt(0)
	v_sub_f32_e32 v2, v16, v2
	v_add_f32_e32 v18, v18, v2
	v_lshlrev_b64 v[2:3], 2, v[0:1]
	v_add_u32_e32 v0, s5, v0
	v_add_co_u32_e32 v16, vcc, s0, v2
	v_addc_co_u32_e32 v17, vcc, v4, v3, vcc
	v_add_co_u32_e32 v2, vcc, s2, v2
	v_addc_co_u32_e32 v3, vcc, v5, v3, vcc
	global_load_dword v16, v[16:17], off
	s_mul_i32 s5, s12, 6
	global_load_dword v2, v[2:3], off
	s_waitcnt vmcnt(0)
	v_sub_f32_e32 v2, v16, v2
	v_add_f32_e32 v18, v18, v2
	v_lshlrev_b64 v[2:3], 2, v[0:1]
	v_add_u32_e32 v0, s12, v0
	v_add_co_u32_e32 v16, vcc, s0, v2
	v_addc_co_u32_e32 v17, vcc, v4, v3, vcc
	v_add_co_u32_e32 v2, vcc, s2, v2
	v_addc_co_u32_e32 v3, vcc, v5, v3, vcc
	global_load_dword v16, v[16:17], off
	s_nop 0
	global_load_dword v2, v[2:3], off
	s_waitcnt vmcnt(0)
	v_sub_f32_e32 v16, v16, v2
	v_lshlrev_b64 v[2:3], 2, v[0:1]
	v_sub_f32_e32 v19, v18, v16
	v_add_co_u32_e32 v17, vcc, s0, v2
	v_addc_co_u32_e32 v18, vcc, v4, v3, vcc
	v_add_co_u32_e32 v2, vcc, s2, v2
	v_addc_co_u32_e32 v3, vcc, v5, v3, vcc
	global_load_dword v17, v[17:18], off
	v_add_u32_e32 v0, s12, v0
	global_load_dword v2, v[2:3], off
	s_waitcnt vmcnt(0)
	v_sub_f32_e32 v2, v17, v2
	v_sub_f32_e32 v19, v19, v2
	v_lshlrev_b64 v[2:3], 2, v[0:1]
	v_add_u32_e32 v0, s12, v0
	v_add_co_u32_e32 v17, vcc, s0, v2
	v_addc_co_u32_e32 v18, vcc, v4, v3, vcc
	v_add_co_u32_e32 v2, vcc, s2, v2
	v_addc_co_u32_e32 v3, vcc, v5, v3, vcc
	global_load_dword v17, v[17:18], off
	s_nop 0
	global_load_dword v2, v[2:3], off
	s_waitcnt vmcnt(0)
	v_sub_f32_e32 v2, v17, v2
	v_sub_f32_e32 v19, v19, v2
	v_lshlrev_b64 v[2:3], 2, v[0:1]
	v_add_u32_e32 v0, s1, v0
	v_add_co_u32_e32 v17, vcc, s0, v2
	v_addc_co_u32_e32 v18, vcc, v4, v3, vcc
	v_add_co_u32_e32 v2, vcc, s2, v2
	v_addc_co_u32_e32 v3, vcc, v5, v3, vcc
	global_load_dword v17, v[17:18], off
	s_nop 0
	global_load_dword v2, v[2:3], off
	s_waitcnt vmcnt(0)
	v_sub_f32_e32 v2, v17, v2
	v_add_f32_e32 v19, v19, v2
	v_lshlrev_b64 v[2:3], 2, v[0:1]
	v_add_co_u32_e32 v17, vcc, s0, v2
	v_addc_co_u32_e32 v18, vcc, v4, v3, vcc
	v_add_co_u32_e32 v2, vcc, s2, v2
	v_addc_co_u32_e32 v3, vcc, v5, v3, vcc
	global_load_dword v17, v[17:18], off
	s_nop 0
	global_load_dword v2, v[2:3], off
	s_waitcnt vmcnt(0)
	v_sub_f32_e32 v2, v17, v2
	v_add_f32_e32 v21, v19, v2
	v_mad_u64_u32 v[2:3], s[14:15], s12, 10, v[0:1]
	v_mov_b32_e32 v3, v1
	v_lshlrev_b64 v[17:18], 2, v[2:3]
	v_add_co_u32_e32 v19, vcc, s0, v17
	v_addc_co_u32_e32 v20, vcc, v4, v18, vcc
	v_add_co_u32_e32 v17, vcc, s2, v17
	v_addc_co_u32_e32 v18, vcc, v5, v18, vcc
	global_load_dword v0, v[19:20], off
	global_load_dword v3, v[17:18], off
	s_waitcnt vmcnt(0)
	v_sub_f32_e32 v0, v0, v3
	v_mad_u64_u32 v[2:3], s[14:15], s12, 9, v[2:3]
	v_mov_b32_e32 v3, v1
	v_add_f32_e32 v0, v21, v0
	v_lshlrev_b64 v[17:18], 2, v[2:3]
	v_add_co_u32_e32 v19, vcc, s0, v17
	v_addc_co_u32_e32 v20, vcc, v4, v18, vcc
	v_add_co_u32_e32 v17, vcc, s2, v17
	v_addc_co_u32_e32 v18, vcc, v5, v18, vcc
	global_load_dword v3, v[19:20], off
	s_nop 0
	global_load_dword v17, v[17:18], off
	s_waitcnt vmcnt(0)
	v_sub_f32_e32 v17, v3, v17
	v_sub_f32_e32 v20, v0, v17
	v_add_u32_e32 v0, s12, v2
	v_lshlrev_b64 v[2:3], 2, v[0:1]
	v_add_co_u32_e32 v18, vcc, s0, v2
	v_addc_co_u32_e32 v19, vcc, v4, v3, vcc
	v_add_co_u32_e32 v2, vcc, s2, v2
	v_addc_co_u32_e32 v3, vcc, v5, v3, vcc
	global_load_dword v18, v[18:19], off
	s_nop 0
	global_load_dword v2, v[2:3], off
	s_waitcnt vmcnt(0)
	v_sub_f32_e32 v2, v18, v2
	v_sub_f32_e32 v22, v20, v2
	v_mad_u64_u32 v[2:3], s[14:15], s12, 3, v[0:1]
	v_mov_b32_e32 v3, v1
	v_lshlrev_b64 v[18:19], 2, v[2:3]
	v_add_co_u32_e32 v20, vcc, s0, v18
	v_addc_co_u32_e32 v21, vcc, v4, v19, vcc
	v_add_co_u32_e32 v18, vcc, s2, v18
	v_addc_co_u32_e32 v19, vcc, v5, v19, vcc
	global_load_dword v0, v[20:21], off
	global_load_dword v3, v[18:19], off
	s_waitcnt vmcnt(0)
	v_sub_f32_e32 v0, v0, v3
	v_add_f32_e32 v20, v22, v0
	v_add_u32_e32 v0, s3, v2
	v_lshlrev_b64 v[2:3], 2, v[0:1]
	v_add_u32_e32 v0, s5, v0
	v_add_co_u32_e32 v18, vcc, s0, v2
	v_addc_co_u32_e32 v19, vcc, v4, v3, vcc
	v_add_co_u32_e32 v2, vcc, s2, v2
	v_addc_co_u32_e32 v3, vcc, v5, v3, vcc
	global_load_dword v18, v[18:19], off
	s_nop 0
	global_load_dword v2, v[2:3], off
	s_waitcnt vmcnt(0)
	v_sub_f32_e32 v2, v18, v2
	v_add_f32_e32 v20, v20, v2
	v_lshlrev_b64 v[2:3], 2, v[0:1]
	v_add_u32_e32 v0, s12, v0
	v_add_co_u32_e32 v18, vcc, s0, v2
	v_addc_co_u32_e32 v19, vcc, v4, v3, vcc
	v_add_co_u32_e32 v2, vcc, s2, v2
	v_addc_co_u32_e32 v3, vcc, v5, v3, vcc
	global_load_dword v18, v[18:19], off
	s_nop 0
	global_load_dword v2, v[2:3], off
	s_waitcnt vmcnt(0)
	v_sub_f32_e32 v2, v18, v2
	v_add_f32_e32 v20, v20, v2
	v_lshlrev_b64 v[2:3], 2, v[0:1]
	v_add_u32_e32 v0, s4, v0
	v_add_co_u32_e32 v18, vcc, s0, v2
	v_addc_co_u32_e32 v19, vcc, v4, v3, vcc
	v_add_co_u32_e32 v2, vcc, s2, v2
	v_addc_co_u32_e32 v3, vcc, v5, v3, vcc
	global_load_dword v18, v[18:19], off
	s_nop 0
	global_load_dword v2, v[2:3], off
	s_waitcnt vmcnt(0)
	v_sub_f32_e32 v19, v18, v2
	v_lshlrev_b64 v[2:3], 2, v[0:1]
	v_sub_f32_e32 v18, v20, v19
	v_add_co_u32_e32 v20, vcc, s0, v2
	v_addc_co_u32_e32 v21, vcc, v4, v3, vcc
	v_add_co_u32_e32 v2, vcc, s2, v2
	v_addc_co_u32_e32 v3, vcc, v5, v3, vcc
	global_load_dword v20, v[20:21], off
	v_add_u32_e32 v0, s1, v0
	global_load_dword v2, v[2:3], off
	s_mul_i32 s1, s12, 0xffffff3b
	s_waitcnt vmcnt(0)
	v_sub_f32_e32 v2, v20, v2
	v_add_f32_e32 v18, v18, v2
	v_lshlrev_b64 v[2:3], 2, v[0:1]
	v_add_u32_e32 v0, s3, v0
	v_add_co_u32_e32 v20, vcc, s0, v2
	v_addc_co_u32_e32 v21, vcc, v4, v3, vcc
	v_add_co_u32_e32 v2, vcc, s2, v2
	v_addc_co_u32_e32 v3, vcc, v5, v3, vcc
	global_load_dword v20, v[20:21], off
	s_nop 0
	global_load_dword v2, v[2:3], off
	s_waitcnt vmcnt(0)
	v_sub_f32_e32 v2, v20, v2
	v_add_f32_e32 v22, v18, v2
	v_lshlrev_b64 v[2:3], 2, v[0:1]
	v_add_u32_e32 v0, s12, v0
	v_add_co_u32_e32 v20, vcc, s0, v2
	v_addc_co_u32_e32 v21, vcc, v4, v3, vcc
	v_add_co_u32_e32 v2, vcc, s2, v2
	v_addc_co_u32_e32 v3, vcc, v5, v3, vcc
	global_load_dword v18, v[20:21], off
	s_nop 0
	global_load_dword v2, v[2:3], off
	s_waitcnt vmcnt(0)
	v_sub_f32_e32 v18, v18, v2
	v_lshlrev_b64 v[2:3], 2, v[0:1]
	v_sub_f32_e32 v22, v22, v18
	v_add_co_u32_e32 v20, vcc, s0, v2
	v_addc_co_u32_e32 v21, vcc, v4, v3, vcc
	v_add_co_u32_e32 v2, vcc, s2, v2
	v_addc_co_u32_e32 v3, vcc, v5, v3, vcc
	global_load_dword v20, v[20:21], off
	v_add_u32_e32 v0, s5, v0
	global_load_dword v2, v[2:3], off
	s_load_dwordx2 s[4:5], s[10:11], 0x20
	s_waitcnt vmcnt(0)
	v_sub_f32_e32 v2, v20, v2
	v_add_f32_e32 v22, v22, v2
	v_lshlrev_b64 v[2:3], 2, v[0:1]
	v_add_u32_e32 v0, s12, v0
	v_add_co_u32_e32 v20, vcc, s0, v2
	v_addc_co_u32_e32 v21, vcc, v4, v3, vcc
	v_add_co_u32_e32 v2, vcc, s2, v2
	v_addc_co_u32_e32 v3, vcc, v5, v3, vcc
	global_load_dword v20, v[20:21], off
	s_nop 0
	global_load_dword v2, v[2:3], off
	s_waitcnt vmcnt(0)
	v_sub_f32_e32 v20, v20, v2
	v_lshlrev_b64 v[2:3], 2, v[0:1]
	v_sub_f32_e32 v23, v22, v20
	v_add_co_u32_e32 v21, vcc, s0, v2
	v_addc_co_u32_e32 v22, vcc, v4, v3, vcc
	v_add_co_u32_e32 v2, vcc, s2, v2
	v_addc_co_u32_e32 v3, vcc, v5, v3, vcc
	global_load_dword v21, v[21:22], off
	v_add_u32_e32 v0, s1, v0
	global_load_dword v2, v[2:3], off
	s_mul_i32 s1, s12, 0x60
	s_waitcnt vmcnt(0)
	v_sub_f32_e32 v2, v21, v2
	v_add_f32_e32 v2, v23, v2
	v_mul_f32_e32 v2, s7, v2
	s_waitcnt lgkmcnt(0)
	v_mul_f32_e32 v22, s4, v2
	v_lshlrev_b64 v[2:3], 2, v[0:1]
	v_mov_b32_e32 v21, s9
	v_add_co_u32_e32 v2, vcc, s8, v2
	v_addc_co_u32_e32 v3, vcc, v21, v3, vcc
	global_store_dword v[2:3], v22, off
	v_add_f32_e32 v2, v6, v7
	v_add_f32_e32 v2, v2, v8
	v_add_f32_e32 v2, v2, v9
	v_add_f32_e32 v2, v2, v10
	v_sub_f32_e32 v2, v2, v11
	v_sub_f32_e32 v2, v2, v12
	v_add_u32_e32 v0, s1, v0
	v_sub_f32_e32 v8, v2, v14
	v_lshlrev_b64 v[2:3], 2, v[0:1]
	v_add_co_u32_e32 v6, vcc, s0, v2
	v_addc_co_u32_e32 v7, vcc, v4, v3, vcc
	v_add_co_u32_e32 v2, vcc, s2, v2
	v_addc_co_u32_e32 v3, vcc, v5, v3, vcc
	global_load_dword v6, v[6:7], off
	s_nop 0
	global_load_dword v2, v[2:3], off
	s_waitcnt vmcnt(0)
	v_sub_f32_e32 v2, v6, v2
	v_sub_f32_e32 v2, v8, v2
	;; [unrolled: 1-line block ×4, first 2 shown]
	v_add_f32_e32 v10, v16, v2
	v_mad_u64_u32 v[2:3], s[10:11], s12, 61, v[0:1]
	v_mov_b32_e32 v3, v1
	v_lshlrev_b64 v[6:7], 2, v[2:3]
	v_add_co_u32_e32 v8, vcc, s0, v6
	v_addc_co_u32_e32 v9, vcc, v4, v7, vcc
	v_add_co_u32_e32 v6, vcc, s2, v6
	v_addc_co_u32_e32 v7, vcc, v5, v7, vcc
	global_load_dword v0, v[8:9], off
	global_load_dword v3, v[6:7], off
	s_waitcnt vmcnt(0)
	v_sub_f32_e32 v0, v0, v3
	v_mad_u64_u32 v[2:3], s[10:11], s12, 20, v[2:3]
	v_mov_b32_e32 v3, v1
	v_add_f32_e32 v0, v0, v10
	v_lshlrev_b64 v[6:7], 2, v[2:3]
	v_add_f32_e32 v0, v17, v0
	v_add_co_u32_e32 v3, vcc, s0, v6
	v_addc_co_u32_e32 v4, vcc, v4, v7, vcc
	global_load_dword v8, v[3:4], off
	v_add_co_u32_e32 v3, vcc, s2, v6
	v_addc_co_u32_e32 v4, vcc, v5, v7, vcc
	global_load_dword v3, v[3:4], off
	v_add_f32_e32 v0, v19, v0
	s_mulk_i32 s12, 0xff50
	s_waitcnt vmcnt(0)
	v_sub_f32_e32 v3, v8, v3
	v_add_f32_e32 v0, v3, v0
	v_add_f32_e32 v0, v18, v0
	;; [unrolled: 1-line block ×3, first 2 shown]
	v_mul_f32_e32 v0, s7, v0
	v_mul_f32_e32 v3, s5, v0
	v_add_u32_e32 v0, s12, v2
	v_lshlrev_b64 v[0:1], 2, v[0:1]
	v_add_co_u32_e32 v0, vcc, s8, v0
	v_addc_co_u32_e32 v1, vcc, v21, v1, vcc
	global_store_dword v[0:1], v3, off
	s_endpgm
	.section	.rodata,"a",@progbits
	.p2align	6, 0x0
	.amdhsa_kernel _Z14rdwdot7_kernelIfEvPKT_S2_PS0_S0_S2_
		.amdhsa_group_segment_fixed_size 0
		.amdhsa_private_segment_fixed_size 0
		.amdhsa_kernarg_size 296
		.amdhsa_user_sgpr_count 6
		.amdhsa_user_sgpr_private_segment_buffer 1
		.amdhsa_user_sgpr_dispatch_ptr 0
		.amdhsa_user_sgpr_queue_ptr 0
		.amdhsa_user_sgpr_kernarg_segment_ptr 1
		.amdhsa_user_sgpr_dispatch_id 0
		.amdhsa_user_sgpr_flat_scratch_init 0
		.amdhsa_user_sgpr_private_segment_size 0
		.amdhsa_uses_dynamic_stack 0
		.amdhsa_system_sgpr_private_segment_wavefront_offset 0
		.amdhsa_system_sgpr_workgroup_id_x 1
		.amdhsa_system_sgpr_workgroup_id_y 0
		.amdhsa_system_sgpr_workgroup_id_z 0
		.amdhsa_system_sgpr_workgroup_info 0
		.amdhsa_system_vgpr_workitem_id 0
		.amdhsa_next_free_vgpr 24
		.amdhsa_next_free_sgpr 16
		.amdhsa_reserve_vcc 1
		.amdhsa_reserve_flat_scratch 0
		.amdhsa_float_round_mode_32 0
		.amdhsa_float_round_mode_16_64 0
		.amdhsa_float_denorm_mode_32 3
		.amdhsa_float_denorm_mode_16_64 3
		.amdhsa_dx10_clamp 1
		.amdhsa_ieee_mode 1
		.amdhsa_fp16_overflow 0
		.amdhsa_exception_fp_ieee_invalid_op 0
		.amdhsa_exception_fp_denorm_src 0
		.amdhsa_exception_fp_ieee_div_zero 0
		.amdhsa_exception_fp_ieee_overflow 0
		.amdhsa_exception_fp_ieee_underflow 0
		.amdhsa_exception_fp_ieee_inexact 0
		.amdhsa_exception_int_div_zero 0
	.end_amdhsa_kernel
	.section	.text._Z14rdwdot7_kernelIfEvPKT_S2_PS0_S0_S2_,"axG",@progbits,_Z14rdwdot7_kernelIfEvPKT_S2_PS0_S0_S2_,comdat
.Lfunc_end23:
	.size	_Z14rdwdot7_kernelIfEvPKT_S2_PS0_S0_S2_, .Lfunc_end23-_Z14rdwdot7_kernelIfEvPKT_S2_PS0_S0_S2_
                                        ; -- End function
	.set _Z14rdwdot7_kernelIfEvPKT_S2_PS0_S0_S2_.num_vgpr, 24
	.set _Z14rdwdot7_kernelIfEvPKT_S2_PS0_S0_S2_.num_agpr, 0
	.set _Z14rdwdot7_kernelIfEvPKT_S2_PS0_S0_S2_.numbered_sgpr, 16
	.set _Z14rdwdot7_kernelIfEvPKT_S2_PS0_S0_S2_.num_named_barrier, 0
	.set _Z14rdwdot7_kernelIfEvPKT_S2_PS0_S0_S2_.private_seg_size, 0
	.set _Z14rdwdot7_kernelIfEvPKT_S2_PS0_S0_S2_.uses_vcc, 1
	.set _Z14rdwdot7_kernelIfEvPKT_S2_PS0_S0_S2_.uses_flat_scratch, 0
	.set _Z14rdwdot7_kernelIfEvPKT_S2_PS0_S0_S2_.has_dyn_sized_stack, 0
	.set _Z14rdwdot7_kernelIfEvPKT_S2_PS0_S0_S2_.has_recursion, 0
	.set _Z14rdwdot7_kernelIfEvPKT_S2_PS0_S0_S2_.has_indirect_call, 0
	.section	.AMDGPU.csdata,"",@progbits
; Kernel info:
; codeLenInByte = 3396
; TotalNumSgprs: 20
; NumVgprs: 24
; ScratchSize: 0
; MemoryBound: 0
; FloatMode: 240
; IeeeMode: 1
; LDSByteSize: 0 bytes/workgroup (compile time only)
; SGPRBlocks: 2
; VGPRBlocks: 5
; NumSGPRsForWavesPerEU: 20
; NumVGPRsForWavesPerEU: 24
; Occupancy: 10
; WaveLimiterHint : 0
; COMPUTE_PGM_RSRC2:SCRATCH_EN: 0
; COMPUTE_PGM_RSRC2:USER_SGPR: 6
; COMPUTE_PGM_RSRC2:TRAP_HANDLER: 0
; COMPUTE_PGM_RSRC2:TGID_X_EN: 1
; COMPUTE_PGM_RSRC2:TGID_Y_EN: 0
; COMPUTE_PGM_RSRC2:TGID_Z_EN: 0
; COMPUTE_PGM_RSRC2:TIDIG_COMP_CNT: 0
	.section	.text._Z14rdwdot8_kernelIfEvPKT_S2_PS0_S0_S2_,"axG",@progbits,_Z14rdwdot8_kernelIfEvPKT_S2_PS0_S0_S2_,comdat
	.protected	_Z14rdwdot8_kernelIfEvPKT_S2_PS0_S0_S2_ ; -- Begin function _Z14rdwdot8_kernelIfEvPKT_S2_PS0_S0_S2_
	.globl	_Z14rdwdot8_kernelIfEvPKT_S2_PS0_S0_S2_
	.p2align	8
	.type	_Z14rdwdot8_kernelIfEvPKT_S2_PS0_S0_S2_,@function
_Z14rdwdot8_kernelIfEvPKT_S2_PS0_S0_S2_: ; @_Z14rdwdot8_kernelIfEvPKT_S2_PS0_S0_S2_
; %bb.0:
	s_load_dwordx4 s[0:3], s[4:5], 0x0
	s_load_dwordx2 s[8:9], s[4:5], 0x10
	s_load_dword s7, s[4:5], 0x18
	s_load_dwordx2 s[10:11], s[4:5], 0x20
	s_load_dword s12, s[4:5], 0x28
	s_load_dword s13, s[4:5], 0x34
	v_mov_b32_e32 v1, 0
	s_waitcnt lgkmcnt(0)
	v_mov_b32_e32 v5, s1
	s_and_b32 s5, s13, 0xffff
	s_mul_i32 s12, s12, s5
	s_mul_i32 s4, s12, 11
	;; [unrolled: 1-line block ×3, first 2 shown]
	s_add_i32 s5, s4, s6
	v_add_u32_e32 v0, s5, v0
	v_lshlrev_b64 v[2:3], 2, v[0:1]
	v_add_u32_e32 v0, s12, v0
	v_add_co_u32_e32 v6, vcc, s0, v2
	v_addc_co_u32_e32 v7, vcc, v5, v3, vcc
	global_load_dword v4, v[6:7], off
	v_add_co_u32_e32 v2, vcc, s2, v2
	v_mov_b32_e32 v6, s3
	v_addc_co_u32_e32 v3, vcc, v6, v3, vcc
	global_load_dword v2, v[2:3], off
	s_mul_i32 s3, s12, 7
	s_mul_i32 s1, s12, 3
	s_waitcnt vmcnt(0)
	v_sub_f32_e32 v4, v4, v2
	v_lshlrev_b64 v[2:3], 2, v[0:1]
	v_add_u32_e32 v0, s12, v0
	v_add_co_u32_e32 v7, vcc, s0, v2
	v_addc_co_u32_e32 v8, vcc, v5, v3, vcc
	v_add_co_u32_e32 v2, vcc, s2, v2
	v_addc_co_u32_e32 v3, vcc, v6, v3, vcc
	global_load_dword v7, v[7:8], off
	s_nop 0
	global_load_dword v2, v[2:3], off
	s_waitcnt vmcnt(0)
	v_sub_f32_e32 v2, v7, v2
	v_add_f32_e32 v4, v4, v2
	v_lshlrev_b64 v[2:3], 2, v[0:1]
	v_add_u32_e32 v0, s12, v0
	v_add_co_u32_e32 v7, vcc, s0, v2
	v_addc_co_u32_e32 v8, vcc, v5, v3, vcc
	v_add_co_u32_e32 v2, vcc, s2, v2
	v_addc_co_u32_e32 v3, vcc, v6, v3, vcc
	global_load_dword v7, v[7:8], off
	s_nop 0
	global_load_dword v2, v[2:3], off
	s_waitcnt vmcnt(0)
	v_sub_f32_e32 v2, v7, v2
	v_add_f32_e32 v4, v4, v2
	;; [unrolled: 12-line block ×3, first 2 shown]
	v_lshlrev_b64 v[2:3], 2, v[0:1]
	v_add_u32_e32 v0, s12, v0
	v_add_co_u32_e32 v7, vcc, s0, v2
	v_addc_co_u32_e32 v8, vcc, v5, v3, vcc
	v_add_co_u32_e32 v2, vcc, s2, v2
	v_addc_co_u32_e32 v3, vcc, v6, v3, vcc
	global_load_dword v4, v[7:8], off
	s_nop 0
	global_load_dword v2, v[2:3], off
	s_waitcnt vmcnt(0)
	v_sub_f32_e32 v4, v4, v2
	v_lshlrev_b64 v[2:3], 2, v[0:1]
	v_lshl_add_u32 v0, s12, 2, v0
	v_add_co_u32_e32 v7, vcc, s0, v2
	v_addc_co_u32_e32 v8, vcc, v5, v3, vcc
	v_add_co_u32_e32 v2, vcc, s2, v2
	v_addc_co_u32_e32 v3, vcc, v6, v3, vcc
	global_load_dword v7, v[7:8], off
	s_nop 0
	global_load_dword v2, v[2:3], off
	s_waitcnt vmcnt(0)
	v_sub_f32_e32 v2, v7, v2
	v_add_f32_e32 v7, v4, v2
	v_lshlrev_b64 v[2:3], 2, v[0:1]
	v_add_u32_e32 v0, s12, v0
	v_add_co_u32_e32 v8, vcc, s0, v2
	v_addc_co_u32_e32 v9, vcc, v5, v3, vcc
	v_add_co_u32_e32 v2, vcc, s2, v2
	v_addc_co_u32_e32 v3, vcc, v6, v3, vcc
	global_load_dword v4, v[8:9], off
	s_nop 0
	global_load_dword v2, v[2:3], off
	s_waitcnt vmcnt(0)
	v_sub_f32_e32 v4, v4, v2
	v_lshlrev_b64 v[2:3], 2, v[0:1]
	v_add_co_u32_e32 v8, vcc, s0, v2
	v_addc_co_u32_e32 v9, vcc, v5, v3, vcc
	v_add_co_u32_e32 v2, vcc, s2, v2
	v_addc_co_u32_e32 v3, vcc, v6, v3, vcc
	global_load_dword v8, v[8:9], off
	s_nop 0
	global_load_dword v2, v[2:3], off
	s_waitcnt vmcnt(0)
	v_sub_f32_e32 v2, v8, v2
	v_add_f32_e32 v4, v4, v2
	v_mad_u64_u32 v[2:3], s[14:15], s12, -11, v[0:1]
	v_mov_b32_e32 v3, v1
	v_lshlrev_b64 v[8:9], 2, v[2:3]
	v_add_co_u32_e32 v10, vcc, s0, v8
	v_addc_co_u32_e32 v11, vcc, v5, v9, vcc
	v_add_co_u32_e32 v8, vcc, s2, v8
	v_addc_co_u32_e32 v9, vcc, v6, v9, vcc
	global_load_dword v0, v[10:11], off
	global_load_dword v3, v[8:9], off
	s_waitcnt vmcnt(0)
	v_sub_f32_e32 v0, v0, v3
	v_sub_f32_e32 v10, v12, v0
	v_add_u32_e32 v0, s12, v2
	v_lshlrev_b64 v[2:3], 2, v[0:1]
	v_add_u32_e32 v0, s12, v0
	v_add_co_u32_e32 v8, vcc, s0, v2
	v_addc_co_u32_e32 v9, vcc, v5, v3, vcc
	v_add_co_u32_e32 v2, vcc, s2, v2
	v_addc_co_u32_e32 v3, vcc, v6, v3, vcc
	global_load_dword v8, v[8:9], off
	s_nop 0
	global_load_dword v2, v[2:3], off
	s_waitcnt vmcnt(0)
	v_sub_f32_e32 v2, v8, v2
	v_sub_f32_e32 v10, v10, v2
	v_lshlrev_b64 v[2:3], 2, v[0:1]
	v_add_u32_e32 v0, s12, v0
	v_add_co_u32_e32 v8, vcc, s0, v2
	v_addc_co_u32_e32 v9, vcc, v5, v3, vcc
	v_add_co_u32_e32 v2, vcc, s2, v2
	v_addc_co_u32_e32 v3, vcc, v6, v3, vcc
	global_load_dword v8, v[8:9], off
	s_nop 0
	global_load_dword v2, v[2:3], off
	s_waitcnt vmcnt(0)
	v_sub_f32_e32 v2, v8, v2
	v_sub_f32_e32 v10, v10, v2
	;; [unrolled: 12-line block ×4, first 2 shown]
	v_sub_f32_e32 v2, v2, v7
	v_sub_f32_e32 v11, v2, v7
	v_lshlrev_b64 v[2:3], 2, v[0:1]
	v_lshl_add_u32 v0, s12, 1, v0
	v_add_co_u32_e32 v8, vcc, s0, v2
	v_addc_co_u32_e32 v9, vcc, v5, v3, vcc
	v_add_co_u32_e32 v2, vcc, s2, v2
	v_addc_co_u32_e32 v3, vcc, v6, v3, vcc
	global_load_dword v8, v[8:9], off
	s_nop 0
	global_load_dword v2, v[2:3], off
	s_waitcnt vmcnt(0)
	v_sub_f32_e32 v10, v8, v2
	v_lshlrev_b64 v[2:3], 2, v[0:1]
	v_add_f32_e32 v11, v10, v11
	v_add_co_u32_e32 v8, vcc, s0, v2
	v_addc_co_u32_e32 v9, vcc, v5, v3, vcc
	v_add_co_u32_e32 v2, vcc, s2, v2
	v_addc_co_u32_e32 v3, vcc, v6, v3, vcc
	global_load_dword v8, v[8:9], off
	v_add_u32_e32 v0, s3, v0
	global_load_dword v2, v[2:3], off
	s_lshl_b32 s3, s12, 3
	s_waitcnt vmcnt(0)
	v_sub_f32_e32 v8, v8, v2
	v_add_f32_e32 v2, v11, v8
	v_add_f32_e32 v9, v4, v2
	v_lshlrev_b64 v[2:3], 2, v[0:1]
	v_add_co_u32_e32 v11, vcc, s0, v2
	v_addc_co_u32_e32 v12, vcc, v5, v3, vcc
	v_add_co_u32_e32 v2, vcc, s2, v2
	v_addc_co_u32_e32 v3, vcc, v6, v3, vcc
	global_load_dword v11, v[11:12], off
	s_nop 0
	global_load_dword v2, v[2:3], off
	s_waitcnt vmcnt(0)
	v_sub_f32_e32 v2, v11, v2
	v_sub_f32_e32 v9, v9, v2
	v_mad_u64_u32 v[2:3], s[14:15], s12, 14, v[0:1]
	v_mov_b32_e32 v3, v1
	v_lshlrev_b64 v[11:12], 2, v[2:3]
	v_add_co_u32_e32 v13, vcc, s0, v11
	v_addc_co_u32_e32 v14, vcc, v5, v12, vcc
	v_add_co_u32_e32 v11, vcc, s2, v11
	v_addc_co_u32_e32 v12, vcc, v6, v12, vcc
	global_load_dword v0, v[13:14], off
	global_load_dword v3, v[11:12], off
	s_waitcnt vmcnt(0)
	v_sub_f32_e32 v0, v0, v3
	v_add_f32_e32 v9, v9, v0
	v_add_u32_e32 v0, s3, v2
	v_lshlrev_b64 v[2:3], 2, v[0:1]
	v_add_co_u32_e32 v11, vcc, s0, v2
	v_addc_co_u32_e32 v12, vcc, v5, v3, vcc
	v_add_co_u32_e32 v2, vcc, s2, v2
	v_addc_co_u32_e32 v3, vcc, v6, v3, vcc
	global_load_dword v11, v[11:12], off
	s_nop 0
	global_load_dword v2, v[2:3], off
	s_waitcnt vmcnt(0)
	v_sub_f32_e32 v2, v11, v2
	v_sub_f32_e32 v9, v9, v2
	v_mad_u64_u32 v[2:3], s[14:15], s12, 20, v[0:1]
	v_mov_b32_e32 v3, v1
	v_lshlrev_b64 v[11:12], 2, v[2:3]
	v_add_co_u32_e32 v13, vcc, s0, v11
	v_addc_co_u32_e32 v14, vcc, v5, v12, vcc
	v_add_co_u32_e32 v11, vcc, s2, v11
	v_addc_co_u32_e32 v12, vcc, v6, v12, vcc
	global_load_dword v0, v[13:14], off
	global_load_dword v3, v[11:12], off
	s_waitcnt vmcnt(0)
	v_sub_f32_e32 v0, v0, v3
	v_add_f32_e32 v13, v9, v0
	v_add_u32_e32 v0, s12, v2
	v_lshlrev_b64 v[2:3], 2, v[0:1]
	v_add_u32_e32 v0, s3, v0
	v_add_co_u32_e32 v11, vcc, s0, v2
	v_addc_co_u32_e32 v12, vcc, v5, v3, vcc
	v_add_co_u32_e32 v2, vcc, s2, v2
	v_addc_co_u32_e32 v3, vcc, v6, v3, vcc
	global_load_dword v9, v[11:12], off
	s_mul_i32 s3, s12, 0xffffff3b
	global_load_dword v2, v[2:3], off
	s_waitcnt vmcnt(0)
	v_sub_f32_e32 v9, v9, v2
	v_lshlrev_b64 v[2:3], 2, v[0:1]
	v_sub_f32_e32 v13, v13, v9
	v_add_co_u32_e32 v11, vcc, s0, v2
	v_addc_co_u32_e32 v12, vcc, v5, v3, vcc
	v_add_co_u32_e32 v2, vcc, s2, v2
	v_addc_co_u32_e32 v3, vcc, v6, v3, vcc
	global_load_dword v11, v[11:12], off
	v_add_u32_e32 v0, s12, v0
	global_load_dword v2, v[2:3], off
	s_waitcnt vmcnt(0)
	v_sub_f32_e32 v2, v11, v2
	v_sub_f32_e32 v13, v13, v2
	v_lshlrev_b64 v[2:3], 2, v[0:1]
	v_add_u32_e32 v0, s12, v0
	v_add_co_u32_e32 v11, vcc, s0, v2
	v_addc_co_u32_e32 v12, vcc, v5, v3, vcc
	v_add_co_u32_e32 v2, vcc, s2, v2
	v_addc_co_u32_e32 v3, vcc, v6, v3, vcc
	global_load_dword v11, v[11:12], off
	s_nop 0
	global_load_dword v2, v[2:3], off
	s_waitcnt vmcnt(0)
	v_sub_f32_e32 v2, v11, v2
	v_sub_f32_e32 v13, v13, v2
	v_lshlrev_b64 v[2:3], 2, v[0:1]
	v_add_co_u32_e32 v11, vcc, s0, v2
	v_addc_co_u32_e32 v12, vcc, v5, v3, vcc
	v_add_co_u32_e32 v2, vcc, s2, v2
	v_addc_co_u32_e32 v3, vcc, v6, v3, vcc
	global_load_dword v11, v[11:12], off
	s_nop 0
	global_load_dword v2, v[2:3], off
	s_waitcnt vmcnt(0)
	v_sub_f32_e32 v11, v11, v2
	v_mad_u64_u32 v[2:3], s[14:15], s12, 15, v[0:1]
	v_mov_b32_e32 v3, v1
	v_add_f32_e32 v16, v13, v11
	v_lshlrev_b64 v[12:13], 2, v[2:3]
	v_add_co_u32_e32 v14, vcc, s0, v12
	v_addc_co_u32_e32 v15, vcc, v5, v13, vcc
	v_add_co_u32_e32 v12, vcc, s2, v12
	v_addc_co_u32_e32 v13, vcc, v6, v13, vcc
	global_load_dword v0, v[14:15], off
	global_load_dword v3, v[12:13], off
	s_waitcnt vmcnt(0)
	v_sub_f32_e32 v0, v0, v3
	v_mad_u64_u32 v[2:3], s[14:15], s12, 37, v[2:3]
	v_mov_b32_e32 v3, v1
	v_add_f32_e32 v0, v16, v0
	v_lshlrev_b64 v[12:13], 2, v[2:3]
	v_add_co_u32_e32 v14, vcc, s0, v12
	v_addc_co_u32_e32 v15, vcc, v5, v13, vcc
	v_add_co_u32_e32 v12, vcc, s2, v12
	v_addc_co_u32_e32 v13, vcc, v6, v13, vcc
	global_load_dword v3, v[14:15], off
	s_nop 0
	global_load_dword v12, v[12:13], off
	s_waitcnt vmcnt(0)
	v_sub_f32_e32 v3, v3, v12
	v_add_f32_e32 v14, v0, v3
	v_add_u32_e32 v0, s1, v2
	v_lshlrev_b64 v[2:3], 2, v[0:1]
	v_add_u32_e32 v0, s12, v0
	v_add_co_u32_e32 v12, vcc, s0, v2
	v_addc_co_u32_e32 v13, vcc, v5, v3, vcc
	v_add_co_u32_e32 v2, vcc, s2, v2
	v_addc_co_u32_e32 v3, vcc, v6, v3, vcc
	global_load_dword v12, v[12:13], off
	s_mul_i32 s1, s12, 9
	global_load_dword v2, v[2:3], off
	s_waitcnt vmcnt(0)
	v_sub_f32_e32 v2, v12, v2
	v_sub_f32_e32 v14, v14, v2
	v_lshlrev_b64 v[2:3], 2, v[0:1]
	v_add_u32_e32 v0, s4, v0
	v_add_co_u32_e32 v12, vcc, s0, v2
	v_addc_co_u32_e32 v13, vcc, v5, v3, vcc
	v_add_co_u32_e32 v2, vcc, s2, v2
	v_addc_co_u32_e32 v3, vcc, v6, v3, vcc
	global_load_dword v12, v[12:13], off
	s_nop 0
	global_load_dword v2, v[2:3], off
	s_waitcnt vmcnt(0)
	v_sub_f32_e32 v12, v12, v2
	v_lshlrev_b64 v[2:3], 2, v[0:1]
	v_add_f32_e32 v15, v14, v12
	v_add_co_u32_e32 v13, vcc, s0, v2
	v_addc_co_u32_e32 v14, vcc, v5, v3, vcc
	v_add_co_u32_e32 v2, vcc, s2, v2
	v_addc_co_u32_e32 v3, vcc, v6, v3, vcc
	global_load_dword v13, v[13:14], off
	v_add_u32_e32 v0, s1, v0
	global_load_dword v2, v[2:3], off
	s_waitcnt vmcnt(0)
	v_sub_f32_e32 v2, v13, v2
	v_add_f32_e32 v15, v15, v2
	v_lshlrev_b64 v[2:3], 2, v[0:1]
	v_add_u32_e32 v0, s12, v0
	v_add_co_u32_e32 v13, vcc, s0, v2
	v_addc_co_u32_e32 v14, vcc, v5, v3, vcc
	v_add_co_u32_e32 v2, vcc, s2, v2
	v_addc_co_u32_e32 v3, vcc, v6, v3, vcc
	global_load_dword v13, v[13:14], off
	s_nop 0
	global_load_dword v2, v[2:3], off
	s_waitcnt vmcnt(0)
	v_sub_f32_e32 v2, v13, v2
	v_add_f32_e32 v15, v15, v2
	v_lshlrev_b64 v[2:3], 2, v[0:1]
	v_add_u32_e32 v0, s4, v0
	v_add_co_u32_e32 v13, vcc, s0, v2
	v_addc_co_u32_e32 v14, vcc, v5, v3, vcc
	v_add_co_u32_e32 v2, vcc, s2, v2
	v_addc_co_u32_e32 v3, vcc, v6, v3, vcc
	global_load_dword v13, v[13:14], off
	s_nop 0
	global_load_dword v2, v[2:3], off
	s_waitcnt vmcnt(0)
	v_sub_f32_e32 v2, v13, v2
	v_sub_f32_e32 v15, v15, v2
	v_lshlrev_b64 v[2:3], 2, v[0:1]
	v_add_u32_e32 v0, s12, v0
	v_add_co_u32_e32 v13, vcc, s0, v2
	v_addc_co_u32_e32 v14, vcc, v5, v3, vcc
	v_add_co_u32_e32 v2, vcc, s2, v2
	v_addc_co_u32_e32 v3, vcc, v6, v3, vcc
	global_load_dword v13, v[13:14], off
	s_nop 0
	global_load_dword v2, v[2:3], off
	s_waitcnt vmcnt(0)
	v_sub_f32_e32 v2, v13, v2
	v_add_f32_e32 v15, v15, v2
	v_lshlrev_b64 v[2:3], 2, v[0:1]
	v_add_u32_e32 v0, s12, v0
	v_add_co_u32_e32 v13, vcc, s0, v2
	v_addc_co_u32_e32 v14, vcc, v5, v3, vcc
	v_add_co_u32_e32 v2, vcc, s2, v2
	v_addc_co_u32_e32 v3, vcc, v6, v3, vcc
	global_load_dword v13, v[13:14], off
	s_nop 0
	global_load_dword v2, v[2:3], off
	s_waitcnt vmcnt(0)
	v_sub_f32_e32 v2, v13, v2
	v_sub_f32_e32 v15, v15, v2
	v_lshlrev_b64 v[2:3], 2, v[0:1]
	v_add_u32_e32 v0, s12, v0
	v_add_co_u32_e32 v13, vcc, s0, v2
	v_addc_co_u32_e32 v14, vcc, v5, v3, vcc
	v_add_co_u32_e32 v2, vcc, s2, v2
	v_addc_co_u32_e32 v3, vcc, v6, v3, vcc
	global_load_dword v13, v[13:14], off
	s_nop 0
	global_load_dword v2, v[2:3], off
	s_waitcnt vmcnt(0)
	v_sub_f32_e32 v13, v13, v2
	v_lshlrev_b64 v[2:3], 2, v[0:1]
	v_sub_f32_e32 v16, v15, v13
	v_add_co_u32_e32 v14, vcc, s0, v2
	v_addc_co_u32_e32 v15, vcc, v5, v3, vcc
	v_add_co_u32_e32 v2, vcc, s2, v2
	v_addc_co_u32_e32 v3, vcc, v6, v3, vcc
	global_load_dword v14, v[14:15], off
	v_add_u32_e32 v0, s12, v0
	global_load_dword v2, v[2:3], off
	s_waitcnt vmcnt(0)
	v_sub_f32_e32 v2, v14, v2
	v_sub_f32_e32 v16, v16, v2
	v_lshlrev_b64 v[2:3], 2, v[0:1]
	v_add_u32_e32 v0, s1, v0
	v_add_co_u32_e32 v14, vcc, s0, v2
	v_addc_co_u32_e32 v15, vcc, v5, v3, vcc
	v_add_co_u32_e32 v2, vcc, s2, v2
	v_addc_co_u32_e32 v3, vcc, v6, v3, vcc
	global_load_dword v14, v[14:15], off
	s_nop 0
	global_load_dword v2, v[2:3], off
	s_waitcnt vmcnt(0)
	v_sub_f32_e32 v14, v14, v2
	v_lshlrev_b64 v[2:3], 2, v[0:1]
	v_add_f32_e32 v17, v16, v14
	v_add_co_u32_e32 v15, vcc, s0, v2
	v_addc_co_u32_e32 v16, vcc, v5, v3, vcc
	v_add_co_u32_e32 v2, vcc, s2, v2
	v_addc_co_u32_e32 v3, vcc, v6, v3, vcc
	global_load_dword v15, v[15:16], off
	v_add_u32_e32 v0, s12, v0
	global_load_dword v2, v[2:3], off
	s_waitcnt vmcnt(0)
	v_sub_f32_e32 v2, v15, v2
	v_sub_f32_e32 v17, v17, v2
	v_lshlrev_b64 v[2:3], 2, v[0:1]
	v_add_u32_e32 v0, s1, v0
	v_add_co_u32_e32 v15, vcc, s0, v2
	v_addc_co_u32_e32 v16, vcc, v5, v3, vcc
	v_add_co_u32_e32 v2, vcc, s2, v2
	v_addc_co_u32_e32 v3, vcc, v6, v3, vcc
	global_load_dword v15, v[15:16], off
	s_nop 0
	global_load_dword v2, v[2:3], off
	s_waitcnt vmcnt(0)
	v_sub_f32_e32 v2, v15, v2
	v_sub_f32_e32 v17, v17, v2
	v_lshlrev_b64 v[2:3], 2, v[0:1]
	v_add_co_u32_e32 v15, vcc, s0, v2
	v_addc_co_u32_e32 v16, vcc, v5, v3, vcc
	v_add_co_u32_e32 v2, vcc, s2, v2
	v_addc_co_u32_e32 v3, vcc, v6, v3, vcc
	global_load_dword v15, v[15:16], off
	s_nop 0
	global_load_dword v2, v[2:3], off
	s_waitcnt vmcnt(0)
	v_sub_f32_e32 v15, v15, v2
	v_mad_u64_u32 v[2:3], s[4:5], s12, 6, v[0:1]
	v_mov_b32_e32 v3, v1
	v_sub_f32_e32 v20, v17, v15
	v_lshlrev_b64 v[16:17], 2, v[2:3]
	s_load_dwordx2 s[4:5], s[10:11], 0x18
	v_add_co_u32_e32 v18, vcc, s0, v16
	v_addc_co_u32_e32 v19, vcc, v5, v17, vcc
	v_add_co_u32_e32 v16, vcc, s2, v16
	v_addc_co_u32_e32 v17, vcc, v6, v17, vcc
	global_load_dword v0, v[18:19], off
	global_load_dword v3, v[16:17], off
	s_waitcnt vmcnt(0)
	v_sub_f32_e32 v0, v0, v3
	v_add_f32_e32 v18, v20, v0
	v_add_u32_e32 v0, s12, v2
	v_lshlrev_b64 v[2:3], 2, v[0:1]
	v_add_u32_e32 v0, s3, v0
	v_add_co_u32_e32 v16, vcc, s0, v2
	v_addc_co_u32_e32 v17, vcc, v5, v3, vcc
	v_add_co_u32_e32 v2, vcc, s2, v2
	v_addc_co_u32_e32 v3, vcc, v6, v3, vcc
	global_load_dword v16, v[16:17], off
	s_mulk_i32 s12, 0xffef
	global_load_dword v2, v[2:3], off
	s_waitcnt vmcnt(0)
	v_sub_f32_e32 v2, v16, v2
	v_sub_f32_e32 v2, v18, v2
	v_mul_f32_e32 v2, s7, v2
	s_waitcnt lgkmcnt(0)
	v_mul_f32_e32 v17, s4, v2
	v_lshlrev_b64 v[2:3], 2, v[0:1]
	v_mov_b32_e32 v16, s9
	v_add_co_u32_e32 v2, vcc, s8, v2
	v_addc_co_u32_e32 v3, vcc, v16, v3, vcc
	v_add_u32_e32 v0, s1, v0
	global_store_dword v[2:3], v17, off
	v_lshlrev_b64 v[2:3], 2, v[0:1]
	v_add_u32_e32 v0, s1, v0
	v_add_co_u32_e32 v17, vcc, s0, v2
	v_addc_co_u32_e32 v18, vcc, v5, v3, vcc
	v_add_co_u32_e32 v2, vcc, s2, v2
	v_addc_co_u32_e32 v3, vcc, v6, v3, vcc
	global_load_dword v17, v[17:18], off
	s_nop 0
	global_load_dword v2, v[2:3], off
	s_waitcnt vmcnt(0)
	v_sub_f32_e32 v2, v17, v2
	v_lshlrev_b64 v[17:18], 2, v[0:1]
	v_add_f32_e32 v2, v7, v2
	v_add_co_u32_e32 v19, vcc, s0, v17
	v_addc_co_u32_e32 v20, vcc, v5, v18, vcc
	v_add_co_u32_e32 v5, vcc, s2, v17
	v_addc_co_u32_e32 v6, vcc, v6, v18, vcc
	global_load_dword v3, v[19:20], off
	v_sub_f32_e32 v2, v2, v10
	global_load_dword v5, v[5:6], off
	v_add_u32_e32 v0, s12, v0
	v_lshlrev_b64 v[0:1], 2, v[0:1]
	v_add_co_u32_e32 v0, vcc, s8, v0
	v_addc_co_u32_e32 v1, vcc, v16, v1, vcc
	s_waitcnt vmcnt(0)
	v_sub_f32_e32 v3, v3, v5
	v_sub_f32_e32 v2, v2, v3
	;; [unrolled: 1-line block ×4, first 2 shown]
	v_add_f32_e32 v2, v9, v2
	v_sub_f32_e32 v2, v2, v11
	v_sub_f32_e32 v2, v2, v12
	v_add_f32_e32 v2, v13, v2
	v_sub_f32_e32 v2, v2, v14
	v_add_f32_e32 v2, v15, v2
	v_mul_f32_e32 v2, s7, v2
	v_mul_f32_e32 v2, s5, v2
	global_store_dword v[0:1], v2, off
	s_endpgm
	.section	.rodata,"a",@progbits
	.p2align	6, 0x0
	.amdhsa_kernel _Z14rdwdot8_kernelIfEvPKT_S2_PS0_S0_S2_
		.amdhsa_group_segment_fixed_size 0
		.amdhsa_private_segment_fixed_size 0
		.amdhsa_kernarg_size 296
		.amdhsa_user_sgpr_count 6
		.amdhsa_user_sgpr_private_segment_buffer 1
		.amdhsa_user_sgpr_dispatch_ptr 0
		.amdhsa_user_sgpr_queue_ptr 0
		.amdhsa_user_sgpr_kernarg_segment_ptr 1
		.amdhsa_user_sgpr_dispatch_id 0
		.amdhsa_user_sgpr_flat_scratch_init 0
		.amdhsa_user_sgpr_private_segment_size 0
		.amdhsa_uses_dynamic_stack 0
		.amdhsa_system_sgpr_private_segment_wavefront_offset 0
		.amdhsa_system_sgpr_workgroup_id_x 1
		.amdhsa_system_sgpr_workgroup_id_y 0
		.amdhsa_system_sgpr_workgroup_id_z 0
		.amdhsa_system_sgpr_workgroup_info 0
		.amdhsa_system_vgpr_workitem_id 0
		.amdhsa_next_free_vgpr 21
		.amdhsa_next_free_sgpr 16
		.amdhsa_reserve_vcc 1
		.amdhsa_reserve_flat_scratch 0
		.amdhsa_float_round_mode_32 0
		.amdhsa_float_round_mode_16_64 0
		.amdhsa_float_denorm_mode_32 3
		.amdhsa_float_denorm_mode_16_64 3
		.amdhsa_dx10_clamp 1
		.amdhsa_ieee_mode 1
		.amdhsa_fp16_overflow 0
		.amdhsa_exception_fp_ieee_invalid_op 0
		.amdhsa_exception_fp_denorm_src 0
		.amdhsa_exception_fp_ieee_div_zero 0
		.amdhsa_exception_fp_ieee_overflow 0
		.amdhsa_exception_fp_ieee_underflow 0
		.amdhsa_exception_fp_ieee_inexact 0
		.amdhsa_exception_int_div_zero 0
	.end_amdhsa_kernel
	.section	.text._Z14rdwdot8_kernelIfEvPKT_S2_PS0_S0_S2_,"axG",@progbits,_Z14rdwdot8_kernelIfEvPKT_S2_PS0_S0_S2_,comdat
.Lfunc_end24:
	.size	_Z14rdwdot8_kernelIfEvPKT_S2_PS0_S0_S2_, .Lfunc_end24-_Z14rdwdot8_kernelIfEvPKT_S2_PS0_S0_S2_
                                        ; -- End function
	.set _Z14rdwdot8_kernelIfEvPKT_S2_PS0_S0_S2_.num_vgpr, 21
	.set _Z14rdwdot8_kernelIfEvPKT_S2_PS0_S0_S2_.num_agpr, 0
	.set _Z14rdwdot8_kernelIfEvPKT_S2_PS0_S0_S2_.numbered_sgpr, 16
	.set _Z14rdwdot8_kernelIfEvPKT_S2_PS0_S0_S2_.num_named_barrier, 0
	.set _Z14rdwdot8_kernelIfEvPKT_S2_PS0_S0_S2_.private_seg_size, 0
	.set _Z14rdwdot8_kernelIfEvPKT_S2_PS0_S0_S2_.uses_vcc, 1
	.set _Z14rdwdot8_kernelIfEvPKT_S2_PS0_S0_S2_.uses_flat_scratch, 0
	.set _Z14rdwdot8_kernelIfEvPKT_S2_PS0_S0_S2_.has_dyn_sized_stack, 0
	.set _Z14rdwdot8_kernelIfEvPKT_S2_PS0_S0_S2_.has_recursion, 0
	.set _Z14rdwdot8_kernelIfEvPKT_S2_PS0_S0_S2_.has_indirect_call, 0
	.section	.AMDGPU.csdata,"",@progbits
; Kernel info:
; codeLenInByte = 2760
; TotalNumSgprs: 20
; NumVgprs: 21
; ScratchSize: 0
; MemoryBound: 0
; FloatMode: 240
; IeeeMode: 1
; LDSByteSize: 0 bytes/workgroup (compile time only)
; SGPRBlocks: 2
; VGPRBlocks: 5
; NumSGPRsForWavesPerEU: 20
; NumVGPRsForWavesPerEU: 21
; Occupancy: 10
; WaveLimiterHint : 0
; COMPUTE_PGM_RSRC2:SCRATCH_EN: 0
; COMPUTE_PGM_RSRC2:USER_SGPR: 6
; COMPUTE_PGM_RSRC2:TRAP_HANDLER: 0
; COMPUTE_PGM_RSRC2:TGID_X_EN: 1
; COMPUTE_PGM_RSRC2:TGID_Y_EN: 0
; COMPUTE_PGM_RSRC2:TGID_Z_EN: 0
; COMPUTE_PGM_RSRC2:TIDIG_COMP_CNT: 0
	.section	.text._Z14rdwdot9_kernelIfEvPKT_S2_PS0_S0_S2_,"axG",@progbits,_Z14rdwdot9_kernelIfEvPKT_S2_PS0_S0_S2_,comdat
	.protected	_Z14rdwdot9_kernelIfEvPKT_S2_PS0_S0_S2_ ; -- Begin function _Z14rdwdot9_kernelIfEvPKT_S2_PS0_S0_S2_
	.globl	_Z14rdwdot9_kernelIfEvPKT_S2_PS0_S0_S2_
	.p2align	8
	.type	_Z14rdwdot9_kernelIfEvPKT_S2_PS0_S0_S2_,@function
_Z14rdwdot9_kernelIfEvPKT_S2_PS0_S0_S2_: ; @_Z14rdwdot9_kernelIfEvPKT_S2_PS0_S0_S2_
; %bb.0:
	s_load_dwordx4 s[0:3], s[4:5], 0x0
	s_load_dwordx2 s[8:9], s[4:5], 0x10
	s_load_dword s7, s[4:5], 0x18
	s_load_dwordx2 s[10:11], s[4:5], 0x20
	s_load_dword s12, s[4:5], 0x28
	s_load_dword s13, s[4:5], 0x34
	s_waitcnt lgkmcnt(0)
	v_mov_b32_e32 v2, s1
	s_and_b32 s5, s13, 0xffff
	s_mul_i32 s6, s6, s5
	s_mul_i32 s4, s12, s5
	v_add_u32_e32 v5, s6, v0
	v_mad_u64_u32 v[0:1], s[12:13], s4, 26, v[5:6]
	v_mov_b32_e32 v1, 0
	s_mul_i32 s12, s4, 5
	v_lshlrev_b64 v[3:4], 2, v[0:1]
	v_add_u32_e32 v0, s4, v0
	v_add_co_u32_e32 v6, vcc, s0, v3
	v_addc_co_u32_e32 v7, vcc, v2, v4, vcc
	global_load_dword v8, v[6:7], off
	v_add_co_u32_e32 v6, vcc, s2, v3
	v_mov_b32_e32 v3, s3
	v_addc_co_u32_e32 v7, vcc, v3, v4, vcc
	global_load_dword v4, v[6:7], off
	v_lshlrev_b64 v[6:7], 2, v[0:1]
	s_mul_i32 s1, s4, 6
	s_mul_i32 s5, s4, 3
	s_lshl_b32 s6, s4, 2
	s_lshl_b32 s3, s4, 1
	;; [unrolled: 1-line block ×3, first 2 shown]
	s_waitcnt vmcnt(0)
	v_sub_f32_e32 v4, v8, v4
	v_add_co_u32_e32 v8, vcc, s0, v6
	v_addc_co_u32_e32 v9, vcc, v2, v7, vcc
	v_add_co_u32_e32 v6, vcc, s2, v6
	v_addc_co_u32_e32 v7, vcc, v3, v7, vcc
	global_load_dword v0, v[8:9], off
	s_nop 0
	global_load_dword v6, v[6:7], off
	s_waitcnt vmcnt(0)
	v_sub_f32_e32 v0, v0, v6
	v_mov_b32_e32 v6, v1
	v_lshlrev_b64 v[6:7], 2, v[5:6]
	v_add_f32_e32 v4, v4, v0
	v_add_co_u32_e32 v8, vcc, s0, v6
	v_addc_co_u32_e32 v9, vcc, v2, v7, vcc
	v_add_co_u32_e32 v6, vcc, s2, v6
	v_addc_co_u32_e32 v7, vcc, v3, v7, vcc
	global_load_dword v0, v[8:9], off
	s_nop 0
	global_load_dword v6, v[6:7], off
	s_waitcnt vmcnt(0)
	v_sub_f32_e32 v9, v0, v6
	v_add_u32_e32 v0, s4, v5
	v_lshlrev_b64 v[5:6], 2, v[0:1]
	v_add_u32_e32 v0, s4, v0
	v_add_co_u32_e32 v7, vcc, s0, v5
	v_addc_co_u32_e32 v8, vcc, v2, v6, vcc
	v_add_co_u32_e32 v5, vcc, s2, v5
	v_addc_co_u32_e32 v6, vcc, v3, v6, vcc
	global_load_dword v7, v[7:8], off
	s_nop 0
	global_load_dword v5, v[5:6], off
	s_waitcnt vmcnt(0)
	v_sub_f32_e32 v5, v7, v5
	v_add_f32_e32 v9, v9, v5
	v_lshlrev_b64 v[5:6], 2, v[0:1]
	v_add_u32_e32 v0, s4, v0
	v_add_co_u32_e32 v7, vcc, s0, v5
	v_addc_co_u32_e32 v8, vcc, v2, v6, vcc
	v_add_co_u32_e32 v5, vcc, s2, v5
	v_addc_co_u32_e32 v6, vcc, v3, v6, vcc
	global_load_dword v7, v[7:8], off
	s_nop 0
	global_load_dword v5, v[5:6], off
	s_waitcnt vmcnt(0)
	v_sub_f32_e32 v5, v7, v5
	v_sub_f32_e32 v9, v9, v5
	v_lshlrev_b64 v[5:6], 2, v[0:1]
	v_add_u32_e32 v0, s12, v0
	v_add_co_u32_e32 v7, vcc, s0, v5
	v_addc_co_u32_e32 v8, vcc, v2, v6, vcc
	v_add_co_u32_e32 v5, vcc, s2, v5
	v_addc_co_u32_e32 v6, vcc, v3, v6, vcc
	global_load_dword v7, v[7:8], off
	s_nop 0
	global_load_dword v5, v[5:6], off
	s_waitcnt vmcnt(0)
	v_sub_f32_e32 v5, v7, v5
	v_sub_f32_e32 v6, v9, v5
	;; [unrolled: 1-line block ×3, first 2 shown]
	v_lshlrev_b64 v[5:6], 2, v[0:1]
	v_add_u32_e32 v0, s4, v0
	v_add_co_u32_e32 v7, vcc, s0, v5
	v_addc_co_u32_e32 v8, vcc, v2, v6, vcc
	v_add_co_u32_e32 v5, vcc, s2, v5
	v_addc_co_u32_e32 v6, vcc, v3, v6, vcc
	global_load_dword v7, v[7:8], off
	s_nop 0
	global_load_dword v5, v[5:6], off
	s_waitcnt vmcnt(0)
	v_sub_f32_e32 v5, v7, v5
	v_sub_f32_e32 v9, v9, v5
	v_lshlrev_b64 v[5:6], 2, v[0:1]
	v_add_u32_e32 v0, s1, v0
	v_add_co_u32_e32 v7, vcc, s0, v5
	v_addc_co_u32_e32 v8, vcc, v2, v6, vcc
	v_add_co_u32_e32 v5, vcc, s2, v5
	v_addc_co_u32_e32 v6, vcc, v3, v6, vcc
	global_load_dword v7, v[7:8], off
	s_nop 0
	global_load_dword v5, v[5:6], off
	s_waitcnt vmcnt(0)
	v_sub_f32_e32 v5, v7, v5
	v_add_f32_e32 v9, v9, v5
	v_lshlrev_b64 v[5:6], 2, v[0:1]
	v_add_u32_e32 v0, s5, v0
	v_add_co_u32_e32 v7, vcc, s0, v5
	v_addc_co_u32_e32 v8, vcc, v2, v6, vcc
	v_add_co_u32_e32 v5, vcc, s2, v5
	v_addc_co_u32_e32 v6, vcc, v3, v6, vcc
	global_load_dword v7, v[7:8], off
	s_nop 0
	global_load_dword v5, v[5:6], off
	s_waitcnt vmcnt(0)
	v_sub_f32_e32 v5, v7, v5
	v_sub_f32_e32 v6, v9, v5
	;; [unrolled: 1-line block ×3, first 2 shown]
	v_lshlrev_b64 v[5:6], 2, v[0:1]
	v_add_u32_e32 v0, s4, v0
	v_add_co_u32_e32 v7, vcc, s0, v5
	v_addc_co_u32_e32 v8, vcc, v2, v6, vcc
	v_add_co_u32_e32 v5, vcc, s2, v5
	v_addc_co_u32_e32 v6, vcc, v3, v6, vcc
	global_load_dword v7, v[7:8], off
	s_nop 0
	global_load_dword v5, v[5:6], off
	s_waitcnt vmcnt(0)
	v_sub_f32_e32 v5, v7, v5
	v_add_f32_e32 v6, v9, v5
	v_add_f32_e32 v9, v5, v6
	v_lshlrev_b64 v[5:6], 2, v[0:1]
	v_add_u32_e32 v0, s4, v0
	v_add_co_u32_e32 v7, vcc, s0, v5
	v_addc_co_u32_e32 v8, vcc, v2, v6, vcc
	v_add_co_u32_e32 v5, vcc, s2, v5
	v_addc_co_u32_e32 v6, vcc, v3, v6, vcc
	global_load_dword v7, v[7:8], off
	s_nop 0
	global_load_dword v5, v[5:6], off
	s_waitcnt vmcnt(0)
	v_sub_f32_e32 v5, v7, v5
	v_add_f32_e32 v9, v9, v5
	v_lshlrev_b64 v[5:6], 2, v[0:1]
	v_add_u32_e32 v0, s6, v0
	v_add_co_u32_e32 v7, vcc, s0, v5
	v_addc_co_u32_e32 v8, vcc, v2, v6, vcc
	v_add_co_u32_e32 v5, vcc, s2, v5
	v_addc_co_u32_e32 v6, vcc, v3, v6, vcc
	global_load_dword v7, v[7:8], off
	s_nop 0
	global_load_dword v5, v[5:6], off
	s_waitcnt vmcnt(0)
	v_sub_f32_e32 v5, v7, v5
	v_sub_f32_e32 v9, v9, v5
	v_lshlrev_b64 v[5:6], 2, v[0:1]
	v_add_u32_e32 v0, s4, v0
	v_add_co_u32_e32 v7, vcc, s0, v5
	v_addc_co_u32_e32 v8, vcc, v2, v6, vcc
	v_add_co_u32_e32 v5, vcc, s2, v5
	v_addc_co_u32_e32 v6, vcc, v3, v6, vcc
	global_load_dword v7, v[7:8], off
	s_nop 0
	global_load_dword v5, v[5:6], off
	s_waitcnt vmcnt(0)
	v_sub_f32_e32 v5, v7, v5
	v_add_f32_e32 v9, v9, v5
	v_lshlrev_b64 v[5:6], 2, v[0:1]
	v_add_u32_e32 v0, s6, v0
	v_add_co_u32_e32 v7, vcc, s0, v5
	v_addc_co_u32_e32 v8, vcc, v2, v6, vcc
	v_add_co_u32_e32 v5, vcc, s2, v5
	v_addc_co_u32_e32 v6, vcc, v3, v6, vcc
	global_load_dword v7, v[7:8], off
	s_nop 0
	global_load_dword v5, v[5:6], off
	s_waitcnt vmcnt(0)
	v_sub_f32_e32 v5, v7, v5
	v_add_f32_e32 v5, v9, v5
	v_sub_f32_e32 v8, v5, v4
	v_lshlrev_b64 v[4:5], 2, v[0:1]
	v_add_u32_e32 v0, s5, v0
	v_add_co_u32_e32 v6, vcc, s0, v4
	v_addc_co_u32_e32 v7, vcc, v2, v5, vcc
	v_add_co_u32_e32 v4, vcc, s2, v4
	v_addc_co_u32_e32 v5, vcc, v3, v5, vcc
	global_load_dword v6, v[6:7], off
	s_nop 0
	global_load_dword v4, v[4:5], off
	s_waitcnt vmcnt(0)
	v_sub_f32_e32 v4, v6, v4
	v_sub_f32_e32 v8, v8, v4
	v_lshlrev_b64 v[4:5], 2, v[0:1]
	v_add_u32_e32 v0, s3, v0
	v_add_co_u32_e32 v6, vcc, s0, v4
	v_addc_co_u32_e32 v7, vcc, v2, v5, vcc
	v_add_co_u32_e32 v4, vcc, s2, v4
	v_addc_co_u32_e32 v5, vcc, v3, v5, vcc
	global_load_dword v6, v[6:7], off
	s_nop 0
	global_load_dword v4, v[4:5], off
	s_waitcnt vmcnt(0)
	v_sub_f32_e32 v4, v6, v4
	v_add_f32_e32 v8, v8, v4
	v_lshlrev_b64 v[4:5], 2, v[0:1]
	v_add_u32_e32 v0, s13, v0
	v_add_co_u32_e32 v6, vcc, s0, v4
	v_addc_co_u32_e32 v7, vcc, v2, v5, vcc
	v_add_co_u32_e32 v4, vcc, s2, v4
	v_addc_co_u32_e32 v5, vcc, v3, v5, vcc
	global_load_dword v6, v[6:7], off
	s_nop 0
	global_load_dword v4, v[4:5], off
	s_waitcnt vmcnt(0)
	v_sub_f32_e32 v4, v6, v4
	v_sub_f32_e32 v8, v8, v4
	v_lshlrev_b64 v[4:5], 2, v[0:1]
	v_add_u32_e32 v0, s3, v0
	v_add_co_u32_e32 v6, vcc, s0, v4
	v_addc_co_u32_e32 v7, vcc, v2, v5, vcc
	v_add_co_u32_e32 v4, vcc, s2, v4
	v_addc_co_u32_e32 v5, vcc, v3, v5, vcc
	global_load_dword v6, v[6:7], off
	s_nop 0
	global_load_dword v4, v[4:5], off
	s_waitcnt vmcnt(0)
	v_sub_f32_e32 v4, v6, v4
	v_add_f32_e32 v8, v8, v4
	;; [unrolled: 24-line block ×3, first 2 shown]
	v_lshlrev_b64 v[4:5], 2, v[0:1]
	v_add_u32_e32 v0, s4, v0
	v_add_co_u32_e32 v6, vcc, s0, v4
	v_addc_co_u32_e32 v7, vcc, v2, v5, vcc
	v_add_co_u32_e32 v4, vcc, s2, v4
	v_addc_co_u32_e32 v5, vcc, v3, v5, vcc
	global_load_dword v6, v[6:7], off
	s_nop 0
	global_load_dword v4, v[4:5], off
	s_waitcnt vmcnt(0)
	v_sub_f32_e32 v4, v6, v4
	v_sub_f32_e32 v8, v8, v4
	v_lshlrev_b64 v[4:5], 2, v[0:1]
	v_add_u32_e32 v0, s4, v0
	v_add_co_u32_e32 v6, vcc, s0, v4
	v_addc_co_u32_e32 v7, vcc, v2, v5, vcc
	v_add_co_u32_e32 v4, vcc, s2, v4
	v_addc_co_u32_e32 v5, vcc, v3, v5, vcc
	global_load_dword v6, v[6:7], off
	s_nop 0
	global_load_dword v4, v[4:5], off
	s_waitcnt vmcnt(0)
	v_sub_f32_e32 v4, v6, v4
	v_sub_f32_e32 v8, v8, v4
	v_lshlrev_b64 v[4:5], 2, v[0:1]
	v_add_u32_e32 v0, s13, v0
	v_add_co_u32_e32 v6, vcc, s0, v4
	v_addc_co_u32_e32 v7, vcc, v2, v5, vcc
	v_add_co_u32_e32 v4, vcc, s2, v4
	v_addc_co_u32_e32 v5, vcc, v3, v5, vcc
	global_load_dword v6, v[6:7], off
	s_nop 0
	global_load_dword v4, v[4:5], off
	s_waitcnt vmcnt(0)
	v_sub_f32_e32 v4, v6, v4
	v_add_f32_e32 v8, v8, v4
	v_lshlrev_b64 v[4:5], 2, v[0:1]
	v_add_u32_e32 v0, s3, v0
	v_add_co_u32_e32 v6, vcc, s0, v4
	v_addc_co_u32_e32 v7, vcc, v2, v5, vcc
	v_add_co_u32_e32 v4, vcc, s2, v4
	v_addc_co_u32_e32 v5, vcc, v3, v5, vcc
	global_load_dword v6, v[6:7], off
	s_nop 0
	global_load_dword v4, v[4:5], off
	s_waitcnt vmcnt(0)
	v_sub_f32_e32 v4, v6, v4
	v_sub_f32_e32 v8, v8, v4
	v_lshlrev_b64 v[4:5], 2, v[0:1]
	v_add_u32_e32 v0, s13, v0
	v_add_co_u32_e32 v6, vcc, s0, v4
	v_addc_co_u32_e32 v7, vcc, v2, v5, vcc
	v_add_co_u32_e32 v4, vcc, s2, v4
	v_addc_co_u32_e32 v5, vcc, v3, v5, vcc
	global_load_dword v6, v[6:7], off
	s_nop 0
	global_load_dword v4, v[4:5], off
	s_waitcnt vmcnt(0)
	v_sub_f32_e32 v4, v6, v4
	v_add_f32_e32 v8, v8, v4
	v_lshlrev_b64 v[4:5], 2, v[0:1]
	v_add_u32_e32 v0, s4, v0
	v_add_co_u32_e32 v6, vcc, s0, v4
	v_addc_co_u32_e32 v7, vcc, v2, v5, vcc
	v_add_co_u32_e32 v4, vcc, s2, v4
	v_addc_co_u32_e32 v5, vcc, v3, v5, vcc
	global_load_dword v6, v[6:7], off
	s_nop 0
	global_load_dword v4, v[4:5], off
	s_waitcnt vmcnt(0)
	v_sub_f32_e32 v4, v6, v4
	v_add_f32_e32 v8, v8, v4
	v_lshlrev_b64 v[4:5], 2, v[0:1]
	v_add_u32_e32 v0, s1, v0
	v_add_co_u32_e32 v6, vcc, s0, v4
	v_addc_co_u32_e32 v7, vcc, v2, v5, vcc
	v_add_co_u32_e32 v4, vcc, s2, v4
	v_addc_co_u32_e32 v5, vcc, v3, v5, vcc
	global_load_dword v6, v[6:7], off
	s_nop 0
	global_load_dword v4, v[4:5], off
	s_waitcnt vmcnt(0)
	v_sub_f32_e32 v4, v6, v4
	v_sub_f32_e32 v8, v8, v4
	v_lshlrev_b64 v[4:5], 2, v[0:1]
	v_add_u32_e32 v0, s4, v0
	v_add_co_u32_e32 v6, vcc, s0, v4
	v_addc_co_u32_e32 v7, vcc, v2, v5, vcc
	v_add_co_u32_e32 v4, vcc, s2, v4
	v_addc_co_u32_e32 v5, vcc, v3, v5, vcc
	global_load_dword v6, v[6:7], off
	s_nop 0
	global_load_dword v4, v[4:5], off
	s_waitcnt vmcnt(0)
	v_sub_f32_e32 v4, v6, v4
	v_sub_f32_e32 v8, v8, v4
	;; [unrolled: 12-line block ×3, first 2 shown]
	v_lshlrev_b64 v[4:5], 2, v[0:1]
	v_add_u32_e32 v0, s3, v0
	v_add_co_u32_e32 v6, vcc, s0, v4
	v_addc_co_u32_e32 v7, vcc, v2, v5, vcc
	v_add_co_u32_e32 v4, vcc, s2, v4
	v_addc_co_u32_e32 v5, vcc, v3, v5, vcc
	global_load_dword v6, v[6:7], off
	s_nop 0
	global_load_dword v4, v[4:5], off
	s_waitcnt vmcnt(0)
	v_sub_f32_e32 v4, v6, v4
	v_add_f32_e32 v8, v8, v4
	v_lshlrev_b64 v[4:5], 2, v[0:1]
	v_add_co_u32_e32 v6, vcc, s0, v4
	v_addc_co_u32_e32 v7, vcc, v2, v5, vcc
	v_add_co_u32_e32 v4, vcc, s2, v4
	v_addc_co_u32_e32 v5, vcc, v3, v5, vcc
	global_load_dword v6, v[6:7], off
	s_nop 0
	global_load_dword v4, v[4:5], off
	s_waitcnt vmcnt(0)
	v_sub_f32_e32 v4, v6, v4
	v_add_f32_e32 v9, v8, v4
	v_mad_u64_u32 v[4:5], s[14:15], s4, 12, v[0:1]
	v_mov_b32_e32 v5, v1
	v_lshlrev_b64 v[5:6], 2, v[4:5]
	v_add_co_u32_e32 v7, vcc, s0, v5
	v_addc_co_u32_e32 v8, vcc, v2, v6, vcc
	v_add_co_u32_e32 v5, vcc, s2, v5
	v_addc_co_u32_e32 v6, vcc, v3, v6, vcc
	global_load_dword v0, v[7:8], off
	s_nop 0
	global_load_dword v5, v[5:6], off
	s_waitcnt vmcnt(0)
	v_sub_f32_e32 v0, v0, v5
	v_add_f32_e32 v8, v9, v0
	v_add_u32_e32 v0, s3, v4
	v_lshlrev_b64 v[4:5], 2, v[0:1]
	v_add_u32_e32 v0, s4, v0
	v_add_co_u32_e32 v6, vcc, s0, v4
	v_addc_co_u32_e32 v7, vcc, v2, v5, vcc
	v_add_co_u32_e32 v4, vcc, s2, v4
	v_addc_co_u32_e32 v5, vcc, v3, v5, vcc
	global_load_dword v6, v[6:7], off
	s_nop 0
	global_load_dword v4, v[4:5], off
	s_waitcnt vmcnt(0)
	v_sub_f32_e32 v4, v6, v4
	v_add_f32_e32 v8, v8, v4
	v_lshlrev_b64 v[4:5], 2, v[0:1]
	v_add_u32_e32 v0, s5, v0
	v_add_co_u32_e32 v6, vcc, s0, v4
	v_addc_co_u32_e32 v7, vcc, v2, v5, vcc
	v_add_co_u32_e32 v4, vcc, s2, v4
	v_addc_co_u32_e32 v5, vcc, v3, v5, vcc
	global_load_dword v6, v[6:7], off
	s_nop 0
	global_load_dword v4, v[4:5], off
	s_waitcnt vmcnt(0)
	v_sub_f32_e32 v4, v6, v4
	v_sub_f32_e32 v8, v8, v4
	v_lshlrev_b64 v[4:5], 2, v[0:1]
	v_add_u32_e32 v0, s4, v0
	v_add_co_u32_e32 v6, vcc, s0, v4
	v_addc_co_u32_e32 v7, vcc, v2, v5, vcc
	v_add_co_u32_e32 v4, vcc, s2, v4
	v_addc_co_u32_e32 v5, vcc, v3, v5, vcc
	global_load_dword v6, v[6:7], off
	s_nop 0
	global_load_dword v4, v[4:5], off
	s_waitcnt vmcnt(0)
	v_sub_f32_e32 v4, v6, v4
	v_add_f32_e32 v8, v8, v4
	v_lshlrev_b64 v[4:5], 2, v[0:1]
	v_add_u32_e32 v0, s1, v0
	v_add_co_u32_e32 v6, vcc, s0, v4
	v_addc_co_u32_e32 v7, vcc, v2, v5, vcc
	v_add_co_u32_e32 v4, vcc, s2, v4
	v_addc_co_u32_e32 v5, vcc, v3, v5, vcc
	global_load_dword v6, v[6:7], off
	s_nop 0
	global_load_dword v4, v[4:5], off
	s_waitcnt vmcnt(0)
	v_sub_f32_e32 v4, v6, v4
	v_sub_f32_e32 v8, v8, v4
	;; [unrolled: 24-line block ×3, first 2 shown]
	v_lshlrev_b64 v[4:5], 2, v[0:1]
	v_add_u32_e32 v0, s12, v0
	v_add_co_u32_e32 v6, vcc, s0, v4
	v_addc_co_u32_e32 v7, vcc, v2, v5, vcc
	v_add_co_u32_e32 v4, vcc, s2, v4
	v_addc_co_u32_e32 v5, vcc, v3, v5, vcc
	global_load_dword v6, v[6:7], off
	s_nop 0
	global_load_dword v4, v[4:5], off
	s_waitcnt vmcnt(0)
	v_sub_f32_e32 v4, v6, v4
	v_sub_f32_e32 v8, v8, v4
	v_lshlrev_b64 v[4:5], 2, v[0:1]
	v_add_u32_e32 v0, s12, v0
	v_add_co_u32_e32 v6, vcc, s0, v4
	v_addc_co_u32_e32 v7, vcc, v2, v5, vcc
	v_add_co_u32_e32 v4, vcc, s2, v4
	v_addc_co_u32_e32 v5, vcc, v3, v5, vcc
	global_load_dword v6, v[6:7], off
	s_nop 0
	global_load_dword v4, v[4:5], off
	s_waitcnt vmcnt(0)
	v_sub_f32_e32 v4, v6, v4
	v_sub_f32_e32 v8, v8, v4
	v_lshlrev_b64 v[4:5], 2, v[0:1]
	v_add_u32_e32 v0, s3, v0
	v_add_co_u32_e32 v6, vcc, s0, v4
	v_addc_co_u32_e32 v7, vcc, v2, v5, vcc
	v_add_co_u32_e32 v4, vcc, s2, v4
	v_addc_co_u32_e32 v5, vcc, v3, v5, vcc
	global_load_dword v6, v[6:7], off
	s_nop 0
	global_load_dword v4, v[4:5], off
	s_waitcnt vmcnt(0)
	v_sub_f32_e32 v4, v6, v4
	v_add_f32_e32 v8, v8, v4
	v_lshlrev_b64 v[4:5], 2, v[0:1]
	v_add_u32_e32 v0, s1, v0
	v_add_co_u32_e32 v6, vcc, s0, v4
	v_addc_co_u32_e32 v7, vcc, v2, v5, vcc
	v_add_co_u32_e32 v4, vcc, s2, v4
	v_addc_co_u32_e32 v5, vcc, v3, v5, vcc
	global_load_dword v6, v[6:7], off
	s_nop 0
	global_load_dword v4, v[4:5], off
	s_waitcnt vmcnt(0)
	v_sub_f32_e32 v4, v6, v4
	v_sub_f32_e32 v8, v8, v4
	v_lshlrev_b64 v[4:5], 2, v[0:1]
	v_add_u32_e32 v0, s6, v0
	v_add_co_u32_e32 v6, vcc, s0, v4
	v_addc_co_u32_e32 v7, vcc, v2, v5, vcc
	v_add_co_u32_e32 v4, vcc, s2, v4
	v_addc_co_u32_e32 v5, vcc, v3, v5, vcc
	global_load_dword v6, v[6:7], off
	s_nop 0
	global_load_dword v4, v[4:5], off
	s_waitcnt vmcnt(0)
	v_sub_f32_e32 v4, v6, v4
	v_sub_f32_e32 v8, v8, v4
	v_lshlrev_b64 v[4:5], 2, v[0:1]
	v_add_co_u32_e32 v6, vcc, s0, v4
	v_addc_co_u32_e32 v7, vcc, v2, v5, vcc
	v_add_co_u32_e32 v4, vcc, s2, v4
	v_addc_co_u32_e32 v5, vcc, v3, v5, vcc
	global_load_dword v6, v[6:7], off
	s_nop 0
	global_load_dword v4, v[4:5], off
	s_waitcnt vmcnt(0)
	v_sub_f32_e32 v4, v6, v4
	v_add_f32_e32 v9, v8, v4
	v_mad_u64_u32 v[4:5], s[12:13], s4, 10, v[0:1]
	v_mov_b32_e32 v5, v1
	v_lshlrev_b64 v[5:6], 2, v[4:5]
	v_add_co_u32_e32 v7, vcc, s0, v5
	v_addc_co_u32_e32 v8, vcc, v2, v6, vcc
	v_add_co_u32_e32 v5, vcc, s2, v5
	v_addc_co_u32_e32 v6, vcc, v3, v6, vcc
	global_load_dword v0, v[7:8], off
	s_nop 0
	global_load_dword v5, v[5:6], off
	s_waitcnt vmcnt(0)
	v_sub_f32_e32 v0, v0, v5
	v_add_f32_e32 v8, v9, v0
	v_add_u32_e32 v0, s4, v4
	v_lshlrev_b64 v[4:5], 2, v[0:1]
	v_add_u32_e32 v0, s3, v0
	v_add_co_u32_e32 v6, vcc, s0, v4
	v_addc_co_u32_e32 v7, vcc, v2, v5, vcc
	v_add_co_u32_e32 v4, vcc, s2, v4
	v_addc_co_u32_e32 v5, vcc, v3, v5, vcc
	global_load_dword v6, v[6:7], off
	s_nop 0
	global_load_dword v4, v[4:5], off
	s_waitcnt vmcnt(0)
	v_sub_f32_e32 v4, v6, v4
	v_sub_f32_e32 v8, v8, v4
	v_lshlrev_b64 v[4:5], 2, v[0:1]
	v_add_u32_e32 v0, s6, v0
	v_add_co_u32_e32 v6, vcc, s0, v4
	v_addc_co_u32_e32 v7, vcc, v2, v5, vcc
	v_add_co_u32_e32 v4, vcc, s2, v4
	v_addc_co_u32_e32 v5, vcc, v3, v5, vcc
	global_load_dword v6, v[6:7], off
	s_nop 0
	global_load_dword v4, v[4:5], off
	s_waitcnt vmcnt(0)
	v_sub_f32_e32 v4, v6, v4
	v_add_f32_e32 v8, v8, v4
	v_lshlrev_b64 v[4:5], 2, v[0:1]
	v_add_u32_e32 v0, s5, v0
	v_add_co_u32_e32 v6, vcc, s0, v4
	v_addc_co_u32_e32 v7, vcc, v2, v5, vcc
	v_add_co_u32_e32 v4, vcc, s2, v4
	v_addc_co_u32_e32 v5, vcc, v3, v5, vcc
	global_load_dword v6, v[6:7], off
	s_nop 0
	global_load_dword v4, v[4:5], off
	s_waitcnt vmcnt(0)
	v_sub_f32_e32 v4, v6, v4
	v_add_f32_e32 v8, v8, v4
	v_lshlrev_b64 v[4:5], 2, v[0:1]
	v_add_u32_e32 v0, s3, v0
	v_add_co_u32_e32 v6, vcc, s0, v4
	v_addc_co_u32_e32 v7, vcc, v2, v5, vcc
	v_add_co_u32_e32 v4, vcc, s2, v4
	v_addc_co_u32_e32 v5, vcc, v3, v5, vcc
	global_load_dword v6, v[6:7], off
	s_nop 0
	global_load_dword v4, v[4:5], off
	s_waitcnt vmcnt(0)
	v_sub_f32_e32 v4, v6, v4
	v_sub_f32_e32 v8, v8, v4
	v_lshlrev_b64 v[4:5], 2, v[0:1]
	v_add_co_u32_e32 v6, vcc, s0, v4
	v_addc_co_u32_e32 v7, vcc, v2, v5, vcc
	v_add_co_u32_e32 v4, vcc, s2, v4
	v_addc_co_u32_e32 v5, vcc, v3, v5, vcc
	global_load_dword v6, v[6:7], off
	s_nop 0
	global_load_dword v4, v[4:5], off
	s_waitcnt vmcnt(0)
	v_sub_f32_e32 v4, v6, v4
	v_add_f32_e32 v9, v8, v4
	v_mad_u64_u32 v[4:5], s[12:13], s4, 14, v[0:1]
	v_mov_b32_e32 v5, v1
	v_lshlrev_b64 v[5:6], 2, v[4:5]
	v_add_co_u32_e32 v7, vcc, s0, v5
	v_addc_co_u32_e32 v8, vcc, v2, v6, vcc
	v_add_co_u32_e32 v5, vcc, s2, v5
	v_addc_co_u32_e32 v6, vcc, v3, v6, vcc
	global_load_dword v0, v[7:8], off
	s_nop 0
	global_load_dword v5, v[5:6], off
	s_waitcnt vmcnt(0)
	v_sub_f32_e32 v0, v0, v5
	v_add_f32_e32 v8, v9, v0
	v_add_u32_e32 v0, s6, v4
	v_lshlrev_b64 v[4:5], 2, v[0:1]
	v_add_u32_e32 v0, s4, v0
	v_add_co_u32_e32 v6, vcc, s0, v4
	v_addc_co_u32_e32 v7, vcc, v2, v5, vcc
	v_add_co_u32_e32 v4, vcc, s2, v4
	v_addc_co_u32_e32 v5, vcc, v3, v5, vcc
	global_load_dword v6, v[6:7], off
	s_nop 0
	global_load_dword v4, v[4:5], off
	s_waitcnt vmcnt(0)
	v_sub_f32_e32 v4, v6, v4
	v_add_f32_e32 v8, v8, v4
	v_lshlrev_b64 v[4:5], 2, v[0:1]
	v_add_u32_e32 v0, s1, v0
	v_add_co_u32_e32 v6, vcc, s0, v4
	v_addc_co_u32_e32 v7, vcc, v2, v5, vcc
	v_add_co_u32_e32 v4, vcc, s2, v4
	v_addc_co_u32_e32 v5, vcc, v3, v5, vcc
	global_load_dword v6, v[6:7], off
	s_nop 0
	global_load_dword v4, v[4:5], off
	s_waitcnt vmcnt(0)
	v_sub_f32_e32 v4, v6, v4
	v_sub_f32_e32 v8, v8, v4
	v_lshlrev_b64 v[4:5], 2, v[0:1]
	v_add_co_u32_e32 v6, vcc, s0, v4
	v_addc_co_u32_e32 v7, vcc, v2, v5, vcc
	v_add_co_u32_e32 v4, vcc, s2, v4
	v_addc_co_u32_e32 v5, vcc, v3, v5, vcc
	global_load_dword v6, v[6:7], off
	s_nop 0
	global_load_dword v4, v[4:5], off
	s_waitcnt vmcnt(0)
	v_sub_f32_e32 v4, v6, v4
	v_add_f32_e32 v9, v8, v4
	v_mad_u64_u32 v[4:5], s[12:13], s4, 7, v[0:1]
	v_mov_b32_e32 v5, v1
	v_lshlrev_b64 v[5:6], 2, v[4:5]
	v_add_co_u32_e32 v7, vcc, s0, v5
	v_addc_co_u32_e32 v8, vcc, v2, v6, vcc
	v_add_co_u32_e32 v5, vcc, s2, v5
	v_addc_co_u32_e32 v6, vcc, v3, v6, vcc
	global_load_dword v0, v[7:8], off
	s_nop 0
	global_load_dword v5, v[5:6], off
	s_waitcnt vmcnt(0)
	v_sub_f32_e32 v0, v0, v5
	v_add_f32_e32 v8, v9, v0
	v_add_u32_e32 v0, s4, v4
	v_lshlrev_b64 v[4:5], 2, v[0:1]
	v_add_u32_e32 v0, s1, v0
	v_add_co_u32_e32 v6, vcc, s0, v4
	v_addc_co_u32_e32 v7, vcc, v2, v5, vcc
	v_add_co_u32_e32 v4, vcc, s2, v4
	v_addc_co_u32_e32 v5, vcc, v3, v5, vcc
	global_load_dword v6, v[6:7], off
	s_mulk_i32 s4, 0xff39
	global_load_dword v4, v[4:5], off
	s_waitcnt vmcnt(0)
	v_sub_f32_e32 v4, v6, v4
	v_sub_f32_e32 v8, v8, v4
	v_lshlrev_b64 v[4:5], 2, v[0:1]
	v_add_u32_e32 v0, s3, v0
	v_add_co_u32_e32 v6, vcc, s0, v4
	v_addc_co_u32_e32 v7, vcc, v2, v5, vcc
	v_add_co_u32_e32 v4, vcc, s2, v4
	v_addc_co_u32_e32 v5, vcc, v3, v5, vcc
	global_load_dword v6, v[6:7], off
	s_nop 0
	global_load_dword v4, v[4:5], off
	s_waitcnt vmcnt(0)
	v_sub_f32_e32 v4, v6, v4
	v_lshlrev_b64 v[6:7], 2, v[0:1]
	v_sub_f32_e32 v4, v8, v4
	v_add_co_u32_e32 v8, vcc, s0, v6
	v_addc_co_u32_e32 v9, vcc, v2, v7, vcc
	v_add_co_u32_e32 v2, vcc, s2, v6
	v_addc_co_u32_e32 v3, vcc, v3, v7, vcc
	global_load_dword v5, v[8:9], off
	s_load_dword s0, s[10:11], 0x10
	global_load_dword v2, v[2:3], off
	v_add_u32_e32 v0, s4, v0
	v_lshlrev_b64 v[0:1], 2, v[0:1]
	v_mov_b32_e32 v3, s9
	v_add_co_u32_e32 v0, vcc, s8, v0
	v_addc_co_u32_e32 v1, vcc, v3, v1, vcc
	s_waitcnt vmcnt(0)
	v_sub_f32_e32 v2, v5, v2
	v_add_f32_e32 v2, v4, v2
	v_mul_f32_e32 v2, s7, v2
	s_waitcnt lgkmcnt(0)
	v_mul_f32_e32 v2, s0, v2
	global_store_dword v[0:1], v2, off
	s_endpgm
	.section	.rodata,"a",@progbits
	.p2align	6, 0x0
	.amdhsa_kernel _Z14rdwdot9_kernelIfEvPKT_S2_PS0_S0_S2_
		.amdhsa_group_segment_fixed_size 0
		.amdhsa_private_segment_fixed_size 0
		.amdhsa_kernarg_size 296
		.amdhsa_user_sgpr_count 6
		.amdhsa_user_sgpr_private_segment_buffer 1
		.amdhsa_user_sgpr_dispatch_ptr 0
		.amdhsa_user_sgpr_queue_ptr 0
		.amdhsa_user_sgpr_kernarg_segment_ptr 1
		.amdhsa_user_sgpr_dispatch_id 0
		.amdhsa_user_sgpr_flat_scratch_init 0
		.amdhsa_user_sgpr_private_segment_size 0
		.amdhsa_uses_dynamic_stack 0
		.amdhsa_system_sgpr_private_segment_wavefront_offset 0
		.amdhsa_system_sgpr_workgroup_id_x 1
		.amdhsa_system_sgpr_workgroup_id_y 0
		.amdhsa_system_sgpr_workgroup_id_z 0
		.amdhsa_system_sgpr_workgroup_info 0
		.amdhsa_system_vgpr_workitem_id 0
		.amdhsa_next_free_vgpr 10
		.amdhsa_next_free_sgpr 16
		.amdhsa_reserve_vcc 1
		.amdhsa_reserve_flat_scratch 0
		.amdhsa_float_round_mode_32 0
		.amdhsa_float_round_mode_16_64 0
		.amdhsa_float_denorm_mode_32 3
		.amdhsa_float_denorm_mode_16_64 3
		.amdhsa_dx10_clamp 1
		.amdhsa_ieee_mode 1
		.amdhsa_fp16_overflow 0
		.amdhsa_exception_fp_ieee_invalid_op 0
		.amdhsa_exception_fp_denorm_src 0
		.amdhsa_exception_fp_ieee_div_zero 0
		.amdhsa_exception_fp_ieee_overflow 0
		.amdhsa_exception_fp_ieee_underflow 0
		.amdhsa_exception_fp_ieee_inexact 0
		.amdhsa_exception_int_div_zero 0
	.end_amdhsa_kernel
	.section	.text._Z14rdwdot9_kernelIfEvPKT_S2_PS0_S0_S2_,"axG",@progbits,_Z14rdwdot9_kernelIfEvPKT_S2_PS0_S0_S2_,comdat
.Lfunc_end25:
	.size	_Z14rdwdot9_kernelIfEvPKT_S2_PS0_S0_S2_, .Lfunc_end25-_Z14rdwdot9_kernelIfEvPKT_S2_PS0_S0_S2_
                                        ; -- End function
	.set _Z14rdwdot9_kernelIfEvPKT_S2_PS0_S0_S2_.num_vgpr, 10
	.set _Z14rdwdot9_kernelIfEvPKT_S2_PS0_S0_S2_.num_agpr, 0
	.set _Z14rdwdot9_kernelIfEvPKT_S2_PS0_S0_S2_.numbered_sgpr, 16
	.set _Z14rdwdot9_kernelIfEvPKT_S2_PS0_S0_S2_.num_named_barrier, 0
	.set _Z14rdwdot9_kernelIfEvPKT_S2_PS0_S0_S2_.private_seg_size, 0
	.set _Z14rdwdot9_kernelIfEvPKT_S2_PS0_S0_S2_.uses_vcc, 1
	.set _Z14rdwdot9_kernelIfEvPKT_S2_PS0_S0_S2_.uses_flat_scratch, 0
	.set _Z14rdwdot9_kernelIfEvPKT_S2_PS0_S0_S2_.has_dyn_sized_stack, 0
	.set _Z14rdwdot9_kernelIfEvPKT_S2_PS0_S0_S2_.has_recursion, 0
	.set _Z14rdwdot9_kernelIfEvPKT_S2_PS0_S0_S2_.has_indirect_call, 0
	.section	.AMDGPU.csdata,"",@progbits
; Kernel info:
; codeLenInByte = 3680
; TotalNumSgprs: 20
; NumVgprs: 10
; ScratchSize: 0
; MemoryBound: 0
; FloatMode: 240
; IeeeMode: 1
; LDSByteSize: 0 bytes/workgroup (compile time only)
; SGPRBlocks: 2
; VGPRBlocks: 2
; NumSGPRsForWavesPerEU: 20
; NumVGPRsForWavesPerEU: 10
; Occupancy: 10
; WaveLimiterHint : 0
; COMPUTE_PGM_RSRC2:SCRATCH_EN: 0
; COMPUTE_PGM_RSRC2:USER_SGPR: 6
; COMPUTE_PGM_RSRC2:TRAP_HANDLER: 0
; COMPUTE_PGM_RSRC2:TGID_X_EN: 1
; COMPUTE_PGM_RSRC2:TGID_Y_EN: 0
; COMPUTE_PGM_RSRC2:TGID_Z_EN: 0
; COMPUTE_PGM_RSRC2:TIDIG_COMP_CNT: 0
	.section	.text._Z15rdwdot10_kernelIfEvPKT_S2_PS0_S0_S2_,"axG",@progbits,_Z15rdwdot10_kernelIfEvPKT_S2_PS0_S0_S2_,comdat
	.protected	_Z15rdwdot10_kernelIfEvPKT_S2_PS0_S0_S2_ ; -- Begin function _Z15rdwdot10_kernelIfEvPKT_S2_PS0_S0_S2_
	.globl	_Z15rdwdot10_kernelIfEvPKT_S2_PS0_S0_S2_
	.p2align	8
	.type	_Z15rdwdot10_kernelIfEvPKT_S2_PS0_S0_S2_,@function
_Z15rdwdot10_kernelIfEvPKT_S2_PS0_S0_S2_: ; @_Z15rdwdot10_kernelIfEvPKT_S2_PS0_S0_S2_
; %bb.0:
	s_load_dwordx4 s[0:3], s[4:5], 0x0
	s_load_dwordx2 s[8:9], s[4:5], 0x10
	s_load_dword s7, s[4:5], 0x18
	s_load_dwordx2 s[10:11], s[4:5], 0x20
	s_load_dword s12, s[4:5], 0x28
	s_load_dword s13, s[4:5], 0x34
	v_mov_b32_e32 v3, 0
	s_waitcnt lgkmcnt(0)
	v_mov_b32_e32 v39, s1
	v_mov_b32_e32 v40, s3
	s_load_dword s21, s[10:11], 0x0
	s_and_b32 s5, s13, 0xffff
	s_mul_i32 s12, s12, s5
	s_mul_i32 s6, s6, s5
	;; [unrolled: 1-line block ×3, first 2 shown]
	v_add_u32_e32 v8, s6, v0
	v_add_u32_e32 v2, s4, v8
	v_lshlrev_b64 v[0:1], 2, v[2:3]
	v_add_u32_e32 v2, s12, v2
	v_add_co_u32_e32 v4, vcc, s0, v0
	v_addc_co_u32_e32 v5, vcc, v39, v1, vcc
	v_add_co_u32_e32 v0, vcc, s2, v0
	v_addc_co_u32_e32 v1, vcc, v40, v1, vcc
	global_load_dword v4, v[4:5], off
	s_mul_i32 s5, s12, 7
	global_load_dword v0, v[0:1], off
	s_lshl_b32 s1, s12, 2
	s_mul_i32 s3, s12, 0xffffffe9
	s_mul_i32 s6, s12, 15
	s_mul_i32 s19, s12, 5
	s_mul_i32 s13, s12, 9
	s_lshl_b32 s14, s12, 1
	s_mul_i32 s20, s12, 3
	s_lshl_b32 s15, s12, 3
	s_mul_i32 s18, s12, 12
	v_mov_b32_e32 v38, s9
	s_mul_i32 s9, s12, 0xffffff3c
	s_waitcnt vmcnt(0)
	v_sub_f32_e32 v6, v4, v0
	v_lshlrev_b64 v[0:1], 2, v[2:3]
	v_add_u32_e32 v2, s12, v2
	v_add_co_u32_e32 v4, vcc, s0, v0
	v_addc_co_u32_e32 v5, vcc, v39, v1, vcc
	v_add_co_u32_e32 v0, vcc, s2, v0
	v_addc_co_u32_e32 v1, vcc, v40, v1, vcc
	global_load_dword v4, v[4:5], off
	s_nop 0
	global_load_dword v0, v[0:1], off
	s_waitcnt vmcnt(0)
	v_sub_f32_e32 v0, v4, v0
	v_add_f32_e32 v6, v6, v0
	v_lshlrev_b64 v[0:1], 2, v[2:3]
	v_add_u32_e32 v2, s12, v2
	v_add_co_u32_e32 v4, vcc, s0, v0
	v_addc_co_u32_e32 v5, vcc, v39, v1, vcc
	v_add_co_u32_e32 v0, vcc, s2, v0
	v_addc_co_u32_e32 v1, vcc, v40, v1, vcc
	global_load_dword v4, v[4:5], off
	s_nop 0
	global_load_dword v0, v[0:1], off
	s_waitcnt vmcnt(0)
	v_sub_f32_e32 v0, v4, v0
	v_add_f32_e32 v6, v6, v0
	;; [unrolled: 12-line block ×3, first 2 shown]
	v_lshlrev_b64 v[0:1], 2, v[2:3]
	v_add_u32_e32 v2, s12, v2
	v_add_co_u32_e32 v4, vcc, s0, v0
	v_addc_co_u32_e32 v5, vcc, v39, v1, vcc
	v_add_co_u32_e32 v0, vcc, s2, v0
	v_addc_co_u32_e32 v1, vcc, v40, v1, vcc
	global_load_dword v4, v[4:5], off
	s_nop 0
	global_load_dword v0, v[0:1], off
	s_waitcnt vmcnt(0)
	v_sub_f32_e32 v6, v4, v0
	v_lshlrev_b64 v[0:1], 2, v[2:3]
	v_add_u32_e32 v2, s1, v2
	v_add_co_u32_e32 v4, vcc, s0, v0
	v_addc_co_u32_e32 v5, vcc, v39, v1, vcc
	v_add_co_u32_e32 v0, vcc, s2, v0
	v_addc_co_u32_e32 v1, vcc, v40, v1, vcc
	global_load_dword v4, v[4:5], off
	s_nop 0
	global_load_dword v0, v[0:1], off
	s_waitcnt vmcnt(0)
	v_sub_f32_e32 v0, v4, v0
	v_add_f32_e32 v42, v6, v0
	v_lshlrev_b64 v[0:1], 2, v[2:3]
	v_add_u32_e32 v2, s12, v2
	v_add_co_u32_e32 v4, vcc, s0, v0
	v_addc_co_u32_e32 v5, vcc, v39, v1, vcc
	v_add_co_u32_e32 v0, vcc, s2, v0
	v_addc_co_u32_e32 v1, vcc, v40, v1, vcc
	global_load_dword v4, v[4:5], off
	s_nop 0
	global_load_dword v0, v[0:1], off
	s_waitcnt vmcnt(0)
	v_sub_f32_e32 v6, v4, v0
	v_lshlrev_b64 v[0:1], 2, v[2:3]
	v_add_u32_e32 v2, s3, v2
	v_add_co_u32_e32 v4, vcc, s0, v0
	v_addc_co_u32_e32 v5, vcc, v39, v1, vcc
	v_add_co_u32_e32 v0, vcc, s2, v0
	v_addc_co_u32_e32 v1, vcc, v40, v1, vcc
	global_load_dword v4, v[4:5], off
	s_mul_i32 s3, s12, 6
	global_load_dword v0, v[0:1], off
	s_waitcnt vmcnt(0)
	v_sub_f32_e32 v0, v4, v0
	v_add_f32_e32 v41, v6, v0
	v_lshlrev_b64 v[0:1], 2, v[2:3]
	v_add_u32_e32 v2, s12, v2
	v_add_co_u32_e32 v4, vcc, s0, v0
	v_addc_co_u32_e32 v5, vcc, v39, v1, vcc
	v_add_co_u32_e32 v0, vcc, s2, v0
	v_addc_co_u32_e32 v1, vcc, v40, v1, vcc
	global_load_dword v4, v[4:5], off
	s_nop 0
	global_load_dword v0, v[0:1], off
	s_waitcnt vmcnt(0)
	v_sub_f32_e32 v6, v4, v0
	v_lshlrev_b64 v[0:1], 2, v[2:3]
	v_add_u32_e32 v2, s12, v2
	v_add_co_u32_e32 v4, vcc, s0, v0
	v_addc_co_u32_e32 v5, vcc, v39, v1, vcc
	global_load_dword v7, v[4:5], off
	v_add_co_u32_e32 v4, vcc, s2, v0
	v_addc_co_u32_e32 v5, vcc, v40, v1, vcc
	global_load_dword v4, v[4:5], off
	s_waitcnt vmcnt(0)
	v_sub_f32_e32 v4, v7, v4
	v_add_f32_e32 v9, v6, v4
	v_lshlrev_b64 v[4:5], 2, v[2:3]
	v_add_u32_e32 v2, s12, v2
	v_add_co_u32_e32 v6, vcc, s0, v4
	v_addc_co_u32_e32 v7, vcc, v39, v5, vcc
	v_add_co_u32_e32 v4, vcc, s2, v4
	v_addc_co_u32_e32 v5, vcc, v40, v5, vcc
	global_load_dword v6, v[6:7], off
	s_nop 0
	global_load_dword v4, v[4:5], off
	s_waitcnt vmcnt(0)
	v_sub_f32_e32 v4, v6, v4
	v_add_f32_e32 v9, v9, v4
	v_lshlrev_b64 v[4:5], 2, v[2:3]
	v_add_co_u32_e32 v6, vcc, s0, v4
	v_addc_co_u32_e32 v7, vcc, v39, v5, vcc
	v_add_co_u32_e32 v4, vcc, s2, v4
	v_addc_co_u32_e32 v5, vcc, v40, v5, vcc
	global_load_dword v2, v[6:7], off
	s_nop 0
	global_load_dword v4, v[4:5], off
	s_waitcnt vmcnt(0)
	v_sub_f32_e32 v2, v2, v4
	v_add_f32_e32 v9, v9, v2
	v_add_u32_e32 v2, s12, v8
	v_lshlrev_b64 v[4:5], 2, v[2:3]
	v_add_u32_e32 v2, s12, v2
	v_add_co_u32_e32 v6, vcc, s0, v4
	v_addc_co_u32_e32 v7, vcc, v39, v5, vcc
	v_add_co_u32_e32 v4, vcc, s2, v4
	v_addc_co_u32_e32 v5, vcc, v40, v5, vcc
	global_load_dword v6, v[6:7], off
	v_lshlrev_b64 v[16:17], 2, v[2:3]
	global_load_dword v4, v[4:5], off
	v_add_u32_e32 v2, s6, v2
	s_waitcnt vmcnt(0)
	v_sub_f32_e32 v11, v6, v4
	v_add_co_u32_e32 v6, vcc, s0, v16
	v_addc_co_u32_e32 v7, vcc, v39, v17, vcc
	v_add_co_u32_e32 v4, vcc, s2, v16
	v_addc_co_u32_e32 v5, vcc, v40, v17, vcc
	global_load_dword v10, v[6:7], off
	global_load_dword v12, v[4:5], off
	s_waitcnt vmcnt(0)
	v_sub_f32_e32 v10, v10, v12
	v_sub_f32_e64 v10, -v11, v10
	v_add_f32_e32 v14, v9, v10
	v_lshlrev_b64 v[9:10], 2, v[2:3]
	v_add_u32_e32 v2, s3, v2
	v_add_co_u32_e32 v12, vcc, s0, v9
	v_addc_co_u32_e32 v13, vcc, v39, v10, vcc
	v_add_co_u32_e32 v9, vcc, s2, v9
	v_addc_co_u32_e32 v10, vcc, v40, v10, vcc
	global_load_dword v12, v[12:13], off
	s_nop 0
	global_load_dword v9, v[9:10], off
	s_waitcnt vmcnt(0)
	v_sub_f32_e32 v19, v12, v9
	v_lshlrev_b64 v[9:10], 2, v[2:3]
	v_add_f32_e32 v14, v14, v19
	v_add_co_u32_e32 v12, vcc, s0, v9
	v_addc_co_u32_e32 v13, vcc, v39, v10, vcc
	v_add_co_u32_e32 v9, vcc, s2, v9
	v_addc_co_u32_e32 v10, vcc, v40, v10, vcc
	global_load_dword v12, v[12:13], off
	v_add_u32_e32 v2, s5, v2
	global_load_dword v9, v[9:10], off
	s_waitcnt vmcnt(0)
	v_sub_f32_e32 v9, v12, v9
	v_add_f32_e32 v14, v14, v9
	v_lshlrev_b64 v[9:10], 2, v[2:3]
	v_add_u32_e32 v2, s19, v2
	v_add_co_u32_e32 v12, vcc, s0, v9
	v_addc_co_u32_e32 v13, vcc, v39, v10, vcc
	v_add_co_u32_e32 v9, vcc, s2, v9
	v_addc_co_u32_e32 v10, vcc, v40, v10, vcc
	global_load_dword v12, v[12:13], off
	s_nop 0
	global_load_dword v9, v[9:10], off
	s_waitcnt vmcnt(0)
	v_sub_f32_e32 v9, v12, v9
	v_sub_f32_e32 v14, v14, v9
	v_lshlrev_b64 v[9:10], 2, v[2:3]
	v_add_u32_e32 v2, s3, v2
	v_add_co_u32_e32 v12, vcc, s0, v9
	v_addc_co_u32_e32 v13, vcc, v39, v10, vcc
	v_add_co_u32_e32 v9, vcc, s2, v9
	v_addc_co_u32_e32 v10, vcc, v40, v10, vcc
	global_load_dword v12, v[12:13], off
	s_nop 0
	global_load_dword v9, v[9:10], off
	s_waitcnt vmcnt(0)
	v_sub_f32_e32 v9, v12, v9
	v_sub_f32_e32 v14, v14, v9
	v_lshlrev_b64 v[9:10], 2, v[2:3]
	v_add_u32_e32 v2, s5, v2
	v_add_co_u32_e32 v12, vcc, s0, v9
	v_addc_co_u32_e32 v13, vcc, v39, v10, vcc
	v_add_co_u32_e32 v9, vcc, s2, v9
	v_addc_co_u32_e32 v10, vcc, v40, v10, vcc
	global_load_dword v12, v[12:13], off
	s_nop 0
	global_load_dword v9, v[9:10], off
	s_waitcnt vmcnt(0)
	v_sub_f32_e32 v9, v12, v9
	v_add_f32_e32 v14, v14, v9
	v_lshlrev_b64 v[9:10], 2, v[2:3]
	v_add_u32_e32 v2, s13, v2
	v_add_co_u32_e32 v12, vcc, s0, v9
	v_addc_co_u32_e32 v13, vcc, v39, v10, vcc
	v_add_co_u32_e32 v9, vcc, s2, v9
	v_addc_co_u32_e32 v10, vcc, v40, v10, vcc
	global_load_dword v12, v[12:13], off
	s_nop 0
	global_load_dword v9, v[9:10], off
	s_waitcnt vmcnt(0)
	v_sub_f32_e32 v9, v12, v9
	v_sub_f32_e32 v14, v14, v9
	v_lshlrev_b64 v[9:10], 2, v[2:3]
	v_add_u32_e32 v2, s14, v2
	v_add_co_u32_e32 v12, vcc, s0, v9
	v_addc_co_u32_e32 v13, vcc, v39, v10, vcc
	v_add_co_u32_e32 v9, vcc, s2, v9
	v_addc_co_u32_e32 v10, vcc, v40, v10, vcc
	global_load_dword v12, v[12:13], off
	s_nop 0
	global_load_dword v9, v[9:10], off
	s_waitcnt vmcnt(0)
	v_sub_f32_e32 v9, v12, v9
	v_add_f32_e32 v14, v14, v9
	v_lshlrev_b64 v[9:10], 2, v[2:3]
	v_add_u32_e32 v2, s12, v2
	v_add_co_u32_e32 v12, vcc, s0, v9
	v_addc_co_u32_e32 v13, vcc, v39, v10, vcc
	v_add_co_u32_e32 v9, vcc, s2, v9
	v_addc_co_u32_e32 v10, vcc, v40, v10, vcc
	global_load_dword v12, v[12:13], off
	s_nop 0
	global_load_dword v9, v[9:10], off
	s_waitcnt vmcnt(0)
	v_sub_f32_e32 v9, v12, v9
	v_add_f32_e32 v14, v14, v9
	v_lshlrev_b64 v[9:10], 2, v[2:3]
	v_add_u32_e32 v2, s20, v2
	v_add_co_u32_e32 v12, vcc, s0, v9
	v_addc_co_u32_e32 v13, vcc, v39, v10, vcc
	v_add_co_u32_e32 v9, vcc, s2, v9
	v_addc_co_u32_e32 v10, vcc, v40, v10, vcc
	global_load_dword v12, v[12:13], off
	s_nop 0
	global_load_dword v9, v[9:10], off
	s_waitcnt vmcnt(0)
	v_sub_f32_e32 v30, v12, v9
	v_lshlrev_b64 v[9:10], 2, v[2:3]
	v_add_f32_e32 v14, v14, v30
	v_add_co_u32_e32 v12, vcc, s0, v9
	v_addc_co_u32_e32 v13, vcc, v39, v10, vcc
	v_add_co_u32_e32 v9, vcc, s2, v9
	v_addc_co_u32_e32 v10, vcc, v40, v10, vcc
	global_load_dword v12, v[12:13], off
	v_add_u32_e32 v2, s15, v2
	global_load_dword v9, v[9:10], off
	s_waitcnt vmcnt(0)
	v_sub_f32_e32 v9, v12, v9
	v_sub_f32_e32 v14, v14, v9
	v_lshlrev_b64 v[9:10], 2, v[2:3]
	v_add_co_u32_e32 v12, vcc, s0, v9
	v_addc_co_u32_e32 v13, vcc, v39, v10, vcc
	v_add_co_u32_e32 v9, vcc, s2, v9
	v_addc_co_u32_e32 v10, vcc, v40, v10, vcc
	global_load_dword v12, v[12:13], off
	s_nop 0
	global_load_dword v9, v[9:10], off
	s_waitcnt vmcnt(0)
	v_sub_f32_e32 v9, v12, v9
	v_add_f32_e32 v20, v14, v9
	v_mad_u64_u32 v[9:10], s[16:17], s12, 24, v[2:3]
	v_mov_b32_e32 v10, v3
	v_lshlrev_b64 v[12:13], 2, v[9:10]
	v_add_co_u32_e32 v14, vcc, s0, v12
	v_addc_co_u32_e32 v15, vcc, v39, v13, vcc
	v_add_co_u32_e32 v12, vcc, s2, v12
	v_addc_co_u32_e32 v13, vcc, v40, v13, vcc
	global_load_dword v2, v[14:15], off
	global_load_dword v10, v[12:13], off
	s_waitcnt vmcnt(0)
	v_sub_f32_e32 v2, v2, v10
	v_add_f32_e32 v14, v20, v2
	v_add_u32_e32 v2, s3, v9
	v_lshlrev_b64 v[9:10], 2, v[2:3]
	v_add_co_u32_e32 v12, vcc, s0, v9
	v_addc_co_u32_e32 v13, vcc, v39, v10, vcc
	v_add_co_u32_e32 v9, vcc, s2, v9
	v_addc_co_u32_e32 v10, vcc, v40, v10, vcc
	global_load_dword v12, v[12:13], off
	s_nop 0
	global_load_dword v9, v[9:10], off
	s_waitcnt vmcnt(0)
	v_sub_f32_e32 v9, v12, v9
	v_add_f32_e32 v20, v14, v9
	v_mad_u64_u32 v[9:10], s[16:17], s12, 25, v[2:3]
	v_mov_b32_e32 v10, v3
	s_lshl_b32 s17, s12, 4
	v_lshlrev_b64 v[12:13], 2, v[9:10]
	s_mul_i32 s16, s12, 14
	v_add_co_u32_e32 v14, vcc, s0, v12
	v_addc_co_u32_e32 v15, vcc, v39, v13, vcc
	v_add_co_u32_e32 v12, vcc, s2, v12
	v_addc_co_u32_e32 v13, vcc, v40, v13, vcc
	global_load_dword v2, v[14:15], off
	global_load_dword v10, v[12:13], off
	s_waitcnt vmcnt(0)
	v_sub_f32_e32 v2, v2, v10
	v_add_f32_e32 v14, v20, v2
	v_add_u32_e32 v2, s3, v9
	v_lshlrev_b64 v[9:10], 2, v[2:3]
	v_add_u32_e32 v2, s12, v2
	v_add_co_u32_e32 v12, vcc, s0, v9
	v_addc_co_u32_e32 v13, vcc, v39, v10, vcc
	v_add_co_u32_e32 v9, vcc, s2, v9
	v_addc_co_u32_e32 v10, vcc, v40, v10, vcc
	global_load_dword v12, v[12:13], off
	s_nop 0
	global_load_dword v9, v[9:10], off
	s_waitcnt vmcnt(0)
	v_sub_f32_e32 v9, v12, v9
	v_add_f32_e32 v14, v14, v9
	v_lshlrev_b64 v[9:10], 2, v[2:3]
	v_add_u32_e32 v2, s17, v2
	v_add_co_u32_e32 v12, vcc, s0, v9
	v_addc_co_u32_e32 v13, vcc, v39, v10, vcc
	v_add_co_u32_e32 v9, vcc, s2, v9
	v_addc_co_u32_e32 v10, vcc, v40, v10, vcc
	global_load_dword v12, v[12:13], off
	s_nop 0
	global_load_dword v9, v[9:10], off
	s_waitcnt vmcnt(0)
	v_sub_f32_e32 v9, v12, v9
	v_add_f32_e32 v14, v14, v9
	;; [unrolled: 12-line block ×8, first 2 shown]
	v_lshlrev_b64 v[9:10], 2, v[2:3]
	v_add_u32_e32 v2, s9, v2
	v_add_co_u32_e32 v13, vcc, s0, v9
	v_addc_co_u32_e32 v14, vcc, v39, v10, vcc
	v_add_co_u32_e32 v9, vcc, s2, v9
	v_addc_co_u32_e32 v10, vcc, v40, v10, vcc
	global_load_dword v13, v[13:14], off
	v_lshlrev_b64 v[24:25], 2, v[2:3]
	global_load_dword v9, v[9:10], off
	v_add_u32_e32 v2, s3, v2
	s_mul_i32 s9, s12, 17
	s_waitcnt vmcnt(0)
	v_sub_f32_e32 v9, v13, v9
	v_add_f32_e32 v9, v12, v9
	v_mul_f32_e32 v9, s7, v9
	s_waitcnt lgkmcnt(0)
	v_mul_f32_e32 v10, s21, v9
	v_mov_b32_e32 v9, v3
	v_lshlrev_b64 v[8:9], 2, v[8:9]
	v_add_co_u32_e32 v12, vcc, s8, v8
	v_addc_co_u32_e32 v13, vcc, v38, v9, vcc
	global_store_dword v[12:13], v10, off
	v_add_co_u32_e32 v12, vcc, s0, v8
	v_addc_co_u32_e32 v13, vcc, v39, v9, vcc
	v_add_co_u32_e32 v8, vcc, s2, v8
	v_addc_co_u32_e32 v9, vcc, v40, v9, vcc
	global_load_dword v10, v[12:13], off
	s_nop 0
	global_load_dword v8, v[8:9], off
	s_waitcnt vmcnt(0)
	v_sub_f32_e32 v43, v10, v8
	v_add_co_u32_e32 v8, vcc, s0, v24
	v_addc_co_u32_e32 v9, vcc, v39, v25, vcc
	v_add_co_u32_e32 v10, vcc, s2, v24
	v_sub_f32_e32 v12, v43, v11
	v_addc_co_u32_e32 v11, vcc, v40, v25, vcc
	global_load_dword v13, v[8:9], off
	global_load_dword v14, v[10:11], off
	s_waitcnt vmcnt(0)
	v_sub_f32_e32 v13, v13, v14
	v_add_f32_e32 v20, v12, v13
	v_lshlrev_b64 v[12:13], 2, v[2:3]
	v_add_u32_e32 v2, s12, v2
	v_add_co_u32_e32 v14, vcc, s0, v12
	v_addc_co_u32_e32 v15, vcc, v39, v13, vcc
	v_add_co_u32_e32 v12, vcc, s2, v12
	v_addc_co_u32_e32 v13, vcc, v40, v13, vcc
	global_load_dword v14, v[14:15], off
	s_nop 0
	global_load_dword v12, v[12:13], off
	s_waitcnt vmcnt(0)
	v_sub_f32_e32 v12, v14, v12
	v_sub_f32_e32 v20, v20, v12
	v_lshlrev_b64 v[12:13], 2, v[2:3]
	v_add_u32_e32 v2, s3, v2
	v_add_co_u32_e32 v14, vcc, s0, v12
	v_addc_co_u32_e32 v15, vcc, v39, v13, vcc
	v_add_co_u32_e32 v12, vcc, s2, v12
	v_addc_co_u32_e32 v13, vcc, v40, v13, vcc
	global_load_dword v14, v[14:15], off
	s_nop 0
	global_load_dword v12, v[12:13], off
	s_waitcnt vmcnt(0)
	v_sub_f32_e32 v44, v14, v12
	v_lshlrev_b64 v[14:15], 2, v[2:3]
	v_sub_f32_e32 v12, v20, v44
	v_sub_f32_e32 v20, v12, v44
	v_add_co_u32_e32 v12, vcc, s0, v14
	v_addc_co_u32_e32 v13, vcc, v39, v15, vcc
	v_add_co_u32_e32 v14, vcc, s2, v14
	v_addc_co_u32_e32 v15, vcc, v40, v15, vcc
	global_load_dword v21, v[12:13], off
	global_load_dword v22, v[14:15], off
	v_add_u32_e32 v2, s20, v2
	s_waitcnt vmcnt(0)
	v_sub_f32_e32 v21, v21, v22
	v_add_f32_e32 v26, v20, v21
	v_lshlrev_b64 v[20:21], 2, v[2:3]
	v_add_u32_e32 v2, s3, v2
	v_add_co_u32_e32 v22, vcc, s0, v20
	v_addc_co_u32_e32 v23, vcc, v39, v21, vcc
	v_add_co_u32_e32 v20, vcc, s2, v20
	v_addc_co_u32_e32 v21, vcc, v40, v21, vcc
	global_load_dword v22, v[22:23], off
	s_nop 0
	global_load_dword v20, v[20:21], off
	s_waitcnt vmcnt(0)
	v_sub_f32_e32 v45, v22, v20
	v_lshlrev_b64 v[20:21], 2, v[2:3]
	v_sub_f32_e32 v26, v26, v45
	v_add_co_u32_e32 v22, vcc, s0, v20
	v_addc_co_u32_e32 v23, vcc, v39, v21, vcc
	v_add_co_u32_e32 v20, vcc, s2, v20
	v_addc_co_u32_e32 v21, vcc, v40, v21, vcc
	global_load_dword v22, v[22:23], off
	v_add_u32_e32 v2, s20, v2
	global_load_dword v20, v[20:21], off
	s_waitcnt vmcnt(0)
	v_sub_f32_e32 v20, v22, v20
	v_sub_f32_e32 v26, v26, v20
	v_lshlrev_b64 v[20:21], 2, v[2:3]
	v_add_u32_e32 v2, s20, v2
	v_add_co_u32_e32 v22, vcc, s0, v20
	v_addc_co_u32_e32 v23, vcc, v39, v21, vcc
	v_add_co_u32_e32 v20, vcc, s2, v20
	v_addc_co_u32_e32 v21, vcc, v40, v21, vcc
	global_load_dword v22, v[22:23], off
	s_nop 0
	global_load_dword v20, v[20:21], off
	s_waitcnt vmcnt(0)
	v_sub_f32_e32 v20, v22, v20
	v_lshlrev_b64 v[22:23], 2, v[2:3]
	v_sub_f32_e32 v26, v26, v20
	v_add_co_u32_e32 v20, vcc, s0, v22
	v_addc_co_u32_e32 v21, vcc, v39, v23, vcc
	v_add_co_u32_e32 v22, vcc, s2, v22
	v_addc_co_u32_e32 v23, vcc, v40, v23, vcc
	global_load_dword v27, v[20:21], off
	global_load_dword v28, v[22:23], off
	v_add_u32_e32 v2, s14, v2
	s_waitcnt vmcnt(0)
	v_sub_f32_e32 v27, v27, v28
	v_add_f32_e32 v31, v26, v27
	v_lshlrev_b64 v[26:27], 2, v[2:3]
	v_add_u32_e32 v2, s1, v2
	v_add_co_u32_e32 v28, vcc, s0, v26
	v_addc_co_u32_e32 v29, vcc, v39, v27, vcc
	v_add_co_u32_e32 v26, vcc, s2, v26
	v_addc_co_u32_e32 v27, vcc, v40, v27, vcc
	global_load_dword v28, v[28:29], off
	s_nop 0
	global_load_dword v26, v[26:27], off
	s_waitcnt vmcnt(0)
	v_sub_f32_e32 v26, v28, v26
	v_lshlrev_b64 v[28:29], 2, v[2:3]
	v_sub_f32_e32 v31, v31, v26
	v_add_co_u32_e32 v26, vcc, s0, v28
	v_addc_co_u32_e32 v27, vcc, v39, v29, vcc
	v_add_co_u32_e32 v28, vcc, s2, v28
	v_addc_co_u32_e32 v29, vcc, v40, v29, vcc
	global_load_dword v32, v[26:27], off
	global_load_dword v33, v[28:29], off
	v_add_u32_e32 v2, s19, v2
	s_waitcnt vmcnt(0)
	v_sub_f32_e32 v32, v32, v33
	v_add_f32_e32 v35, v31, v32
	v_lshlrev_b64 v[31:32], 2, v[2:3]
	v_add_u32_e32 v2, s12, v2
	v_add_co_u32_e32 v33, vcc, s0, v31
	v_addc_co_u32_e32 v34, vcc, v39, v32, vcc
	v_add_co_u32_e32 v31, vcc, s2, v31
	v_addc_co_u32_e32 v32, vcc, v40, v32, vcc
	global_load_dword v33, v[33:34], off
	s_nop 0
	global_load_dword v31, v[31:32], off
	s_waitcnt vmcnt(0)
	v_sub_f32_e32 v31, v33, v31
	v_sub_f32_e32 v35, v35, v31
	v_lshlrev_b64 v[31:32], 2, v[2:3]
	v_add_u32_e32 v2, s3, v2
	v_add_co_u32_e32 v33, vcc, s0, v31
	v_addc_co_u32_e32 v34, vcc, v39, v32, vcc
	v_add_co_u32_e32 v31, vcc, s2, v31
	v_addc_co_u32_e32 v32, vcc, v40, v32, vcc
	global_load_dword v33, v[33:34], off
	s_nop 0
	global_load_dword v31, v[31:32], off
	s_waitcnt vmcnt(0)
	v_sub_f32_e32 v31, v33, v31
	v_sub_f32_e32 v35, v35, v31
	;; [unrolled: 12-line block ×3, first 2 shown]
	v_sub_f32_e32 v34, v31, v30
	v_lshlrev_b64 v[30:31], 2, v[2:3]
	v_add_u32_e32 v2, s4, v2
	v_add_co_u32_e32 v32, vcc, s0, v30
	v_addc_co_u32_e32 v33, vcc, v39, v31, vcc
	v_add_co_u32_e32 v30, vcc, s2, v30
	v_addc_co_u32_e32 v31, vcc, v40, v31, vcc
	global_load_dword v32, v[32:33], off
	s_nop 0
	global_load_dword v30, v[30:31], off
	s_waitcnt vmcnt(0)
	v_sub_f32_e32 v30, v32, v30
	v_sub_f32_e32 v34, v34, v30
	v_lshlrev_b64 v[30:31], 2, v[2:3]
	v_add_u32_e32 v2, s3, v2
	v_add_co_u32_e32 v32, vcc, s0, v30
	v_addc_co_u32_e32 v33, vcc, v39, v31, vcc
	v_add_co_u32_e32 v30, vcc, s2, v30
	v_addc_co_u32_e32 v31, vcc, v40, v31, vcc
	global_load_dword v32, v[32:33], off
	s_nop 0
	global_load_dword v30, v[30:31], off
	s_waitcnt vmcnt(0)
	v_sub_f32_e32 v30, v32, v30
	;; [unrolled: 12-line block ×3, first 2 shown]
	v_lshlrev_b64 v[32:33], 2, v[2:3]
	v_sub_f32_e32 v34, v34, v30
	v_add_co_u32_e32 v30, vcc, s0, v32
	v_addc_co_u32_e32 v31, vcc, v39, v33, vcc
	v_add_co_u32_e32 v32, vcc, s2, v32
	v_addc_co_u32_e32 v33, vcc, v40, v33, vcc
	global_load_dword v35, v[30:31], off
	global_load_dword v36, v[32:33], off
	v_add_u32_e32 v2, s9, v2
	s_waitcnt vmcnt(0)
	v_sub_f32_e32 v35, v35, v36
	v_add_f32_e32 v46, v34, v35
	v_lshlrev_b64 v[34:35], 2, v[2:3]
	v_add_u32_e32 v2, s1, v2
	v_add_co_u32_e32 v36, vcc, s0, v34
	v_addc_co_u32_e32 v37, vcc, v39, v35, vcc
	v_add_co_u32_e32 v34, vcc, s2, v34
	v_addc_co_u32_e32 v35, vcc, v40, v35, vcc
	global_load_dword v36, v[36:37], off
	s_nop 0
	global_load_dword v34, v[34:35], off
	s_waitcnt vmcnt(0)
	v_sub_f32_e32 v34, v36, v34
	v_sub_f32_e32 v46, v46, v34
	v_lshlrev_b64 v[34:35], 2, v[2:3]
	v_add_u32_e32 v2, s3, v2
	v_add_co_u32_e32 v36, vcc, s0, v34
	v_addc_co_u32_e32 v37, vcc, v39, v35, vcc
	v_add_co_u32_e32 v34, vcc, s2, v34
	v_addc_co_u32_e32 v35, vcc, v40, v35, vcc
	global_load_dword v36, v[36:37], off
	s_nop 0
	global_load_dword v34, v[34:35], off
	s_waitcnt vmcnt(0)
	v_sub_f32_e32 v34, v36, v34
	v_sub_f32_e32 v46, v46, v34
	v_lshlrev_b64 v[34:35], 2, v[2:3]
	v_add_u32_e32 v2, s5, v2
	v_add_co_u32_e32 v36, vcc, s0, v34
	v_addc_co_u32_e32 v37, vcc, v39, v35, vcc
	v_add_co_u32_e32 v34, vcc, s2, v34
	v_addc_co_u32_e32 v35, vcc, v40, v35, vcc
	global_load_dword v36, v[36:37], off
	s_nop 0
	global_load_dword v34, v[34:35], off
	s_waitcnt vmcnt(0)
	v_sub_f32_e32 v34, v36, v34
	v_sub_f32_e32 v46, v46, v34
	v_lshlrev_b64 v[34:35], 2, v[2:3]
	v_add_u32_e32 v2, s12, v2
	v_add_co_u32_e32 v36, vcc, s0, v34
	v_addc_co_u32_e32 v37, vcc, v39, v35, vcc
	v_add_co_u32_e32 v34, vcc, s2, v34
	v_addc_co_u32_e32 v35, vcc, v40, v35, vcc
	global_load_dword v36, v[36:37], off
	s_nop 0
	global_load_dword v34, v[34:35], off
	s_waitcnt vmcnt(0)
	v_sub_f32_e32 v34, v36, v34
	v_sub_f32_e32 v46, v46, v34
	v_lshlrev_b64 v[34:35], 2, v[2:3]
	v_add_u32_e32 v2, s3, v2
	v_add_co_u32_e32 v36, vcc, s0, v34
	v_addc_co_u32_e32 v37, vcc, v39, v35, vcc
	v_add_co_u32_e32 v34, vcc, s2, v34
	v_addc_co_u32_e32 v35, vcc, v40, v35, vcc
	global_load_dword v36, v[36:37], off
	s_nop 0
	global_load_dword v34, v[34:35], off
	s_waitcnt vmcnt(0)
	v_sub_f32_e32 v34, v36, v34
	v_sub_f32_e32 v46, v46, v34
	v_lshlrev_b64 v[34:35], 2, v[2:3]
	v_add_u32_e32 v2, s3, v2
	v_add_co_u32_e32 v36, vcc, s0, v34
	v_addc_co_u32_e32 v37, vcc, v39, v35, vcc
	v_add_co_u32_e32 v34, vcc, s2, v34
	v_addc_co_u32_e32 v35, vcc, v40, v35, vcc
	global_load_dword v36, v[36:37], off
	s_nop 0
	global_load_dword v34, v[34:35], off
	s_waitcnt vmcnt(0)
	v_sub_f32_e32 v34, v36, v34
	v_sub_f32_e32 v46, v46, v34
	v_lshlrev_b64 v[34:35], 2, v[2:3]
	v_add_u32_e32 v2, s12, v2
	v_add_co_u32_e32 v36, vcc, s0, v34
	v_addc_co_u32_e32 v37, vcc, v39, v35, vcc
	v_add_co_u32_e32 v34, vcc, s2, v34
	v_addc_co_u32_e32 v35, vcc, v40, v35, vcc
	global_load_dword v36, v[36:37], off
	s_nop 0
	global_load_dword v34, v[34:35], off
	s_waitcnt vmcnt(0)
	v_sub_f32_e32 v34, v36, v34
	v_sub_f32_e32 v46, v46, v34
	v_lshlrev_b64 v[34:35], 2, v[2:3]
	v_add_u32_e32 v2, s19, v2
	v_add_co_u32_e32 v36, vcc, s0, v34
	v_addc_co_u32_e32 v37, vcc, v39, v35, vcc
	v_add_co_u32_e32 v34, vcc, s2, v34
	v_addc_co_u32_e32 v35, vcc, v40, v35, vcc
	global_load_dword v36, v[36:37], off
	s_nop 0
	global_load_dword v34, v[34:35], off
	s_waitcnt vmcnt(0)
	v_sub_f32_e32 v34, v36, v34
	v_sub_f32_e32 v46, v46, v34
	v_lshlrev_b64 v[34:35], 2, v[2:3]
	v_add_u32_e32 v2, s12, v2
	v_add_co_u32_e32 v36, vcc, s0, v34
	v_addc_co_u32_e32 v37, vcc, v39, v35, vcc
	v_add_co_u32_e32 v34, vcc, s2, v34
	v_addc_co_u32_e32 v35, vcc, v40, v35, vcc
	global_load_dword v36, v[36:37], off
	s_nop 0
	global_load_dword v34, v[34:35], off
	s_waitcnt vmcnt(0)
	v_sub_f32_e32 v34, v36, v34
	v_sub_f32_e32 v46, v46, v34
	v_lshlrev_b64 v[34:35], 2, v[2:3]
	v_add_u32_e32 v2, s20, v2
	v_add_co_u32_e32 v36, vcc, s0, v34
	v_addc_co_u32_e32 v37, vcc, v39, v35, vcc
	v_add_co_u32_e32 v34, vcc, s2, v34
	v_addc_co_u32_e32 v35, vcc, v40, v35, vcc
	global_load_dword v36, v[36:37], off
	s_nop 0
	global_load_dword v34, v[34:35], off
	s_waitcnt vmcnt(0)
	v_sub_f32_e32 v34, v36, v34
	v_lshlrev_b64 v[36:37], 2, v[2:3]
	v_sub_f32_e32 v46, v46, v34
	v_add_co_u32_e32 v34, vcc, s0, v36
	v_addc_co_u32_e32 v35, vcc, v39, v37, vcc
	v_add_co_u32_e32 v36, vcc, s2, v36
	v_addc_co_u32_e32 v37, vcc, v40, v37, vcc
	global_load_dword v47, v[34:35], off
	global_load_dword v48, v[36:37], off
	v_add_u32_e32 v2, s18, v2
	s_waitcnt vmcnt(0)
	v_sub_f32_e32 v47, v47, v48
	v_add_f32_e32 v50, v46, v47
	v_lshlrev_b64 v[46:47], 2, v[2:3]
	v_add_u32_e32 v2, s5, v2
	v_add_co_u32_e32 v48, vcc, s0, v46
	v_addc_co_u32_e32 v49, vcc, v39, v47, vcc
	v_add_co_u32_e32 v46, vcc, s2, v46
	v_addc_co_u32_e32 v47, vcc, v40, v47, vcc
	global_load_dword v48, v[48:49], off
	s_load_dwordx2 s[4:5], s[10:11], 0x8
	global_load_dword v46, v[46:47], off
	s_waitcnt vmcnt(0)
	v_sub_f32_e32 v46, v48, v46
	v_sub_f32_e32 v50, v50, v46
	v_lshlrev_b64 v[46:47], 2, v[2:3]
	v_add_u32_e32 v2, s12, v2
	v_add_co_u32_e32 v48, vcc, s0, v46
	v_addc_co_u32_e32 v49, vcc, v39, v47, vcc
	v_add_co_u32_e32 v46, vcc, s2, v46
	v_addc_co_u32_e32 v47, vcc, v40, v47, vcc
	global_load_dword v48, v[48:49], off
	s_nop 0
	global_load_dword v46, v[46:47], off
	s_waitcnt vmcnt(0)
	v_sub_f32_e32 v46, v48, v46
	v_sub_f32_e32 v50, v50, v46
	v_lshlrev_b64 v[46:47], 2, v[2:3]
	v_add_u32_e32 v2, s12, v2
	v_add_co_u32_e32 v48, vcc, s0, v46
	v_addc_co_u32_e32 v49, vcc, v39, v47, vcc
	v_add_co_u32_e32 v46, vcc, s2, v46
	v_addc_co_u32_e32 v47, vcc, v40, v47, vcc
	global_load_dword v48, v[48:49], off
	s_nop 0
	;; [unrolled: 12-line block ×9, first 2 shown]
	global_load_dword v46, v[46:47], off
	s_waitcnt vmcnt(0)
	v_sub_f32_e32 v46, v48, v46
	v_sub_f32_e32 v50, v50, v46
	v_lshlrev_b64 v[46:47], 2, v[2:3]
	v_add_co_u32_e32 v48, vcc, s0, v46
	v_addc_co_u32_e32 v49, vcc, v39, v47, vcc
	v_add_co_u32_e32 v46, vcc, s2, v46
	v_addc_co_u32_e32 v47, vcc, v40, v47, vcc
	global_load_dword v48, v[48:49], off
	v_add_co_u32_e32 v16, vcc, s8, v16
	global_load_dword v46, v[46:47], off
	v_addc_co_u32_e32 v17, vcc, v38, v17, vcc
	s_waitcnt vmcnt(0)
	v_sub_f32_e32 v46, v48, v46
	v_sub_f32_e32 v46, v50, v46
	v_mul_f32_e32 v46, s7, v46
	s_waitcnt lgkmcnt(0)
	v_mul_f32_e32 v46, s4, v46
	global_store_dword v[16:17], v46, off
	v_sub_f32_e32 v16, v44, v43
	s_mul_i32 s4, s12, 0xffffff4c
	v_sub_f32_e32 v16, v16, v18
	v_add_u32_e32 v2, s4, v2
	v_add_f32_e32 v16, v19, v16
	v_lshlrev_b64 v[18:19], 2, v[2:3]
	v_add_f32_e32 v43, v16, v45
	v_add_co_u32_e32 v16, vcc, s0, v18
	v_addc_co_u32_e32 v17, vcc, v39, v19, vcc
	v_add_co_u32_e32 v18, vcc, s2, v18
	v_addc_co_u32_e32 v19, vcc, v40, v19, vcc
	global_load_dword v44, v[16:17], off
	global_load_dword v45, v[18:19], off
	s_nop 0
	global_load_dword v20, v[20:21], off
	s_nop 0
	global_load_dword v21, v[22:23], off
	s_mul_i32 s4, s12, 13
	s_waitcnt vmcnt(2)
	v_sub_f32_e32 v44, v44, v45
	s_waitcnt vmcnt(0)
	v_sub_f32_e32 v20, v20, v21
	global_load_dword v21, v[26:27], off
	global_load_dword v22, v[28:29], off
	v_add_f32_e32 v43, v43, v44
	v_add_f32_e32 v42, v42, v43
	v_sub_f32_e32 v20, v42, v20
	s_waitcnt vmcnt(0)
	v_sub_f32_e32 v21, v21, v22
	v_sub_f32_e32 v23, v20, v21
	v_mad_u64_u32 v[20:21], s[20:21], s12, 26, v[2:3]
	v_mov_b32_e32 v21, v3
	v_lshlrev_b64 v[21:22], 2, v[20:21]
	v_add_co_u32_e32 v26, vcc, s0, v21
	v_addc_co_u32_e32 v27, vcc, v39, v22, vcc
	v_add_co_u32_e32 v21, vcc, s2, v21
	v_addc_co_u32_e32 v22, vcc, v40, v22, vcc
	global_load_dword v2, v[26:27], off
	s_nop 0
	global_load_dword v21, v[21:22], off
	s_waitcnt vmcnt(0)
	v_sub_f32_e32 v2, v2, v21
	v_sub_f32_e32 v26, v23, v2
	v_add_u32_e32 v2, s1, v20
	v_lshlrev_b64 v[20:21], 2, v[2:3]
	v_add_u32_e32 v2, s12, v2
	v_add_co_u32_e32 v22, vcc, s0, v20
	v_addc_co_u32_e32 v23, vcc, v39, v21, vcc
	v_add_co_u32_e32 v20, vcc, s2, v20
	v_addc_co_u32_e32 v21, vcc, v40, v21, vcc
	global_load_dword v22, v[22:23], off
	s_nop 0
	global_load_dword v20, v[20:21], off
	s_waitcnt vmcnt(0)
	v_sub_f32_e32 v20, v22, v20
	v_sub_f32_e32 v26, v26, v20
	v_lshlrev_b64 v[20:21], 2, v[2:3]
	v_add_u32_e32 v2, s4, v2
	v_add_co_u32_e32 v22, vcc, s0, v20
	v_addc_co_u32_e32 v23, vcc, v39, v21, vcc
	v_add_co_u32_e32 v20, vcc, s2, v20
	v_addc_co_u32_e32 v21, vcc, v40, v21, vcc
	global_load_dword v22, v[22:23], off
	s_nop 0
	global_load_dword v20, v[20:21], off
	s_waitcnt vmcnt(0)
	v_sub_f32_e32 v20, v22, v20
	v_sub_f32_e32 v26, v26, v20
	v_lshlrev_b64 v[20:21], 2, v[2:3]
	v_add_u32_e32 v2, s12, v2
	v_add_co_u32_e32 v22, vcc, s0, v20
	v_addc_co_u32_e32 v23, vcc, v39, v21, vcc
	v_add_co_u32_e32 v20, vcc, s2, v20
	v_addc_co_u32_e32 v21, vcc, v40, v21, vcc
	global_load_dword v22, v[22:23], off
	s_nop 0
	global_load_dword v20, v[20:21], off
	s_waitcnt vmcnt(0)
	v_sub_f32_e32 v20, v22, v20
	v_lshlrev_b64 v[22:23], 2, v[2:3]
	v_sub_f32_e32 v26, v26, v20
	v_add_co_u32_e32 v20, vcc, s0, v22
	v_addc_co_u32_e32 v21, vcc, v39, v23, vcc
	v_add_co_u32_e32 v22, vcc, s2, v22
	v_addc_co_u32_e32 v23, vcc, v40, v23, vcc
	global_load_dword v27, v[20:21], off
	global_load_dword v28, v[22:23], off
	v_add_u32_e32 v2, s13, v2
	s_waitcnt vmcnt(0)
	v_sub_f32_e32 v27, v27, v28
	v_sub_f32_e32 v42, v26, v27
	v_lshlrev_b64 v[26:27], 2, v[2:3]
	v_add_u32_e32 v2, s15, v2
	v_add_co_u32_e32 v28, vcc, s0, v26
	v_addc_co_u32_e32 v29, vcc, v39, v27, vcc
	v_add_co_u32_e32 v26, vcc, s2, v26
	v_addc_co_u32_e32 v27, vcc, v40, v27, vcc
	global_load_dword v28, v[28:29], off
	s_nop 0
	global_load_dword v26, v[26:27], off
	s_waitcnt vmcnt(0)
	v_sub_f32_e32 v26, v28, v26
	global_load_dword v27, v[30:31], off
	global_load_dword v28, v[32:33], off
	v_sub_f32_e32 v26, v42, v26
	s_waitcnt vmcnt(0)
	v_sub_f32_e32 v27, v27, v28
	v_sub_f32_e32 v30, v26, v27
	v_lshlrev_b64 v[26:27], 2, v[2:3]
	v_add_u32_e32 v2, s12, v2
	v_add_co_u32_e32 v28, vcc, s0, v26
	v_addc_co_u32_e32 v29, vcc, v39, v27, vcc
	v_add_co_u32_e32 v26, vcc, s2, v26
	v_addc_co_u32_e32 v27, vcc, v40, v27, vcc
	global_load_dword v28, v[28:29], off
	s_nop 0
	global_load_dword v26, v[26:27], off
	s_waitcnt vmcnt(0)
	v_sub_f32_e32 v26, v28, v26
	v_sub_f32_e32 v30, v30, v26
	v_lshlrev_b64 v[26:27], 2, v[2:3]
	v_add_u32_e32 v2, s9, v2
	v_add_co_u32_e32 v28, vcc, s0, v26
	v_addc_co_u32_e32 v29, vcc, v39, v27, vcc
	v_add_co_u32_e32 v26, vcc, s2, v26
	v_addc_co_u32_e32 v27, vcc, v40, v27, vcc
	global_load_dword v28, v[28:29], off
	s_nop 0
	global_load_dword v26, v[26:27], off
	s_waitcnt vmcnt(0)
	v_sub_f32_e32 v26, v28, v26
	v_add_f32_e32 v30, v30, v26
	v_lshlrev_b64 v[26:27], 2, v[2:3]
	v_add_u32_e32 v2, s13, v2
	v_add_co_u32_e32 v28, vcc, s0, v26
	v_addc_co_u32_e32 v29, vcc, v39, v27, vcc
	v_add_co_u32_e32 v26, vcc, s2, v26
	v_addc_co_u32_e32 v27, vcc, v40, v27, vcc
	global_load_dword v28, v[28:29], off
	s_nop 0
	global_load_dword v26, v[26:27], off
	s_waitcnt vmcnt(0)
	v_sub_f32_e32 v26, v28, v26
	v_sub_f32_e32 v30, v30, v26
	v_lshlrev_b64 v[26:27], 2, v[2:3]
	v_add_u32_e32 v2, s6, v2
	v_add_co_u32_e32 v28, vcc, s0, v26
	v_addc_co_u32_e32 v29, vcc, v39, v27, vcc
	v_add_co_u32_e32 v26, vcc, s2, v26
	v_addc_co_u32_e32 v27, vcc, v40, v27, vcc
	global_load_dword v28, v[28:29], off
	s_nop 0
	global_load_dword v26, v[26:27], off
	s_waitcnt vmcnt(0)
	v_sub_f32_e32 v26, v28, v26
	v_sub_f32_e32 v30, v30, v26
	;; [unrolled: 12-line block ×3, first 2 shown]
	v_lshlrev_b64 v[26:27], 2, v[2:3]
	v_add_u32_e32 v2, s14, v2
	v_add_co_u32_e32 v28, vcc, s0, v26
	v_addc_co_u32_e32 v29, vcc, v39, v27, vcc
	v_add_co_u32_e32 v26, vcc, s2, v26
	v_addc_co_u32_e32 v27, vcc, v40, v27, vcc
	global_load_dword v28, v[28:29], off
	s_nop 0
	global_load_dword v26, v[26:27], off
	s_waitcnt vmcnt(0)
	v_sub_f32_e32 v26, v28, v26
	global_load_dword v27, v[34:35], off
	global_load_dword v28, v[36:37], off
	v_sub_f32_e32 v26, v30, v26
	s_waitcnt vmcnt(0)
	v_sub_f32_e32 v27, v27, v28
	v_sub_f32_e32 v30, v26, v27
	v_lshlrev_b64 v[26:27], 2, v[2:3]
	v_add_u32_e32 v2, s4, v2
	v_add_co_u32_e32 v28, vcc, s0, v26
	v_addc_co_u32_e32 v29, vcc, v39, v27, vcc
	v_add_co_u32_e32 v26, vcc, s2, v26
	v_addc_co_u32_e32 v27, vcc, v40, v27, vcc
	global_load_dword v28, v[28:29], off
	s_mul_i32 s4, s12, 0xffffff3e
	global_load_dword v26, v[26:27], off
	s_waitcnt vmcnt(0)
	v_sub_f32_e32 v26, v28, v26
	v_sub_f32_e32 v30, v30, v26
	v_lshlrev_b64 v[26:27], 2, v[2:3]
	v_add_u32_e32 v2, s12, v2
	v_add_co_u32_e32 v28, vcc, s0, v26
	v_addc_co_u32_e32 v29, vcc, v39, v27, vcc
	v_add_co_u32_e32 v26, vcc, s2, v26
	v_addc_co_u32_e32 v27, vcc, v40, v27, vcc
	global_load_dword v28, v[28:29], off
	s_nop 0
	global_load_dword v26, v[26:27], off
	s_waitcnt vmcnt(0)
	v_sub_f32_e32 v26, v28, v26
	v_sub_f32_e32 v30, v30, v26
	v_lshlrev_b64 v[26:27], 2, v[2:3]
	v_add_u32_e32 v2, s15, v2
	v_add_co_u32_e32 v28, vcc, s0, v26
	v_addc_co_u32_e32 v29, vcc, v39, v27, vcc
	v_add_co_u32_e32 v26, vcc, s2, v26
	v_addc_co_u32_e32 v27, vcc, v40, v27, vcc
	global_load_dword v28, v[28:29], off
	s_nop 0
	global_load_dword v26, v[26:27], off
	s_waitcnt vmcnt(0)
	v_sub_f32_e32 v26, v28, v26
	v_sub_f32_e32 v30, v30, v26
	v_lshlrev_b64 v[26:27], 2, v[2:3]
	v_add_u32_e32 v2, s18, v2
	v_add_co_u32_e32 v28, vcc, s0, v26
	v_addc_co_u32_e32 v29, vcc, v39, v27, vcc
	v_add_co_u32_e32 v26, vcc, s2, v26
	v_addc_co_u32_e32 v27, vcc, v40, v27, vcc
	global_load_dword v28, v[28:29], off
	s_nop 0
	global_load_dword v26, v[26:27], off
	s_waitcnt vmcnt(0)
	v_sub_f32_e32 v26, v28, v26
	v_sub_f32_e32 v30, v30, v26
	v_lshlrev_b64 v[26:27], 2, v[2:3]
	v_add_u32_e32 v2, s12, v2
	v_add_co_u32_e32 v28, vcc, s0, v26
	v_addc_co_u32_e32 v29, vcc, v39, v27, vcc
	v_add_co_u32_e32 v26, vcc, s2, v26
	v_addc_co_u32_e32 v27, vcc, v40, v27, vcc
	global_load_dword v28, v[28:29], off
	s_nop 0
	global_load_dword v26, v[26:27], off
	s_waitcnt vmcnt(0)
	v_sub_f32_e32 v26, v28, v26
	v_sub_f32_e32 v30, v30, v26
	v_lshlrev_b64 v[26:27], 2, v[2:3]
	v_add_u32_e32 v2, s18, v2
	v_add_co_u32_e32 v28, vcc, s0, v26
	v_addc_co_u32_e32 v29, vcc, v39, v27, vcc
	v_add_co_u32_e32 v26, vcc, s2, v26
	v_addc_co_u32_e32 v27, vcc, v40, v27, vcc
	global_load_dword v28, v[28:29], off
	s_nop 0
	global_load_dword v26, v[26:27], off
	s_waitcnt vmcnt(0)
	v_sub_f32_e32 v26, v28, v26
	v_add_f32_e32 v30, v30, v26
	v_lshlrev_b64 v[26:27], 2, v[2:3]
	v_add_u32_e32 v2, s17, v2
	v_add_co_u32_e32 v28, vcc, s0, v26
	v_addc_co_u32_e32 v29, vcc, v39, v27, vcc
	v_add_co_u32_e32 v26, vcc, s2, v26
	v_addc_co_u32_e32 v27, vcc, v40, v27, vcc
	global_load_dword v28, v[28:29], off
	s_nop 0
	global_load_dword v26, v[26:27], off
	s_waitcnt vmcnt(0)
	v_sub_f32_e32 v26, v28, v26
	v_add_f32_e32 v30, v30, v26
	v_lshlrev_b64 v[26:27], 2, v[2:3]
	v_add_u32_e32 v2, s4, v2
	v_add_co_u32_e32 v28, vcc, s0, v26
	v_addc_co_u32_e32 v29, vcc, v39, v27, vcc
	v_add_co_u32_e32 v26, vcc, s2, v26
	v_addc_co_u32_e32 v27, vcc, v40, v27, vcc
	global_load_dword v28, v[28:29], off
	v_add_co_u32_e32 v24, vcc, s8, v24
	global_load_dword v26, v[26:27], off
	v_addc_co_u32_e32 v25, vcc, v38, v25, vcc
	s_waitcnt vmcnt(0)
	v_sub_f32_e32 v26, v28, v26
	v_sub_f32_e32 v26, v30, v26
	v_mul_f32_e32 v26, s7, v26
	v_mul_f32_e32 v26, s5, v26
	global_store_dword v[24:25], v26, off
	global_load_dword v6, v[6:7], off
	s_nop 0
	global_load_dword v4, v[4:5], off
	s_waitcnt vmcnt(0)
	v_sub_f32_e32 v4, v6, v4
	global_load_dword v5, v[8:9], off
	global_load_dword v6, v[10:11], off
	s_waitcnt vmcnt(0)
	v_sub_f32_e32 v5, v5, v6
	v_add_f32_e32 v8, v4, v5
	v_lshlrev_b64 v[4:5], 2, v[2:3]
	v_add_u32_e32 v2, s17, v2
	v_add_co_u32_e32 v6, vcc, s0, v4
	v_addc_co_u32_e32 v7, vcc, v39, v5, vcc
	v_add_co_u32_e32 v4, vcc, s2, v4
	v_addc_co_u32_e32 v5, vcc, v40, v5, vcc
	global_load_dword v6, v[6:7], off
	s_nop 0
	global_load_dword v4, v[4:5], off
	s_waitcnt vmcnt(0)
	v_sub_f32_e32 v4, v6, v4
	global_load_dword v5, v[12:13], off
	global_load_dword v6, v[14:15], off
	v_add_f32_e32 v4, v8, v4
	s_waitcnt vmcnt(0)
	v_sub_f32_e32 v5, v5, v6
	v_add_f32_e32 v4, v4, v5
	global_load_dword v5, v[16:17], off
	global_load_dword v6, v[18:19], off
	s_waitcnt vmcnt(0)
	v_sub_f32_e32 v5, v5, v6
	v_add_f32_e32 v8, v4, v5
	v_lshlrev_b64 v[4:5], 2, v[2:3]
	v_add_u32_e32 v2, s18, v2
	v_add_co_u32_e32 v6, vcc, s0, v4
	v_addc_co_u32_e32 v7, vcc, v39, v5, vcc
	v_add_co_u32_e32 v4, vcc, s2, v4
	v_addc_co_u32_e32 v5, vcc, v40, v5, vcc
	global_load_dword v6, v[6:7], off
	s_nop 0
	global_load_dword v4, v[4:5], off
	s_waitcnt vmcnt(0)
	v_sub_f32_e32 v4, v6, v4
	v_add_f32_e32 v4, v8, v4
	v_add_f32_e32 v8, v41, v4
	v_lshlrev_b64 v[4:5], 2, v[2:3]
	v_add_u32_e32 v2, s15, v2
	v_add_co_u32_e32 v6, vcc, s0, v4
	v_addc_co_u32_e32 v7, vcc, v39, v5, vcc
	v_add_co_u32_e32 v4, vcc, s2, v4
	v_addc_co_u32_e32 v5, vcc, v40, v5, vcc
	global_load_dword v6, v[6:7], off
	s_nop 0
	global_load_dword v4, v[4:5], off
	s_waitcnt vmcnt(0)
	v_sub_f32_e32 v4, v6, v4
	v_sub_f32_e32 v8, v8, v4
	v_lshlrev_b64 v[4:5], 2, v[2:3]
	v_add_u32_e32 v2, s13, v2
	v_add_co_u32_e32 v6, vcc, s0, v4
	v_addc_co_u32_e32 v7, vcc, v39, v5, vcc
	v_add_co_u32_e32 v4, vcc, s2, v4
	v_addc_co_u32_e32 v5, vcc, v40, v5, vcc
	global_load_dword v6, v[6:7], off
	s_nop 0
	global_load_dword v4, v[4:5], off
	s_waitcnt vmcnt(0)
	v_sub_f32_e32 v4, v6, v4
	v_add_f32_e32 v8, v8, v4
	v_lshlrev_b64 v[4:5], 2, v[2:3]
	v_add_co_u32_e32 v6, vcc, s0, v4
	v_addc_co_u32_e32 v7, vcc, v39, v5, vcc
	v_add_co_u32_e32 v4, vcc, s2, v4
	v_addc_co_u32_e32 v5, vcc, v40, v5, vcc
	global_load_dword v6, v[6:7], off
	s_nop 0
	global_load_dword v4, v[4:5], off
	s_waitcnt vmcnt(0)
	v_sub_f32_e32 v4, v6, v4
	global_load_dword v5, v[20:21], off
	global_load_dword v6, v[22:23], off
	v_add_f32_e32 v4, v8, v4
	s_waitcnt vmcnt(0)
	v_sub_f32_e32 v5, v5, v6
	v_add_f32_e32 v9, v4, v5
	v_mad_u64_u32 v[4:5], s[4:5], s12, 20, v[2:3]
	v_mov_b32_e32 v5, v3
	v_lshlrev_b64 v[5:6], 2, v[4:5]
	v_add_co_u32_e32 v7, vcc, s0, v5
	v_addc_co_u32_e32 v8, vcc, v39, v6, vcc
	v_add_co_u32_e32 v5, vcc, s2, v5
	v_addc_co_u32_e32 v6, vcc, v40, v6, vcc
	global_load_dword v2, v[7:8], off
	s_nop 0
	global_load_dword v5, v[5:6], off
	s_waitcnt vmcnt(0)
	v_sub_f32_e32 v2, v2, v5
	v_add_f32_e32 v8, v9, v2
	v_add_u32_e32 v2, s3, v4
	v_lshlrev_b64 v[4:5], 2, v[2:3]
	v_add_u32_e32 v2, s12, v2
	v_add_co_u32_e32 v6, vcc, s0, v4
	v_addc_co_u32_e32 v7, vcc, v39, v5, vcc
	v_add_co_u32_e32 v4, vcc, s2, v4
	v_addc_co_u32_e32 v5, vcc, v40, v5, vcc
	global_load_dword v6, v[6:7], off
	s_nop 0
	global_load_dword v4, v[4:5], off
	s_waitcnt vmcnt(0)
	v_sub_f32_e32 v4, v6, v4
	v_add_f32_e32 v8, v8, v4
	v_lshlrev_b64 v[4:5], 2, v[2:3]
	v_add_u32_e32 v2, s9, v2
	v_add_co_u32_e32 v6, vcc, s0, v4
	v_addc_co_u32_e32 v7, vcc, v39, v5, vcc
	v_add_co_u32_e32 v4, vcc, s2, v4
	v_addc_co_u32_e32 v5, vcc, v40, v5, vcc
	global_load_dword v6, v[6:7], off
	s_nop 0
	global_load_dword v4, v[4:5], off
	s_waitcnt vmcnt(0)
	v_sub_f32_e32 v4, v6, v4
	v_add_f32_e32 v8, v8, v4
	;; [unrolled: 12-line block ×4, first 2 shown]
	v_lshlrev_b64 v[4:5], 2, v[2:3]
	v_add_co_u32_e32 v6, vcc, s0, v4
	v_addc_co_u32_e32 v7, vcc, v39, v5, vcc
	v_add_co_u32_e32 v4, vcc, s2, v4
	v_addc_co_u32_e32 v5, vcc, v40, v5, vcc
	global_load_dword v6, v[6:7], off
	s_nop 0
	global_load_dword v4, v[4:5], off
	s_waitcnt vmcnt(0)
	v_sub_f32_e32 v4, v6, v4
	v_add_f32_e32 v9, v8, v4
	v_mad_u64_u32 v[4:5], s[4:5], s12, 27, v[2:3]
	v_mov_b32_e32 v5, v3
	v_lshlrev_b64 v[5:6], 2, v[4:5]
	v_add_co_u32_e32 v7, vcc, s0, v5
	v_addc_co_u32_e32 v8, vcc, v39, v6, vcc
	v_add_co_u32_e32 v5, vcc, s2, v5
	v_addc_co_u32_e32 v6, vcc, v40, v6, vcc
	global_load_dword v2, v[7:8], off
	s_nop 0
	global_load_dword v5, v[5:6], off
	s_waitcnt vmcnt(0)
	v_sub_f32_e32 v2, v2, v5
	v_add_f32_e32 v8, v9, v2
	v_add_u32_e32 v2, s3, v4
	v_lshlrev_b64 v[4:5], 2, v[2:3]
	v_add_u32_e32 v2, s6, v2
	v_add_co_u32_e32 v6, vcc, s0, v4
	v_addc_co_u32_e32 v7, vcc, v39, v5, vcc
	v_add_co_u32_e32 v4, vcc, s2, v4
	v_addc_co_u32_e32 v5, vcc, v40, v5, vcc
	global_load_dword v6, v[6:7], off
	s_nop 0
	global_load_dword v4, v[4:5], off
	s_waitcnt vmcnt(0)
	v_sub_f32_e32 v4, v6, v4
	v_add_f32_e32 v8, v8, v4
	v_lshlrev_b64 v[4:5], 2, v[2:3]
	v_add_u32_e32 v2, s13, v2
	v_add_co_u32_e32 v6, vcc, s0, v4
	v_addc_co_u32_e32 v7, vcc, v39, v5, vcc
	v_add_co_u32_e32 v4, vcc, s2, v4
	v_addc_co_u32_e32 v5, vcc, v40, v5, vcc
	global_load_dword v6, v[6:7], off
	s_nop 0
	global_load_dword v4, v[4:5], off
	s_waitcnt vmcnt(0)
	v_sub_f32_e32 v4, v6, v4
	v_add_f32_e32 v8, v8, v4
	v_lshlrev_b64 v[4:5], 2, v[2:3]
	v_add_co_u32_e32 v6, vcc, s0, v4
	v_addc_co_u32_e32 v7, vcc, v39, v5, vcc
	v_add_co_u32_e32 v4, vcc, s2, v4
	v_addc_co_u32_e32 v5, vcc, v40, v5, vcc
	global_load_dword v6, v[6:7], off
	s_nop 0
	global_load_dword v4, v[4:5], off
	s_waitcnt vmcnt(0)
	v_sub_f32_e32 v4, v6, v4
	v_add_f32_e32 v9, v8, v4
	v_mad_u64_u32 v[4:5], s[4:5], s12, 21, v[2:3]
	v_mov_b32_e32 v5, v3
	v_lshlrev_b64 v[5:6], 2, v[4:5]
	v_add_co_u32_e32 v7, vcc, s0, v5
	v_addc_co_u32_e32 v8, vcc, v39, v6, vcc
	v_add_co_u32_e32 v5, vcc, s2, v5
	v_addc_co_u32_e32 v6, vcc, v40, v6, vcc
	global_load_dword v2, v[7:8], off
	s_nop 0
	global_load_dword v5, v[5:6], off
	s_waitcnt vmcnt(0)
	v_sub_f32_e32 v2, v2, v5
	v_add_f32_e32 v8, v9, v2
	v_add_u32_e32 v2, s16, v4
	v_lshlrev_b64 v[4:5], 2, v[2:3]
	v_add_u32_e32 v2, s3, v2
	v_add_co_u32_e32 v6, vcc, s0, v4
	v_addc_co_u32_e32 v7, vcc, v39, v5, vcc
	v_add_co_u32_e32 v4, vcc, s2, v4
	v_addc_co_u32_e32 v5, vcc, v40, v5, vcc
	global_load_dword v6, v[6:7], off
	v_lshlrev_b64 v[2:3], 2, v[2:3]
	global_load_dword v4, v[4:5], off
	s_waitcnt vmcnt(0)
	v_sub_f32_e32 v4, v6, v4
	v_add_f32_e32 v6, v8, v4
	v_add_co_u32_e32 v4, vcc, s0, v2
	v_addc_co_u32_e32 v5, vcc, v39, v3, vcc
	v_add_co_u32_e32 v2, vcc, s2, v2
	v_addc_co_u32_e32 v3, vcc, v40, v3, vcc
	global_load_dword v4, v[4:5], off
	s_load_dword s0, s[10:11], 0x14
	global_load_dword v2, v[2:3], off
	v_add_co_u32_e32 v0, vcc, s8, v0
	v_addc_co_u32_e32 v1, vcc, v38, v1, vcc
	s_waitcnt vmcnt(0)
	v_sub_f32_e32 v2, v4, v2
	v_add_f32_e32 v2, v6, v2
	v_mul_f32_e32 v2, s7, v2
	s_waitcnt lgkmcnt(0)
	v_mul_f32_e32 v2, s0, v2
	global_store_dword v[0:1], v2, off
	s_endpgm
	.section	.rodata,"a",@progbits
	.p2align	6, 0x0
	.amdhsa_kernel _Z15rdwdot10_kernelIfEvPKT_S2_PS0_S0_S2_
		.amdhsa_group_segment_fixed_size 0
		.amdhsa_private_segment_fixed_size 0
		.amdhsa_kernarg_size 296
		.amdhsa_user_sgpr_count 6
		.amdhsa_user_sgpr_private_segment_buffer 1
		.amdhsa_user_sgpr_dispatch_ptr 0
		.amdhsa_user_sgpr_queue_ptr 0
		.amdhsa_user_sgpr_kernarg_segment_ptr 1
		.amdhsa_user_sgpr_dispatch_id 0
		.amdhsa_user_sgpr_flat_scratch_init 0
		.amdhsa_user_sgpr_private_segment_size 0
		.amdhsa_uses_dynamic_stack 0
		.amdhsa_system_sgpr_private_segment_wavefront_offset 0
		.amdhsa_system_sgpr_workgroup_id_x 1
		.amdhsa_system_sgpr_workgroup_id_y 0
		.amdhsa_system_sgpr_workgroup_id_z 0
		.amdhsa_system_sgpr_workgroup_info 0
		.amdhsa_system_vgpr_workitem_id 0
		.amdhsa_next_free_vgpr 51
		.amdhsa_next_free_sgpr 22
		.amdhsa_reserve_vcc 1
		.amdhsa_reserve_flat_scratch 0
		.amdhsa_float_round_mode_32 0
		.amdhsa_float_round_mode_16_64 0
		.amdhsa_float_denorm_mode_32 3
		.amdhsa_float_denorm_mode_16_64 3
		.amdhsa_dx10_clamp 1
		.amdhsa_ieee_mode 1
		.amdhsa_fp16_overflow 0
		.amdhsa_exception_fp_ieee_invalid_op 0
		.amdhsa_exception_fp_denorm_src 0
		.amdhsa_exception_fp_ieee_div_zero 0
		.amdhsa_exception_fp_ieee_overflow 0
		.amdhsa_exception_fp_ieee_underflow 0
		.amdhsa_exception_fp_ieee_inexact 0
		.amdhsa_exception_int_div_zero 0
	.end_amdhsa_kernel
	.section	.text._Z15rdwdot10_kernelIfEvPKT_S2_PS0_S0_S2_,"axG",@progbits,_Z15rdwdot10_kernelIfEvPKT_S2_PS0_S0_S2_,comdat
.Lfunc_end26:
	.size	_Z15rdwdot10_kernelIfEvPKT_S2_PS0_S0_S2_, .Lfunc_end26-_Z15rdwdot10_kernelIfEvPKT_S2_PS0_S0_S2_
                                        ; -- End function
	.set _Z15rdwdot10_kernelIfEvPKT_S2_PS0_S0_S2_.num_vgpr, 51
	.set _Z15rdwdot10_kernelIfEvPKT_S2_PS0_S0_S2_.num_agpr, 0
	.set _Z15rdwdot10_kernelIfEvPKT_S2_PS0_S0_S2_.numbered_sgpr, 22
	.set _Z15rdwdot10_kernelIfEvPKT_S2_PS0_S0_S2_.num_named_barrier, 0
	.set _Z15rdwdot10_kernelIfEvPKT_S2_PS0_S0_S2_.private_seg_size, 0
	.set _Z15rdwdot10_kernelIfEvPKT_S2_PS0_S0_S2_.uses_vcc, 1
	.set _Z15rdwdot10_kernelIfEvPKT_S2_PS0_S0_S2_.uses_flat_scratch, 0
	.set _Z15rdwdot10_kernelIfEvPKT_S2_PS0_S0_S2_.has_dyn_sized_stack, 0
	.set _Z15rdwdot10_kernelIfEvPKT_S2_PS0_S0_S2_.has_recursion, 0
	.set _Z15rdwdot10_kernelIfEvPKT_S2_PS0_S0_S2_.has_indirect_call, 0
	.section	.AMDGPU.csdata,"",@progbits
; Kernel info:
; codeLenInByte = 7504
; TotalNumSgprs: 26
; NumVgprs: 51
; ScratchSize: 0
; MemoryBound: 0
; FloatMode: 240
; IeeeMode: 1
; LDSByteSize: 0 bytes/workgroup (compile time only)
; SGPRBlocks: 3
; VGPRBlocks: 12
; NumSGPRsForWavesPerEU: 26
; NumVGPRsForWavesPerEU: 51
; Occupancy: 4
; WaveLimiterHint : 0
; COMPUTE_PGM_RSRC2:SCRATCH_EN: 0
; COMPUTE_PGM_RSRC2:USER_SGPR: 6
; COMPUTE_PGM_RSRC2:TRAP_HANDLER: 0
; COMPUTE_PGM_RSRC2:TGID_X_EN: 1
; COMPUTE_PGM_RSRC2:TGID_Y_EN: 0
; COMPUTE_PGM_RSRC2:TGID_Z_EN: 0
; COMPUTE_PGM_RSRC2:TIDIG_COMP_CNT: 0
	.section	.text._Z11ratt_kernelIdEvPKT_PS0_S0_,"axG",@progbits,_Z11ratt_kernelIdEvPKT_PS0_S0_,comdat
	.protected	_Z11ratt_kernelIdEvPKT_PS0_S0_ ; -- Begin function _Z11ratt_kernelIdEvPKT_PS0_S0_
	.globl	_Z11ratt_kernelIdEvPKT_PS0_S0_
	.p2align	8
	.type	_Z11ratt_kernelIdEvPKT_PS0_S0_,@function
_Z11ratt_kernelIdEvPKT_PS0_S0_:         ; @_Z11ratt_kernelIdEvPKT_PS0_S0_
; %bb.0:
	s_load_dword s0, s[4:5], 0x24
	s_load_dwordx4 s[8:11], s[4:5], 0x0
	s_load_dword s7, s[4:5], 0x18
	v_mov_b32_e32 v1, 0
	s_mov_b32 s2, 0xbf559e2b
	s_waitcnt lgkmcnt(0)
	s_and_b32 s33, s0, 0xffff
	s_mul_i32 s6, s6, s33
	v_add_u32_e32 v0, s6, v0
	v_lshlrev_b64 v[10:11], 3, v[0:1]
	v_mov_b32_e32 v3, s9
	v_add_co_u32_e32 v2, vcc, s8, v10
	v_addc_co_u32_e32 v3, vcc, v3, v11, vcc
	global_load_dwordx2 v[2:3], v[2:3], off
	s_load_dwordx2 s[0:1], s[4:5], 0x10
	s_mov_b32 s3, 0x3fc3ab76
	s_mov_b32 s13, 0x3fe62e42
	;; [unrolled: 1-line block ×8, first 2 shown]
	v_mov_b32_e32 v9, 0xfff00000
	s_mov_b32 s19, 0x3e5ade15
	s_mov_b32 s41, 0x40055c28
	s_mov_b32 s40, 0xf5c28f5c
	s_mov_b32 s26, 0x623fde64
	s_mov_b32 s27, 0x3ec71dee
	s_mov_b32 s28, 0x7c89e6b0
	s_mov_b32 s29, 0x3efa0199
	s_mov_b32 s45, 0x3ff828f5
	s_mov_b32 s44, 0xc28f5c29
	s_mov_b32 s34, 0x14761f6e
	s_mov_b32 s35, 0x3f2a01a0
	s_mov_b32 s38, 0x1852b7b0
	s_mov_b32 s39, 0x3f56c16c
	s_mov_b32 s36, 0x11122322
	s_mov_b32 s37, 0x3f811111
	s_mov_b32 s30, 0x555502a1
	s_mov_b32 s31, 0x3fa55555
	s_mov_b32 s24, 0x55555511
	s_mov_b32 s25, 0x3fc55555
	s_mov_b32 s20, 11
	s_mov_b32 s21, 0x3fe00000
	s_mov_b32 s14, 0
	s_mov_b32 s8, 0
	v_mov_b32_e32 v35, s11
	s_mov_b32 s15, 0x40900000
	s_mov_b32 s9, 0xc090cc00
	v_mov_b32_e32 v34, 0x7ff00000
	s_mul_i32 s11, s7, s33
	v_add_u32_e32 v0, s11, v0
	s_mov_b32 s7, 0x43abc16d
	s_mov_b32 s6, 0x674ec800
	;; [unrolled: 1-line block ×34, first 2 shown]
	s_lshl_b32 s33, s11, 1
	s_mov_b32 s77, 0x42a2309c
	s_mov_b32 s76, s50
	;; [unrolled: 1-line block ×5, first 2 shown]
	s_waitcnt vmcnt(0) lgkmcnt(0)
	v_mul_f64 v[7:8], s[0:1], v[2:3]
	s_mov_b32 s1, 0x3fe55555
	s_mov_b32 s0, 0x55555555
	;; [unrolled: 1-line block ×3, first 2 shown]
	v_frexp_mant_f64_e32 v[2:3], v[7:8]
	v_frexp_exp_i32_f64_e32 v6, v[7:8]
	v_cmp_gt_f64_e32 vcc, s[0:1], v[2:3]
	s_mov_b32 s0, 0x55555780
	v_cndmask_b32_e64 v4, 0, 1, vcc
	v_ldexp_f64 v[2:3], v[2:3], v4
	v_subbrev_co_u32_e32 v6, vcc, 0, v6, vcc
	v_add_f64 v[4:5], v[2:3], 1.0
	v_add_f64 v[16:17], v[2:3], -1.0
	v_rcp_f64_e32 v[12:13], v[4:5]
	v_add_f64 v[18:19], v[4:5], -1.0
	v_add_f64 v[2:3], v[2:3], -v[18:19]
	v_fma_f64 v[14:15], -v[4:5], v[12:13], 1.0
	v_fma_f64 v[12:13], v[14:15], v[12:13], v[12:13]
	v_fma_f64 v[14:15], -v[4:5], v[12:13], 1.0
	v_fma_f64 v[12:13], v[14:15], v[12:13], v[12:13]
	v_mul_f64 v[14:15], v[16:17], v[12:13]
	v_mul_f64 v[20:21], v[4:5], v[14:15]
	v_fma_f64 v[4:5], v[14:15], v[4:5], -v[20:21]
	v_fma_f64 v[2:3], v[14:15], v[2:3], v[4:5]
	v_add_f64 v[4:5], v[20:21], v[2:3]
	v_add_f64 v[18:19], v[16:17], -v[4:5]
	v_add_f64 v[20:21], v[4:5], -v[20:21]
	;; [unrolled: 1-line block ×5, first 2 shown]
	v_mov_b32_e32 v16, 0x6b47b09a
	v_mov_b32_e32 v17, 0x3fc38538
	v_add_f64 v[2:3], v[2:3], v[4:5]
	v_add_f64 v[2:3], v[18:19], v[2:3]
	v_mul_f64 v[2:3], v[12:13], v[2:3]
	v_add_f64 v[4:5], v[14:15], v[2:3]
	v_mul_f64 v[12:13], v[4:5], v[4:5]
	v_ldexp_f64 v[20:21], v[4:5], 1
	v_fma_f64 v[16:17], v[12:13], s[2:3], v[16:17]
	s_mov_b32 s2, 0xd7f4df2e
	s_mov_b32 s3, 0x3fc7474d
	v_mul_f64 v[18:19], v[4:5], v[12:13]
	v_add_f64 v[4:5], v[4:5], -v[14:15]
	v_fma_f64 v[16:17], v[12:13], v[16:17], s[2:3]
	s_mov_b32 s2, 0x16291751
	s_mov_b32 s3, 0x3fcc71c0
	v_add_f64 v[2:3], v[2:3], -v[4:5]
	v_fma_f64 v[16:17], v[12:13], v[16:17], s[2:3]
	s_mov_b32 s2, 0x9b27acf1
	s_mov_b32 s3, 0x3fd24924
	v_ldexp_f64 v[2:3], v[2:3], 1
	v_fma_f64 v[16:17], v[12:13], v[16:17], s[2:3]
	s_mov_b32 s2, 0x998ef7b6
	s_mov_b32 s3, 0x3fd99999
	v_fma_f64 v[16:17], v[12:13], v[16:17], s[2:3]
	s_movk_i32 s2, 0x204
	s_mov_b32 s3, 0x40033333
	v_fma_f64 v[12:13], v[12:13], v[16:17], s[0:1]
	v_div_scale_f64 v[16:17], s[0:1], v[7:8], v[7:8], 1.0
	s_mov_b32 s0, 0xa0e410b6
	s_mov_b32 s1, 0xc0bc54dc
	v_mul_f64 v[12:13], v[18:19], v[12:13]
	v_cvt_f64_i32_e32 v[18:19], v6
	v_mov_b32_e32 v6, 0x7ff80000
	v_mul_f64 v[24:25], v[18:19], s[12:13]
	v_add_f64 v[14:15], v[20:21], v[12:13]
	v_rcp_f64_e32 v[22:23], v[16:17]
	v_add_f64 v[4:5], v[14:15], -v[20:21]
	v_fma_f64 v[20:21], v[18:19], s[12:13], -v[24:25]
	s_mov_b32 s13, 0xbfe62e42
	v_add_f64 v[4:5], v[12:13], -v[4:5]
	v_fma_f64 v[12:13], -v[16:17], v[22:23], 1.0
	v_fma_f64 v[18:19], v[18:19], s[16:17], v[20:21]
	s_mov_b32 s17, 0xbc7abc9e
	v_add_f64 v[2:3], v[2:3], v[4:5]
	v_fma_f64 v[4:5], v[22:23], v[12:13], v[22:23]
	v_add_f64 v[12:13], v[24:25], v[18:19]
	v_div_scale_f64 v[22:23], vcc, 1.0, v[7:8], 1.0
	v_add_f64 v[20:21], v[14:15], v[2:3]
	v_fma_f64 v[26:27], -v[16:17], v[4:5], 1.0
	v_add_f64 v[24:25], v[12:13], -v[24:25]
	v_add_f64 v[28:29], v[12:13], v[20:21]
	v_fma_f64 v[4:5], v[4:5], v[26:27], v[4:5]
	v_add_f64 v[14:15], v[20:21], -v[14:15]
	v_add_f64 v[18:19], v[18:19], -v[24:25]
	;; [unrolled: 1-line block ×3, first 2 shown]
	v_mul_f64 v[30:31], v[22:23], v[4:5]
	v_add_f64 v[2:3], v[2:3], -v[14:15]
	v_add_f64 v[32:33], v[28:29], -v[26:27]
	v_fma_f64 v[16:17], -v[16:17], v[30:31], v[22:23]
	v_add_f64 v[14:15], v[20:21], -v[26:27]
	v_mov_b32_e32 v20, 0xde416957
	v_mov_b32_e32 v21, 0x40400661
	v_add_f64 v[12:13], v[12:13], -v[32:33]
	v_div_fmas_f64 v[4:5], v[16:17], v[4:5], v[30:31]
	v_add_f64 v[16:17], v[18:19], v[2:3]
	v_cmp_class_f64_e64 vcc, v[7:8], s2
	s_mov_b32 s2, 0x33333333
	v_add_f64 v[12:13], v[14:15], v[12:13]
	v_add_f64 v[14:15], v[16:17], -v[18:19]
	v_add_f64 v[12:13], v[16:17], v[12:13]
	v_div_fixup_f64 v[4:5], v[4:5], v[7:8], 1.0
	v_add_f64 v[16:17], v[16:17], -v[14:15]
	v_add_f64 v[2:3], v[2:3], -v[14:15]
	v_add_f64 v[24:25], v[28:29], v[12:13]
	v_fma_f64 v[22:23], v[4:5], s[0:1], v[20:21]
	v_add_f64 v[14:15], v[18:19], -v[16:17]
	s_mov_b32 s0, 0xfca7ab0c
	s_mov_b32 s1, 0x3e928af3
	v_add_f64 v[16:17], v[24:25], -v[28:29]
	v_mul_f64 v[18:19], v[22:23], s[22:23]
	v_add_f64 v[2:3], v[2:3], v[14:15]
	v_add_f64 v[12:13], v[12:13], -v[16:17]
	v_rndne_f64_e32 v[20:21], v[18:19]
	v_add_f64 v[2:3], v[2:3], v[12:13]
	v_fma_f64 v[14:15], v[20:21], s[12:13], v[22:23]
	v_mov_b32_e32 v12, 0xfb38f0e2
	v_mov_b32_e32 v13, 0x4025a3b9
	v_add_f64 v[16:17], v[24:25], v[2:3]
	v_fma_f64 v[24:25], v[20:21], s[16:17], v[14:15]
	v_mov_b32_e32 v3, s1
	v_mov_b32_e32 v2, s0
	s_mov_b32 s0, 0x36cdf267
	s_mov_b32 s1, 0xc0a8ba77
	v_cvt_i32_f64_e32 v20, v[20:21]
	v_cndmask_b32_e32 v14, v16, v7, vcc
	v_cndmask_b32_e32 v15, v17, v8, vcc
	v_cmp_ngt_f64_e32 vcc, 0, v[7:8]
	v_cndmask_b32_e32 v15, v6, v15, vcc
	v_cmp_nge_f64_e32 vcc, 0, v[7:8]
	v_cndmask_b32_e32 v6, 0, v14, vcc
	v_cmp_neq_f64_e32 vcc, 0, v[7:8]
	v_mov_b32_e32 v14, 0x8c436fc1
	v_cndmask_b32_e32 v7, v9, v15, vcc
	v_fma_f64 v[8:9], v[6:7], s[40:41], v[12:13]
	v_fma_f64 v[12:13], v[24:25], s[18:19], v[2:3]
	v_mov_b32_e32 v15, 0x403330d7
	v_fma_f64 v[14:15], v[6:7], s[44:45], v[14:15]
	s_mov_b32 s45, 0xbfe428f5
	s_mov_b32 s41, 0xc0075c28
	v_fma_f64 v[8:9], v[4:5], s[0:1], v[8:9]
	v_fma_f64 v[12:13], v[24:25], v[12:13], s[26:27]
	s_mov_b32 s0, 0xf75104d5
	s_mov_b32 s1, 0xc09af821
	v_fma_f64 v[14:15], v[4:5], s[0:1], v[14:15]
	s_mov_b32 s0, 0xfe47992
	s_mov_b32 s1, 0x40909726
	v_mul_f64 v[16:17], v[8:9], s[22:23]
	v_fma_f64 v[18:19], v[24:25], v[12:13], s[28:29]
	v_mul_f64 v[26:27], v[14:15], s[22:23]
	v_rndne_f64_e32 v[12:13], v[16:17]
	v_fma_f64 v[16:17], v[24:25], v[18:19], s[34:35]
	v_fma_f64 v[18:19], v[12:13], s[12:13], v[8:9]
	v_fma_f64 v[16:17], v[24:25], v[16:17], s[38:39]
	v_fma_f64 v[30:31], v[12:13], s[16:17], v[18:19]
	v_fma_f64 v[18:19], v[24:25], v[16:17], s[36:37]
	v_rndne_f64_e32 v[16:17], v[26:27]
	v_fma_f64 v[26:27], v[30:31], s[18:19], v[2:3]
	v_fma_f64 v[18:19], v[24:25], v[18:19], s[30:31]
	;; [unrolled: 1-line block ×10, first 2 shown]
	v_fma_f64 v[28:29], v[24:25], v[28:29], 1.0
	v_fma_f64 v[32:33], v[18:19], v[32:33], s[26:27]
	v_fma_f64 v[26:27], v[30:31], v[26:27], s[38:39]
	v_fma_f64 v[24:25], v[24:25], v[28:29], 1.0
	v_mov_b32_e32 v28, 0x748a1598
	v_mov_b32_e32 v29, 0x4024f73f
	v_fma_f64 v[32:33], v[18:19], v[32:33], s[28:29]
	v_fma_f64 v[28:29], v[6:7], s[2:3], v[28:29]
	s_mov_b32 s3, 0xbfe33333
	v_fma_f64 v[26:27], v[30:31], v[26:27], s[36:37]
	v_ldexp_f64 v[36:37], v[24:25], v20
	v_add_co_u32_e32 v24, vcc, s10, v10
	v_fma_f64 v[32:33], v[18:19], v[32:33], s[34:35]
	v_fma_f64 v[20:21], v[4:5], s[0:1], v[28:29]
	v_addc_co_u32_e32 v25, vcc, v35, v11, vcc
	v_fma_f64 v[26:27], v[30:31], v[26:27], s[30:31]
	v_cmp_nlt_f64_e32 vcc, s[14:15], v[22:23]
	v_cmp_ngt_f64_e64 s[0:1], s[8:9], v[22:23]
	v_fma_f64 v[10:11], v[18:19], v[32:33], s[38:39]
	v_mul_f64 v[22:23], v[20:21], s[22:23]
	v_fma_f64 v[26:27], v[30:31], v[26:27], s[24:25]
	v_cndmask_b32_e32 v28, v34, v37, vcc
	s_and_b64 vcc, s[0:1], vcc
	v_cndmask_b32_e64 v29, 0, v28, s[0:1]
	v_fma_f64 v[10:11], v[18:19], v[10:11], s[36:37]
	v_rndne_f64_e32 v[22:23], v[22:23]
	v_cndmask_b32_e32 v28, 0, v36, vcc
	global_store_dwordx2 v[24:25], v[28:29], off
	v_fma_f64 v[26:27], v[30:31], v[26:27], s[20:21]
	s_mov_b32 s0, 0
	v_mov_b32_e32 v24, 0x6e6b17a6
	v_mov_b32_e32 v25, 0x4046c53b
	v_fma_f64 v[10:11], v[18:19], v[10:11], s[30:31]
	v_fma_f64 v[32:33], v[22:23], s[12:13], v[20:21]
	s_mov_b32 s1, 0xbff40000
	v_cmp_nlt_f64_e32 vcc, s[14:15], v[8:9]
	v_fma_f64 v[36:37], v[30:31], v[26:27], 1.0
	v_fma_f64 v[10:11], v[18:19], v[10:11], s[24:25]
	v_fma_f64 v[26:27], v[22:23], s[16:17], v[32:33]
	v_mov_b32_e32 v32, 0x63aaca44
	v_mov_b32_e32 v33, 0x404384f0
	v_fma_f64 v[30:31], v[30:31], v[36:37], 1.0
	v_fma_f64 v[36:37], v[18:19], v[10:11], s[20:21]
	v_fma_f64 v[10:11], v[6:7], s[2:3], v[32:33]
	v_cvt_i32_f64_e32 v32, v[12:13]
	v_fma_f64 v[12:13], v[26:27], s[18:19], v[2:3]
	v_ldexp_f64 v[30:31], v[30:31], v32
	v_fma_f64 v[28:29], v[18:19], v[36:37], 1.0
	v_mul_f64 v[32:33], v[10:11], s[22:23]
	v_fma_f64 v[36:37], v[26:27], v[12:13], s[26:27]
	v_fma_f64 v[12:13], v[6:7], s[0:1], v[24:25]
	v_cmp_ngt_f64_e64 s[0:1], s[8:9], v[8:9]
	v_cndmask_b32_e32 v31, v34, v31, vcc
	v_fma_f64 v[18:19], v[18:19], v[28:29], 1.0
	v_rndne_f64_e32 v[24:25], v[32:33]
	v_cvt_i32_f64_e32 v32, v[16:17]
	v_fma_f64 v[16:17], v[26:27], v[36:37], s[28:29]
	v_lshlrev_b64 v[28:29], 3, v[0:1]
	s_and_b64 vcc, s[0:1], vcc
	v_add_co_u32_e64 v8, s[2:3], s10, v28
	v_addc_co_u32_e64 v9, s[2:3], v35, v29, s[2:3]
	v_mul_f64 v[28:29], v[12:13], s[22:23]
	v_fma_f64 v[16:17], v[26:27], v[16:17], s[34:35]
	v_cndmask_b32_e64 v31, 0, v31, s[0:1]
	v_cndmask_b32_e32 v30, 0, v30, vcc
	v_ldexp_f64 v[18:19], v[18:19], v32
	v_fma_f64 v[32:33], v[24:25], s[12:13], v[10:11]
	global_store_dwordx2 v[8:9], v[30:31], off
	v_add_u32_e32 v0, s11, v0
	v_rndne_f64_e32 v[8:9], v[28:29]
	v_fma_f64 v[16:17], v[26:27], v[16:17], s[38:39]
	v_lshlrev_b64 v[30:31], 3, v[0:1]
	v_cmp_nlt_f64_e32 vcc, s[14:15], v[14:15]
	v_cmp_ngt_f64_e64 s[0:1], s[8:9], v[14:15]
	v_add_co_u32_e64 v14, s[2:3], s10, v30
	v_fma_f64 v[28:29], v[24:25], s[16:17], v[32:33]
	v_addc_co_u32_e64 v15, s[2:3], v35, v31, s[2:3]
	v_fma_f64 v[30:31], v[8:9], s[12:13], v[12:13]
	v_fma_f64 v[16:17], v[26:27], v[16:17], s[36:37]
	v_cndmask_b32_e32 v19, v34, v19, vcc
	s_and_b64 vcc, s[0:1], vcc
	v_cndmask_b32_e64 v19, 0, v19, s[0:1]
	v_fma_f64 v[32:33], v[28:29], s[18:19], v[2:3]
	v_cndmask_b32_e32 v18, 0, v18, vcc
	global_store_dwordx2 v[14:15], v[18:19], off
	v_add_u32_e32 v0, s11, v0
	v_fma_f64 v[36:37], v[26:27], v[16:17], s[30:31]
	v_fma_f64 v[16:17], v[8:9], s[16:17], v[30:31]
	v_cmp_ngt_f64_e64 s[0:1], s[8:9], v[20:21]
	s_mov_b32 s3, 0xbfeb851e
	v_fma_f64 v[30:31], v[28:29], v[32:33], s[26:27]
	s_mov_b32 s2, 0xb851eb85
	v_cmp_ngt_f64_e64 s[4:5], s[8:9], v[12:13]
	v_fma_f64 v[32:33], v[26:27], v[36:37], s[24:25]
	v_fma_f64 v[14:15], v[16:17], s[18:19], v[2:3]
	v_cvt_i32_f64_e32 v36, v[22:23]
	v_fma_f64 v[18:19], v[28:29], v[30:31], s[28:29]
	v_fma_f64 v[30:31], v[26:27], v[32:33], s[20:21]
	;; [unrolled: 1-line block ×3, first 2 shown]
	v_lshlrev_b64 v[32:33], 3, v[0:1]
	v_add_u32_e32 v0, s11, v0
	v_fma_f64 v[18:19], v[28:29], v[18:19], s[34:35]
	v_fma_f64 v[30:31], v[26:27], v[30:31], 1.0
	v_fma_f64 v[14:15], v[16:17], v[14:15], s[28:29]
	v_fma_f64 v[18:19], v[28:29], v[18:19], s[38:39]
	v_fma_f64 v[22:23], v[26:27], v[30:31], 1.0
	v_fma_f64 v[26:27], v[16:17], v[14:15], s[34:35]
	v_add_co_u32_e32 v14, vcc, s10, v32
	v_fma_f64 v[18:19], v[28:29], v[18:19], s[36:37]
	v_addc_co_u32_e32 v15, vcc, v35, v33, vcc
	v_lshlrev_b64 v[32:33], 3, v[0:1]
	v_ldexp_f64 v[22:23], v[22:23], v36
	v_fma_f64 v[30:31], v[16:17], v[26:27], s[38:39]
	v_add_u32_e32 v0, s11, v0
	v_fma_f64 v[26:27], v[28:29], v[18:19], s[30:31]
	v_add_co_u32_e32 v18, vcc, s10, v32
	v_addc_co_u32_e32 v19, vcc, v35, v33, vcc
	v_fma_f64 v[30:31], v[16:17], v[30:31], s[36:37]
	v_cmp_nlt_f64_e32 vcc, s[14:15], v[20:21]
	v_mov_b32_e32 v20, 0x84ed3a2b
	v_fma_f64 v[26:27], v[28:29], v[26:27], s[24:25]
	v_mov_b32_e32 v21, 0x40453cf2
	v_lshlrev_b64 v[32:33], 3, v[0:1]
	v_add_u32_e32 v0, s11, v0
	v_lshlrev_b64 v[36:37], 3, v[0:1]
	v_fma_f64 v[30:31], v[16:17], v[30:31], s[30:31]
	v_cndmask_b32_e32 v23, v34, v23, vcc
	s_and_b64 vcc, s[0:1], vcc
	v_cndmask_b32_e64 v23, 0, v23, s[0:1]
	v_cndmask_b32_e32 v22, 0, v22, vcc
	global_store_dwordx2 v[14:15], v[22:23], off
	v_fma_f64 v[14:15], v[6:7], s[2:3], v[20:21]
	v_fma_f64 v[26:27], v[28:29], v[26:27], s[20:21]
	;; [unrolled: 1-line block ×3, first 2 shown]
	v_add_co_u32_e32 v22, vcc, s10, v32
	v_addc_co_u32_e32 v23, vcc, v35, v33, vcc
	v_add_u32_e32 v0, s11, v0
	v_mul_f64 v[30:31], v[14:15], s[22:23]
	v_fma_f64 v[26:27], v[28:29], v[26:27], 1.0
	v_fma_f64 v[32:33], v[16:17], v[20:21], s[20:21]
	s_mov_b32 s3, 0xbffb851e
	v_cmp_ngt_f64_e64 s[0:1], s[8:9], v[10:11]
	v_rndne_f64_e32 v[20:21], v[30:31]
	v_fma_f64 v[28:29], v[28:29], v[26:27], 1.0
	v_fma_f64 v[30:31], v[16:17], v[32:33], 1.0
	v_add_co_u32_e32 v26, vcc, s10, v36
	v_cvt_i32_f64_e32 v36, v[24:25]
	v_lshlrev_b64 v[24:25], 3, v[0:1]
	v_addc_co_u32_e32 v27, vcc, v35, v37, vcc
	v_add_co_u32_e32 v24, vcc, s10, v24
	v_fma_f64 v[16:17], v[16:17], v[30:31], 1.0
	v_fma_f64 v[30:31], v[20:21], s[12:13], v[14:15]
	v_ldexp_f64 v[32:33], v[28:29], v36
	v_addc_co_u32_e32 v25, vcc, v35, v25, vcc
	v_mov_b32_e32 v28, 0x7e0fd058
	v_mov_b32_e32 v29, 0x4047933d
	v_cvt_i32_f64_e32 v36, v[8:9]
	v_cmp_nlt_f64_e32 vcc, s[14:15], v[10:11]
	v_mul_f64 v[8:9], v[4:5], s[6:7]
	v_fma_f64 v[10:11], v[6:7], s[2:3], v[28:29]
	v_fma_f64 v[28:29], v[20:21], s[16:17], v[30:31]
	v_cmp_nlt_f64_e64 s[2:3], s[14:15], v[12:13]
	v_ldexp_f64 v[16:17], v[16:17], v36
	v_add_u32_e32 v0, s11, v0
	s_mov_b32 s7, 0x439bc16d
	v_cndmask_b32_e32 v33, v34, v33, vcc
	global_store_dwordx2 v[18:19], v[8:9], off
	v_mul_f64 v[8:9], v[10:11], s[22:23]
	v_fma_f64 v[18:19], v[28:29], s[18:19], v[2:3]
	s_and_b64 vcc, s[0:1], vcc
	v_cndmask_b32_e64 v31, 0, v33, s[0:1]
	v_cndmask_b32_e32 v30, 0, v32, vcc
	global_store_dwordx2 v[22:23], v[30:31], off
	v_mul_f64 v[22:23], v[4:5], v[4:5]
	v_cndmask_b32_e64 v36, v34, v17, s[2:3]
	v_rndne_f64_e32 v[12:13], v[8:9]
	v_fma_f64 v[8:9], v[28:29], v[18:19], s[26:27]
	s_and_b64 vcc, s[4:5], s[2:3]
	v_cndmask_b32_e64 v33, 0, v36, s[4:5]
	v_cndmask_b32_e32 v32, 0, v16, vcc
	global_store_dwordx2 v[26:27], v[32:33], off
	v_mul_f64 v[32:33], v[22:23], s[42:43]
	v_mul_f64 v[22:23], v[22:23], s[48:49]
	v_fma_f64 v[30:31], v[12:13], s[12:13], v[10:11]
	v_fma_f64 v[8:9], v[28:29], v[8:9], s[28:29]
	v_lshlrev_b64 v[36:37], 3, v[0:1]
	s_mov_b32 s0, 0x851eb852
	v_mov_b32_e32 v17, 0x27fd750b
	v_mov_b32_e32 v18, 0x40462024
	global_store_dwordx2 v[24:25], v[32:33], off
	s_mov_b32 s1, 0xbfe851eb
	v_fma_f64 v[26:27], v[12:13], s[16:17], v[30:31]
	v_fma_f64 v[8:9], v[28:29], v[8:9], s[34:35]
	v_add_co_u32_e32 v30, vcc, s10, v36
	v_addc_co_u32_e32 v31, vcc, v35, v37, vcc
	global_store_dwordx2 v[30:31], v[22:23], off
	v_mul_f64 v[22:23], v[4:5], s[6:7]
	v_fma_f64 v[24:25], v[26:27], s[18:19], v[2:3]
	v_fma_f64 v[32:33], v[28:29], v[8:9], s[38:39]
	v_fma_f64 v[8:9], v[6:7], s[0:1], v[17:18]
	v_add_u32_e32 v0, s11, v0
	v_lshlrev_b64 v[36:37], 3, v[0:1]
	v_mul_f64 v[30:31], v[4:5], s[46:47]
	v_add_u32_e32 v0, s11, v0
	v_lshlrev_b64 v[38:39], 3, v[0:1]
	v_fma_f64 v[16:17], v[26:27], v[24:25], s[26:27]
	v_fma_f64 v[18:19], v[28:29], v[32:33], s[36:37]
	v_add_co_u32_e32 v24, vcc, s10, v36
	v_addc_co_u32_e32 v25, vcc, v35, v37, vcc
	global_store_dwordx2 v[24:25], v[22:23], off
	v_mul_f64 v[22:23], v[8:9], s[22:23]
	v_fma_f64 v[16:17], v[26:27], v[16:17], s[28:29]
	v_fma_f64 v[18:19], v[28:29], v[18:19], s[30:31]
	v_add_u32_e32 v0, s11, v0
	v_add_co_u32_e32 v24, vcc, s10, v38
	v_lshlrev_b64 v[32:33], 3, v[0:1]
	v_addc_co_u32_e32 v25, vcc, v35, v39, vcc
	v_fma_f64 v[36:37], v[26:27], v[16:17], s[34:35]
	v_rndne_f64_e32 v[16:17], v[22:23]
	v_fma_f64 v[22:23], v[28:29], v[18:19], s[24:25]
	v_add_co_u32_e32 v18, vcc, s10, v32
	global_store_dwordx2 v[24:25], v[30:31], off
	v_addc_co_u32_e32 v19, vcc, v35, v33, vcc
	v_fma_f64 v[30:31], v[26:27], v[36:37], s[38:39]
	v_fma_f64 v[32:33], v[16:17], s[12:13], v[8:9]
	;; [unrolled: 1-line block ×3, first 2 shown]
	v_cvt_i32_f64_e32 v20, v[20:21]
	s_mov_b32 s43, 0xbff3d70a
	s_mov_b32 s42, 0x3d70a3d7
	v_add_u32_e32 v0, s11, v0
	v_lshlrev_b64 v[24:25], 3, v[0:1]
	v_fma_f64 v[30:31], v[26:27], v[30:31], s[36:37]
	v_add_co_u32_e32 v24, vcc, s10, v24
	v_fma_f64 v[36:37], v[28:29], v[22:23], 1.0
	v_fma_f64 v[22:23], v[16:17], s[16:17], v[32:33]
	v_addc_co_u32_e32 v25, vcc, v35, v25, vcc
	v_cmp_nlt_f64_e32 vcc, s[14:15], v[14:15]
	v_fma_f64 v[30:31], v[26:27], v[30:31], s[30:31]
	v_cmp_ngt_f64_e64 s[0:1], s[8:9], v[14:15]
	v_mov_b32_e32 v14, 0xcf27f0e0
	v_fma_f64 v[28:29], v[28:29], v[36:37], 1.0
	v_fma_f64 v[32:33], v[22:23], s[18:19], v[2:3]
	v_mov_b32_e32 v15, 0x403fef61
	s_mov_b32 s47, 0xbfd7ae14
	s_mov_b32 s46, 0x7ae147ae
	v_fma_f64 v[30:31], v[26:27], v[30:31], s[24:25]
	v_cvt_i32_f64_e32 v36, v[12:13]
	v_fma_f64 v[12:13], v[6:7], s[46:47], v[14:15]
	v_ldexp_f64 v[20:21], v[28:29], v20
	v_fma_f64 v[32:33], v[22:23], v[32:33], s[26:27]
	v_mov_b32_e32 v28, 0x41c16b70
	v_mov_b32_e32 v29, 0x40465a31
	v_fma_f64 v[28:29], v[6:7], s[42:43], v[28:29]
	v_fma_f64 v[30:31], v[26:27], v[30:31], s[20:21]
	v_add_u32_e32 v0, s11, v0
	v_cvt_i32_f64_e32 v16, v[16:17]
	v_cndmask_b32_e32 v21, v34, v21, vcc
	v_fma_f64 v[32:33], v[22:23], v[32:33], s[28:29]
	s_and_b64 vcc, s[0:1], vcc
	v_cndmask_b32_e64 v21, 0, v21, s[0:1]
	v_mul_f64 v[14:15], v[28:29], s[22:23]
	v_fma_f64 v[30:31], v[26:27], v[30:31], 1.0
	v_cndmask_b32_e32 v20, 0, v20, vcc
	global_store_dwordx2 v[18:19], v[20:21], off
	v_mul_f64 v[20:21], v[12:13], s[22:23]
	v_fma_f64 v[32:33], v[22:23], v[32:33], s[34:35]
	v_cmp_nlt_f64_e32 vcc, s[14:15], v[10:11]
	v_cmp_ngt_f64_e64 s[0:1], s[8:9], v[10:11]
	v_cmp_ngt_f64_e64 s[4:5], s[8:9], v[8:9]
	v_fma_f64 v[26:27], v[26:27], v[30:31], 1.0
	s_mov_b32 s6, 0xe24febd1
	s_mov_b32 s7, 0xc079ca33
	v_rndne_f64_e32 v[20:21], v[20:21]
	v_fma_f64 v[30:31], v[22:23], v[32:33], s[38:39]
	s_mov_b32 s49, 0xc09c4e51
	s_mov_b32 s48, 0xeb851eb8
	;; [unrolled: 1-line block ×3, first 2 shown]
	v_ldexp_f64 v[26:27], v[26:27], v36
	v_lshlrev_b64 v[36:37], 3, v[0:1]
	v_add_u32_e32 v0, s11, v0
	v_add_co_u32_e64 v18, s[2:3], s10, v36
	v_fma_f64 v[32:33], v[22:23], v[30:31], s[36:37]
	v_rndne_f64_e32 v[30:31], v[14:15]
	v_addc_co_u32_e64 v19, s[2:3], v35, v37, s[2:3]
	v_cndmask_b32_e32 v27, v34, v27, vcc
	s_and_b64 vcc, s[0:1], vcc
	v_cndmask_b32_e64 v27, 0, v27, s[0:1]
	v_cndmask_b32_e32 v26, 0, v26, vcc
	v_fma_f64 v[14:15], v[22:23], v[32:33], s[30:31]
	v_fma_f64 v[10:11], v[30:31], s[12:13], v[28:29]
	global_store_dwordx2 v[24:25], v[26:27], off
	v_fma_f64 v[24:25], v[20:21], s[12:13], v[12:13]
	v_lshlrev_b64 v[32:33], 3, v[0:1]
	s_mov_b32 s0, 0xbda9435b
	s_mov_b32 s1, 0xc0751a88
	v_cmp_nlt_f64_e64 s[2:3], s[14:15], v[8:9]
	v_fma_f64 v[14:15], v[22:23], v[14:15], s[24:25]
	v_fma_f64 v[36:37], v[30:31], s[16:17], v[10:11]
	v_add_co_u32_e32 v10, vcc, s10, v32
	v_fma_f64 v[24:25], v[20:21], s[16:17], v[24:25]
	v_addc_co_u32_e32 v11, vcc, v35, v33, vcc
	v_cmp_nlt_f64_e32 vcc, s[14:15], v[28:29]
	v_fma_f64 v[14:15], v[22:23], v[14:15], s[20:21]
	v_fma_f64 v[26:27], v[36:37], s[18:19], v[2:3]
	v_add_u32_e32 v0, s11, v0
	s_mov_b32 s43, 0x3ffbd70a
	v_fma_f64 v[14:15], v[22:23], v[14:15], 1.0
	v_fma_f64 v[26:27], v[36:37], v[26:27], s[26:27]
	v_fma_f64 v[22:23], v[22:23], v[14:15], 1.0
	v_fma_f64 v[14:15], v[24:25], s[18:19], v[2:3]
	v_fma_f64 v[26:27], v[36:37], v[26:27], s[28:29]
	v_ldexp_f64 v[16:17], v[22:23], v16
	v_fma_f64 v[14:15], v[24:25], v[14:15], s[26:27]
	v_fma_f64 v[26:27], v[36:37], v[26:27], s[34:35]
	v_cndmask_b32_e64 v17, v34, v17, s[2:3]
	v_fma_f64 v[14:15], v[24:25], v[14:15], s[28:29]
	v_fma_f64 v[26:27], v[36:37], v[26:27], s[38:39]
	s_and_b64 s[2:3], s[4:5], s[2:3]
	v_cndmask_b32_e64 v17, 0, v17, s[4:5]
	v_cndmask_b32_e64 v16, 0, v16, s[2:3]
	global_store_dwordx2 v[18:19], v[16:17], off
	v_mov_b32_e32 v16, 0xb7de283f
	v_mov_b32_e32 v17, 0x403fe410
	v_fma_f64 v[14:15], v[24:25], v[14:15], s[34:35]
	v_fma_f64 v[26:27], v[36:37], v[26:27], s[36:37]
	;; [unrolled: 1-line block ×3, first 2 shown]
	s_mov_b32 s61, 0x40067ae1
	v_fma_f64 v[14:15], v[24:25], v[14:15], s[38:39]
	v_fma_f64 v[26:27], v[36:37], v[26:27], s[30:31]
	v_cmp_ngt_f64_e64 s[4:5], s[8:9], v[16:17]
	v_fma_f64 v[14:15], v[24:25], v[14:15], s[36:37]
	v_fma_f64 v[26:27], v[36:37], v[26:27], s[24:25]
	;; [unrolled: 1-line block ×5, first 2 shown]
	v_fma_f64 v[26:27], v[36:37], v[26:27], 1.0
	v_fma_f64 v[14:15], v[24:25], v[14:15], s[20:21]
	v_fma_f64 v[32:33], v[36:37], v[26:27], 1.0
	v_mov_b32_e32 v26, 0x69f7eb5f
	v_mov_b32_e32 v27, 0x403d0281
	v_fma_f64 v[36:37], v[24:25], v[14:15], 1.0
	v_fma_f64 v[14:15], v[4:5], s[0:1], v[26:27]
	v_cmp_ngt_f64_e64 s[0:1], s[8:9], v[28:29]
	v_fma_f64 v[36:37], v[24:25], v[36:37], 1.0
	v_mul_f64 v[24:25], v[14:15], s[22:23]
	v_rndne_f64_e32 v[24:25], v[24:25]
	v_fma_f64 v[22:23], v[24:25], s[12:13], v[14:15]
	v_fma_f64 v[26:27], v[24:25], s[16:17], v[22:23]
	v_cvt_i32_f64_e32 v22, v[30:31]
	v_cvt_i32_f64_e32 v24, v[24:25]
	v_ldexp_f64 v[30:31], v[32:33], v22
	v_cvt_i32_f64_e32 v32, v[20:21]
	v_fma_f64 v[8:9], v[26:27], s[18:19], v[2:3]
	v_cndmask_b32_e32 v31, v34, v31, vcc
	s_and_b64 vcc, s[0:1], vcc
	v_cndmask_b32_e32 v30, 0, v30, vcc
	v_fma_f64 v[8:9], v[26:27], v[8:9], s[26:27]
	v_cmp_nlt_f64_e32 vcc, s[14:15], v[12:13]
	v_cndmask_b32_e64 v31, 0, v31, s[0:1]
	global_store_dwordx2 v[10:11], v[30:31], off
	v_lshlrev_b64 v[10:11], 3, v[0:1]
	v_cmp_ngt_f64_e64 s[0:1], s[8:9], v[12:13]
	v_add_co_u32_e64 v31, s[2:3], s10, v10
	v_fma_f64 v[22:23], v[26:27], v[8:9], s[28:29]
	v_mov_b32_e32 v8, 0x9d39614b
	v_mov_b32_e32 v9, 0x403e70bf
	v_fma_f64 v[8:9], v[4:5], s[6:7], v[8:9]
	s_mov_b32 s7, 0x406f7377
	s_mov_b32 s6, 0x78dd6170
	v_add_u32_e32 v0, s11, v0
	v_fma_f64 v[22:23], v[26:27], v[22:23], s[34:35]
	v_mul_f64 v[20:21], v[8:9], s[22:23]
	v_fma_f64 v[28:29], v[26:27], v[22:23], s[38:39]
	v_rndne_f64_e32 v[22:23], v[20:21]
	v_fma_f64 v[20:21], v[26:27], v[28:29], s[36:37]
	v_ldexp_f64 v[28:29], v[36:37], v32
	v_addc_co_u32_e64 v32, s[2:3], v35, v11, s[2:3]
	v_fma_f64 v[18:19], v[22:23], s[12:13], v[8:9]
	s_mov_b32 s2, 0x2107b78
	s_mov_b32 s3, 0x4089a1f2
	v_fma_f64 v[20:21], v[26:27], v[20:21], s[30:31]
	v_cndmask_b32_e32 v33, v34, v29, vcc
	v_mul_f64 v[29:30], v[16:17], s[22:23]
	s_and_b64 vcc, s[0:1], vcc
	v_fma_f64 v[18:19], v[22:23], s[16:17], v[18:19]
	v_cndmask_b32_e32 v28, 0, v28, vcc
	v_cmp_nlt_f64_e32 vcc, s[14:15], v[14:15]
	v_fma_f64 v[10:11], v[26:27], v[20:21], s[24:25]
	v_rndne_f64_e32 v[12:13], v[29:30]
	v_cndmask_b32_e64 v29, 0, v33, s[0:1]
	v_fma_f64 v[20:21], v[18:19], s[18:19], v[2:3]
	global_store_dwordx2 v[31:32], v[28:29], off
	v_cmp_ngt_f64_e64 s[0:1], s[8:9], v[14:15]
	v_mov_b32_e32 v14, 0xb03ef78d
	v_fma_f64 v[10:11], v[26:27], v[10:11], s[20:21]
	v_mov_b32_e32 v15, 0x4039973e
	v_fma_f64 v[36:37], v[12:13], s[12:13], v[16:17]
	v_fma_f64 v[14:15], v[4:5], s[2:3], v[14:15]
	;; [unrolled: 1-line block ×3, first 2 shown]
	v_lshlrev_b64 v[32:33], 3, v[0:1]
	v_add_u32_e32 v0, s11, v0
	v_fma_f64 v[10:11], v[26:27], v[10:11], 1.0
	v_fma_f64 v[38:39], v[18:19], v[20:21], s[28:29]
	v_fma_f64 v[20:21], v[12:13], s[16:17], v[36:37]
	v_fma_f64 v[10:11], v[26:27], v[10:11], 1.0
	v_fma_f64 v[26:27], v[18:19], v[38:39], s[34:35]
	v_fma_f64 v[36:37], v[20:21], s[18:19], v[2:3]
	v_ldexp_f64 v[24:25], v[10:11], v24
	v_mov_b32_e32 v10, 0xdbdd0b08
	v_mov_b32_e32 v11, 0x403f77e3
	v_fma_f64 v[10:11], v[4:5], s[6:7], v[10:11]
	v_fma_f64 v[26:27], v[18:19], v[26:27], s[38:39]
	;; [unrolled: 1-line block ×3, first 2 shown]
	s_mov_b32 s7, 0x407f7377
	v_mul_f64 v[30:31], v[10:11], s[22:23]
	v_fma_f64 v[26:27], v[18:19], v[26:27], s[36:37]
	v_fma_f64 v[36:37], v[20:21], v[36:37], s[28:29]
	;; [unrolled: 1-line block ×8, first 2 shown]
	v_fma_f64 v[26:27], v[18:19], v[26:27], 1.0
	v_fma_f64 v[28:29], v[20:21], v[36:37], s[30:31]
	v_cndmask_b32_e32 v36, v34, v25, vcc
	s_and_b64 vcc, s[0:1], vcc
	v_fma_f64 v[25:26], v[18:19], v[26:27], 1.0
	v_fma_f64 v[27:28], v[20:21], v[28:29], s[24:25]
	v_rndne_f64_e32 v[18:19], v[30:31]
	v_cvt_i32_f64_e32 v29, v[22:23]
	v_add_co_u32_e64 v22, s[2:3], s10, v32
	v_cndmask_b32_e64 v30, 0, v36, s[0:1]
	v_mul_f64 v[36:37], v[14:15], s[22:23]
	v_ldexp_f64 v[25:26], v[25:26], v29
	v_cndmask_b32_e32 v29, 0, v24, vcc
	v_fma_f64 v[27:28], v[20:21], v[27:28], s[20:21]
	v_fma_f64 v[31:32], v[18:19], s[12:13], v[10:11]
	v_cmp_nlt_f64_e32 vcc, s[14:15], v[8:9]
	v_addc_co_u32_e64 v23, s[2:3], v35, v33, s[2:3]
	v_cmp_ngt_f64_e64 s[0:1], s[8:9], v[8:9]
	global_store_dwordx2 v[22:23], v[29:30], off
	v_rndne_f64_e32 v[22:23], v[36:37]
	v_fma_f64 v[8:9], v[20:21], v[27:28], 1.0
	v_cvt_i32_f64_e32 v36, v[12:13]
	v_cndmask_b32_e32 v24, v34, v26, vcc
	v_fma_f64 v[26:27], v[18:19], s[16:17], v[31:32]
	v_lshlrev_b64 v[28:29], 3, v[0:1]
	s_and_b64 vcc, s[0:1], vcc
	v_add_co_u32_e64 v28, s[2:3], s10, v28
	v_fma_f64 v[8:9], v[20:21], v[8:9], 1.0
	v_fma_f64 v[30:31], v[22:23], s[12:13], v[14:15]
	v_addc_co_u32_e64 v29, s[2:3], v35, v29, s[2:3]
	v_fma_f64 v[20:21], v[26:27], s[18:19], v[2:3]
	v_cmp_nlt_f64_e64 s[2:3], s[14:15], v[16:17]
	v_cndmask_b32_e64 v17, 0, v24, s[0:1]
	v_cndmask_b32_e32 v16, 0, v25, vcc
	v_ldexp_f64 v[8:9], v[8:9], v36
	s_mov_b32 s0, 0x9a415f46
	global_store_dwordx2 v[28:29], v[16:17], off
	s_mov_b32 s1, 0xc0b79699
	v_fma_f64 v[32:33], v[26:27], v[20:21], s[26:27]
	v_fma_f64 v[20:21], v[22:23], s[16:17], v[30:31]
	s_and_b64 vcc, s[4:5], s[2:3]
	v_add_u32_e32 v0, s11, v0
	v_cndmask_b32_e64 v9, v34, v9, s[2:3]
	v_cndmask_b32_e64 v17, 0, v9, s[4:5]
	v_cndmask_b32_e32 v16, 0, v8, vcc
	v_mov_b32_e32 v8, 0x5d8bcc51
	v_fma_f64 v[12:13], v[26:27], v[32:33], s[28:29]
	v_fma_f64 v[30:31], v[20:21], s[18:19], v[2:3]
	v_mov_b32_e32 v9, 0x4040d5ec
	v_fma_f64 v[8:9], v[4:5], s[0:1], v[8:9]
	v_lshlrev_b64 v[28:29], 3, v[0:1]
	v_add_u32_e32 v0, s11, v0
	v_add_co_u32_e32 v28, vcc, s10, v28
	v_fma_f64 v[12:13], v[26:27], v[12:13], s[34:35]
	v_fma_f64 v[30:31], v[20:21], v[30:31], s[26:27]
	v_addc_co_u32_e32 v29, vcc, v35, v29, vcc
	global_store_dwordx2 v[28:29], v[16:17], off
	v_mul_f64 v[28:29], v[8:9], s[22:23]
	v_lshlrev_b64 v[16:17], 3, v[0:1]
	s_mov_b32 s0, 0xe1719f8
	v_fma_f64 v[12:13], v[26:27], v[12:13], s[38:39]
	v_fma_f64 v[30:31], v[20:21], v[30:31], s[28:29]
	v_add_co_u32_e32 v16, vcc, s10, v16
	v_addc_co_u32_e32 v17, vcc, v35, v17, vcc
	s_mov_b32 s1, 0xc0a47174
	v_cmp_nlt_f64_e32 vcc, s[14:15], v[10:11]
	v_fma_f64 v[12:13], v[26:27], v[12:13], s[36:37]
	v_fma_f64 v[30:31], v[20:21], v[30:31], s[34:35]
	v_add_u32_e32 v0, s11, v0
	s_mov_b32 s4, 0x4ddb5526
	s_mov_b32 s5, 0xc06420f0
	v_fma_f64 v[12:13], v[26:27], v[12:13], s[30:31]
	v_fma_f64 v[30:31], v[20:21], v[30:31], s[38:39]
	v_fma_f64 v[12:13], v[26:27], v[12:13], s[24:25]
	v_fma_f64 v[24:25], v[20:21], v[30:31], s[36:37]
	v_cvt_i32_f64_e32 v30, v[18:19]
	v_rndne_f64_e32 v[18:19], v[28:29]
	v_fma_f64 v[12:13], v[26:27], v[12:13], s[20:21]
	v_fma_f64 v[24:25], v[20:21], v[24:25], s[30:31]
	v_cvt_i32_f64_e32 v36, v[18:19]
	v_fma_f64 v[12:13], v[26:27], v[12:13], 1.0
	v_fma_f64 v[24:25], v[20:21], v[24:25], s[24:25]
	v_fma_f64 v[26:27], v[26:27], v[12:13], 1.0
	v_mov_b32_e32 v12, 0x303c07f
	v_mov_b32_e32 v13, 0x40304f08
	v_fma_f64 v[24:25], v[20:21], v[24:25], s[20:21]
	v_fma_f64 v[28:29], v[6:7], 2.0, v[12:13]
	v_mov_b32_e32 v12, s50
	v_mov_b32_e32 v13, s51
	global_store_dwordx2 v[16:17], v[12:13], off
	v_ldexp_f64 v[26:27], v[26:27], v30
	v_fma_f64 v[30:31], v[18:19], s[12:13], v[8:9]
	v_fma_f64 v[24:25], v[20:21], v[24:25], 1.0
	v_fma_f64 v[16:17], v[4:5], s[0:1], v[28:29]
	v_cmp_ngt_f64_e64 s[0:1], s[8:9], v[10:11]
	v_lshlrev_b64 v[10:11], 3, v[0:1]
	v_add_u32_e32 v0, s11, v0
	v_cndmask_b32_e32 v29, v34, v27, vcc
	v_cvt_i32_f64_e32 v27, v[22:23]
	v_add_co_u32_e64 v10, s[2:3], s10, v10
	v_fma_f64 v[20:21], v[20:21], v[24:25], 1.0
	v_fma_f64 v[24:25], v[18:19], s[16:17], v[30:31]
	v_mul_f64 v[22:23], v[16:17], s[22:23]
	s_and_b64 vcc, s[0:1], vcc
	v_addc_co_u32_e64 v11, s[2:3], v35, v11, s[2:3]
	v_cndmask_b32_e64 v30, 0, v29, s[0:1]
	v_cndmask_b32_e32 v29, 0, v26, vcc
	v_ldexp_f64 v[27:28], v[20:21], v27
	v_fma_f64 v[31:32], v[24:25], s[18:19], v[2:3]
	v_rndne_f64_e32 v[20:21], v[22:23]
	global_store_dwordx2 v[10:11], v[29:30], off
	v_cmp_nlt_f64_e32 vcc, s[14:15], v[14:15]
	v_cmp_ngt_f64_e64 s[0:1], s[8:9], v[14:15]
	v_mov_b32_e32 v10, 0xd0e057c4
	v_mov_b32_e32 v11, 0x403def00
	v_fma_f64 v[10:11], v[4:5], s[48:49], v[10:11]
	v_fma_f64 v[14:15], v[24:25], v[31:32], s[26:27]
	;; [unrolled: 1-line block ×3, first 2 shown]
	s_mov_b32 s49, 0x3fdeb851
	v_cndmask_b32_e32 v26, v34, v28, vcc
	s_and_b64 vcc, s[0:1], vcc
	v_cndmask_b32_e64 v33, 0, v26, s[0:1]
	v_cndmask_b32_e32 v32, 0, v27, vcc
	v_lshlrev_b64 v[28:29], 3, v[0:1]
	v_fma_f64 v[14:15], v[24:25], v[14:15], s[28:29]
	v_fma_f64 v[30:31], v[20:21], s[16:17], v[22:23]
	v_mul_f64 v[22:23], v[10:11], s[22:23]
	v_add_co_u32_e64 v28, s[2:3], s10, v28
	v_addc_co_u32_e64 v29, s[2:3], v35, v29, s[2:3]
	global_store_dwordx2 v[28:29], v[32:33], off
	v_fma_f64 v[14:15], v[24:25], v[14:15], s[34:35]
	v_fma_f64 v[26:27], v[30:31], s[18:19], v[2:3]
	v_rndne_f64_e32 v[22:23], v[22:23]
	v_cmp_nlt_f64_e32 vcc, s[14:15], v[8:9]
	v_cmp_ngt_f64_e64 s[0:1], s[8:9], v[8:9]
	v_add_u32_e32 v0, s11, v0
	v_fma_f64 v[14:15], v[24:25], v[14:15], s[38:39]
	v_fma_f64 v[26:27], v[30:31], v[26:27], s[26:27]
	;; [unrolled: 1-line block ×15, first 2 shown]
	v_fma_f64 v[14:15], v[24:25], v[14:15], 1.0
	v_fma_f64 v[26:27], v[30:31], v[26:27], s[30:31]
	v_fma_f64 v[32:33], v[28:29], v[32:33], s[34:35]
	v_fma_f64 v[14:15], v[24:25], v[14:15], 1.0
	v_fma_f64 v[24:25], v[30:31], v[26:27], s[24:25]
	v_mov_b32_e32 v26, 0xb025cd19
	v_mov_b32_e32 v27, 0x40301494
	v_fma_f64 v[18:19], v[28:29], v[32:33], s[38:39]
	v_fma_f64 v[26:27], v[6:7], 2.0, v[26:27]
	v_ldexp_f64 v[14:15], v[14:15], v36
	v_fma_f64 v[24:25], v[30:31], v[24:25], s[20:21]
	v_fma_f64 v[32:33], v[28:29], v[18:19], s[36:37]
	;; [unrolled: 1-line block ×3, first 2 shown]
	v_cndmask_b32_e32 v15, v34, v15, vcc
	v_fma_f64 v[24:25], v[30:31], v[24:25], 1.0
	s_and_b64 vcc, s[0:1], vcc
	v_cndmask_b32_e64 v15, 0, v15, s[0:1]
	v_fma_f64 v[8:9], v[28:29], v[32:33], s[30:31]
	v_mul_f64 v[26:27], v[18:19], s[22:23]
	v_cvt_i32_f64_e32 v32, v[20:21]
	v_cndmask_b32_e32 v14, 0, v14, vcc
	v_cmp_nlt_f64_e32 vcc, s[14:15], v[16:17]
	v_fma_f64 v[24:25], v[30:31], v[24:25], 1.0
	v_lshlrev_b64 v[30:31], 3, v[0:1]
	v_cmp_ngt_f64_e64 s[0:1], s[8:9], v[16:17]
	v_fma_f64 v[8:9], v[28:29], v[8:9], s[24:25]
	v_rndne_f64_e32 v[20:21], v[26:27]
	v_add_co_u32_e64 v26, s[2:3], s10, v30
	v_addc_co_u32_e64 v27, s[2:3], v35, v31, s[2:3]
	v_ldexp_f64 v[30:31], v[24:25], v32
	v_add_u32_e32 v0, s11, v0
	v_fma_f64 v[8:9], v[28:29], v[8:9], s[20:21]
	v_fma_f64 v[24:25], v[20:21], s[12:13], v[18:19]
	global_store_dwordx2 v[26:27], v[14:15], off
	v_lshlrev_b64 v[14:15], 3, v[0:1]
	v_cvt_i32_f64_e32 v32, v[22:23]
	v_add_co_u32_e64 v26, s[2:3], s10, v14
	v_addc_co_u32_e64 v27, s[2:3], v35, v15, s[2:3]
	v_fma_f64 v[8:9], v[28:29], v[8:9], 1.0
	v_fma_f64 v[16:17], v[20:21], s[16:17], v[24:25]
	s_mov_b32 s2, 0x9472e92c
	s_mov_b32 s3, 0x403c30cd
	v_mov_b32_e32 v15, s3
	v_mov_b32_e32 v14, s2
	v_fma_f64 v[24:25], v[4:5], s[4:5], v[14:15]
	v_cndmask_b32_e32 v31, v34, v31, vcc
	v_fma_f64 v[8:9], v[28:29], v[8:9], 1.0
	v_fma_f64 v[28:29], v[16:17], s[18:19], v[2:3]
	s_and_b64 vcc, s[0:1], vcc
	v_cndmask_b32_e32 v30, 0, v30, vcc
	v_cmp_nlt_f64_e32 vcc, s[14:15], v[10:11]
	v_cndmask_b32_e64 v31, 0, v31, s[0:1]
	v_cmp_ngt_f64_e64 s[0:1], s[8:9], v[10:11]
	global_store_dwordx2 v[26:27], v[30:31], off
	v_ldexp_f64 v[8:9], v[8:9], v32
	v_fma_f64 v[22:23], v[16:17], v[28:29], s[26:27]
	v_mul_f64 v[28:29], v[24:25], s[22:23]
	v_add_u32_e32 v0, s11, v0
	v_lshlrev_b64 v[26:27], 3, v[0:1]
	v_add_u32_e32 v0, s11, v0
	v_add_co_u32_e64 v26, s[2:3], s10, v26
	v_cndmask_b32_e32 v36, v34, v9, vcc
	v_fma_f64 v[22:23], v[16:17], v[22:23], s[28:29]
	v_rndne_f64_e32 v[28:29], v[28:29]
	s_and_b64 vcc, s[0:1], vcc
	v_addc_co_u32_e64 v27, s[2:3], v35, v27, s[2:3]
	v_fma_f64 v[22:23], v[16:17], v[22:23], s[34:35]
	v_fma_f64 v[32:33], v[28:29], s[12:13], v[24:25]
	;; [unrolled: 1-line block ×4, first 2 shown]
	v_cndmask_b32_e64 v33, 0, v36, s[0:1]
	s_mov_b32 s0, 0x57d1782d
	v_cndmask_b32_e32 v32, 0, v8, vcc
	v_mov_b32_e32 v8, 0x1124eb7
	s_mov_b32 s1, 0xc0b2cac0
	v_cvt_i32_f64_e32 v36, v[20:21]
	v_fma_f64 v[9:10], v[16:17], v[9:10], s[36:37]
	v_fma_f64 v[30:31], v[22:23], s[18:19], v[2:3]
	global_store_dwordx2 v[26:27], v[32:33], off
	v_cmp_nlt_f64_e32 vcc, s[14:15], v[18:19]
	v_lshlrev_b64 v[32:33], 3, v[0:1]
	v_add_u32_e32 v0, s11, v0
	v_fma_f64 v[9:10], v[16:17], v[9:10], s[30:31]
	v_fma_f64 v[30:31], v[22:23], v[30:31], s[26:27]
	;; [unrolled: 1-line block ×6, first 2 shown]
	v_fma_f64 v[10:11], v[16:17], v[9:10], 1.0
	v_mov_b32_e32 v9, 0x4040ff3d
	v_fma_f64 v[30:31], v[22:23], v[30:31], s[38:39]
	v_fma_f64 v[8:9], v[4:5], s[0:1], v[8:9]
	v_cmp_ngt_f64_e64 s[0:1], s[8:9], v[18:19]
	v_mov_b32_e32 v18, 0xefea0847
	v_mov_b32_e32 v19, 0x40410400
	v_fma_f64 v[18:19], v[4:5], s[70:71], v[18:19]
	v_fma_f64 v[10:11], v[16:17], v[10:11], 1.0
	v_fma_f64 v[30:31], v[22:23], v[30:31], s[36:37]
	v_mul_f64 v[16:17], v[8:9], s[22:23]
	v_ldexp_f64 v[10:11], v[10:11], v36
	v_fma_f64 v[30:31], v[22:23], v[30:31], s[30:31]
	v_rndne_f64_e32 v[16:17], v[16:17]
	v_cndmask_b32_e32 v11, v34, v11, vcc
	s_and_b64 vcc, s[0:1], vcc
	v_fma_f64 v[20:21], v[22:23], v[30:31], s[24:25]
	v_fma_f64 v[30:31], v[16:17], s[12:13], v[8:9]
	v_cndmask_b32_e64 v11, 0, v11, s[0:1]
	v_cndmask_b32_e32 v10, 0, v10, vcc
	v_cmp_nlt_f64_e32 vcc, s[14:15], v[24:25]
	v_cmp_ngt_f64_e64 s[0:1], s[8:9], v[24:25]
	v_fma_f64 v[36:37], v[22:23], v[20:21], s[20:21]
	v_fma_f64 v[20:21], v[16:17], s[16:17], v[30:31]
	v_cvt_i32_f64_e32 v16, v[16:17]
	v_fma_f64 v[30:31], v[22:23], v[36:37], 1.0
	v_fma_f64 v[26:27], v[20:21], s[18:19], v[2:3]
	v_fma_f64 v[22:23], v[22:23], v[30:31], 1.0
	v_fma_f64 v[26:27], v[20:21], v[26:27], s[26:27]
	v_cvt_i32_f64_e32 v30, v[28:29]
	v_add_co_u32_e64 v28, s[2:3], s10, v32
	v_addc_co_u32_e64 v29, s[2:3], v35, v33, s[2:3]
	global_store_dwordx2 v[28:29], v[10:11], off
	v_ldexp_f64 v[22:23], v[22:23], v30
	v_fma_f64 v[26:27], v[20:21], v[26:27], s[28:29]
	v_mul_f64 v[30:31], v[18:19], s[22:23]
	v_cndmask_b32_e32 v23, v34, v23, vcc
	v_fma_f64 v[10:11], v[20:21], v[26:27], s[34:35]
	v_rndne_f64_e32 v[24:25], v[30:31]
	v_lshlrev_b64 v[26:27], 3, v[0:1]
	v_mov_b32_e32 v30, 0xe810f5f2
	v_add_co_u32_e64 v26, s[2:3], s10, v26
	v_addc_co_u32_e64 v27, s[2:3], v35, v27, s[2:3]
	s_mov_b32 s2, 0x53f7ced9
	v_mov_b32_e32 v31, 0x4031ada7
	s_mov_b32 s3, 0x3ff3a5e3
	v_fma_f64 v[10:11], v[20:21], v[10:11], s[38:39]
	v_fma_f64 v[28:29], v[24:25], s[12:13], v[18:19]
	;; [unrolled: 1-line block ×3, first 2 shown]
	s_mov_b32 s2, 0x432e52fa
	s_mov_b32 s3, 0xc0419cd2
	s_and_b64 vcc, s[0:1], vcc
	v_cndmask_b32_e64 v23, 0, v23, s[0:1]
	v_cndmask_b32_e32 v22, 0, v22, vcc
	v_fma_f64 v[32:33], v[20:21], v[10:11], s[36:37]
	v_fma_f64 v[28:29], v[24:25], s[16:17], v[28:29]
	;; [unrolled: 1-line block ×3, first 2 shown]
	global_store_dwordx2 v[26:27], v[22:23], off
	v_cmp_nlt_f64_e32 vcc, s[14:15], v[8:9]
	v_cmp_ngt_f64_e64 s[0:1], s[8:9], v[8:9]
	s_mov_b32 s2, 0x7e90ff97
	s_mov_b32 s3, 0xc0e38f01
	v_fma_f64 v[22:23], v[20:21], v[32:33], s[30:31]
	v_fma_f64 v[26:27], v[28:29], s[18:19], v[2:3]
	v_mul_f64 v[30:31], v[10:11], s[22:23]
	v_add_u32_e32 v0, s11, v0
	v_fma_f64 v[32:33], v[20:21], v[22:23], s[24:25]
	v_fma_f64 v[26:27], v[28:29], v[26:27], s[26:27]
	v_rndne_f64_e32 v[22:23], v[30:31]
	v_fma_f64 v[30:31], v[20:21], v[32:33], s[20:21]
	v_fma_f64 v[26:27], v[28:29], v[26:27], s[28:29]
	;; [unrolled: 1-line block ×3, first 2 shown]
	v_fma_f64 v[30:31], v[20:21], v[30:31], 1.0
	v_fma_f64 v[36:37], v[28:29], v[26:27], s[34:35]
	v_fma_f64 v[26:27], v[22:23], s[16:17], v[32:33]
	v_fma_f64 v[20:21], v[20:21], v[30:31], 1.0
	v_fma_f64 v[30:31], v[28:29], v[36:37], s[38:39]
	v_fma_f64 v[32:33], v[26:27], s[18:19], v[2:3]
	v_cvt_i32_f64_e32 v36, v[24:25]
	v_ldexp_f64 v[16:17], v[20:21], v16
	v_fma_f64 v[30:31], v[28:29], v[30:31], s[36:37]
	v_fma_f64 v[32:33], v[26:27], v[32:33], s[26:27]
	v_cndmask_b32_e32 v17, v34, v17, vcc
	v_fma_f64 v[30:31], v[28:29], v[30:31], s[30:31]
	v_fma_f64 v[32:33], v[26:27], v[32:33], s[28:29]
	s_and_b64 vcc, s[0:1], vcc
	v_cndmask_b32_e64 v17, 0, v17, s[0:1]
	v_cndmask_b32_e32 v16, 0, v16, vcc
	v_cmp_nlt_f64_e32 vcc, s[14:15], v[18:19]
	v_cmp_ngt_f64_e64 s[0:1], s[8:9], v[18:19]
	v_fma_f64 v[30:31], v[28:29], v[30:31], s[24:25]
	v_fma_f64 v[32:33], v[26:27], v[32:33], s[34:35]
	;; [unrolled: 1-line block ×4, first 2 shown]
	v_lshlrev_b64 v[32:33], 3, v[0:1]
	v_add_u32_e32 v0, s11, v0
	v_lshlrev_b64 v[18:19], 3, v[0:1]
	v_add_u32_e32 v0, s11, v0
	v_fma_f64 v[8:9], v[28:29], v[20:21], 1.0
	v_fma_f64 v[20:21], v[26:27], v[30:31], s[36:37]
	v_mov_b32_e32 v30, 0x4ffbc0d6
	v_mov_b32_e32 v31, 0x403193a3
	v_fma_f64 v[30:31], v[6:7], s[72:73], v[30:31]
	v_fma_f64 v[28:29], v[28:29], v[8:9], 1.0
	v_fma_f64 v[20:21], v[26:27], v[20:21], s[30:31]
	v_fma_f64 v[8:9], v[4:5], s[2:3], v[30:31]
	v_add_co_u32_e64 v24, s[2:3], s10, v32
	v_addc_co_u32_e64 v25, s[2:3], v35, v33, s[2:3]
	v_fma_f64 v[20:21], v[26:27], v[20:21], s[24:25]
	v_ldexp_f64 v[28:29], v[28:29], v36
	global_store_dwordx2 v[24:25], v[16:17], off
	v_mul_f64 v[30:31], v[8:9], s[22:23]
	v_add_co_u32_e64 v18, s[2:3], s10, v18
	v_addc_co_u32_e64 v19, s[2:3], v35, v19, s[2:3]
	v_fma_f64 v[16:17], v[26:27], v[20:21], s[20:21]
	s_mov_b32 s2, 0x6dc5d639
	v_mov_b32_e32 v20, 0xa049b703
	v_rndne_f64_e32 v[24:25], v[30:31]
	v_mov_b32_e32 v21, 0x403c8c1c
	s_mov_b32 s3, 0xc0d77d70
	v_cndmask_b32_e32 v33, v34, v29, vcc
	v_fma_f64 v[20:21], v[4:5], s[2:3], v[20:21]
	v_fma_f64 v[16:17], v[26:27], v[16:17], 1.0
	v_cvt_i32_f64_e32 v36, v[22:23]
	s_and_b64 vcc, s[0:1], vcc
	v_fma_f64 v[29:30], v[24:25], s[12:13], v[8:9]
	v_cndmask_b32_e32 v28, 0, v28, vcc
	v_cmp_nlt_f64_e32 vcc, s[14:15], v[10:11]
	v_cmp_ngt_f64_e64 s[4:5], s[8:9], v[20:21]
	v_fma_f64 v[16:17], v[26:27], v[16:17], 1.0
	v_fma_f64 v[26:27], v[24:25], s[16:17], v[29:30]
	v_mul_f64 v[29:30], v[20:21], s[22:23]
	v_cvt_i32_f64_e32 v24, v[24:25]
	v_ldexp_f64 v[16:17], v[16:17], v36
	v_fma_f64 v[31:32], v[26:27], s[18:19], v[2:3]
	v_rndne_f64_e32 v[22:23], v[29:30]
	v_cndmask_b32_e64 v29, 0, v33, s[0:1]
	global_store_dwordx2 v[18:19], v[28:29], off
	v_cmp_ngt_f64_e64 s[0:1], s[8:9], v[10:11]
	v_cndmask_b32_e32 v19, v34, v17, vcc
	v_lshlrev_b64 v[17:18], 3, v[0:1]
	v_add_u32_e32 v0, s11, v0
	v_fma_f64 v[30:31], v[26:27], v[31:32], s[26:27]
	v_fma_f64 v[32:33], v[22:23], s[12:13], v[20:21]
	v_add_co_u32_e64 v17, s[2:3], s10, v17
	s_and_b64 vcc, s[0:1], vcc
	v_addc_co_u32_e64 v18, s[2:3], v35, v18, s[2:3]
	s_mov_b32 s2, 0x84a0e411
	v_fma_f64 v[10:11], v[26:27], v[30:31], s[28:29]
	v_fma_f64 v[28:29], v[22:23], s[16:17], v[32:33]
	v_cndmask_b32_e64 v33, 0, v19, s[0:1]
	s_mov_b32 s0, 0xea4a8c15
	s_mov_b32 s1, 0xc0c731f4
	v_cndmask_b32_e32 v32, 0, v16, vcc
	global_store_dwordx2 v[17:18], v[32:33], off
	v_cmp_nlt_f64_e32 vcc, s[14:15], v[8:9]
	v_fma_f64 v[10:11], v[26:27], v[10:11], s[34:35]
	v_fma_f64 v[30:31], v[28:29], s[18:19], v[2:3]
	s_mov_b32 s3, 0xc08a42f9
	v_fma_f64 v[10:11], v[26:27], v[10:11], s[38:39]
	v_fma_f64 v[30:31], v[28:29], v[30:31], s[26:27]
	;; [unrolled: 1-line block ×4, first 2 shown]
	v_mov_b32_e32 v10, 0xcc02a272
	v_mov_b32_e32 v11, 0x40405221
	v_fma_f64 v[10:11], v[4:5], s[0:1], v[10:11]
	v_cmp_ngt_f64_e64 s[0:1], s[8:9], v[8:9]
	v_fma_f64 v[16:17], v[26:27], v[36:37], s[30:31]
	v_fma_f64 v[18:19], v[28:29], v[30:31], s[34:35]
	v_mul_f64 v[30:31], v[10:11], s[22:23]
	v_fma_f64 v[32:33], v[26:27], v[16:17], s[24:25]
	v_fma_f64 v[18:19], v[28:29], v[18:19], s[38:39]
	v_rndne_f64_e32 v[16:17], v[30:31]
	v_fma_f64 v[30:31], v[26:27], v[32:33], s[20:21]
	v_fma_f64 v[18:19], v[28:29], v[18:19], s[36:37]
	v_fma_f64 v[32:33], v[16:17], s[12:13], v[10:11]
	v_fma_f64 v[30:31], v[26:27], v[30:31], 1.0
	v_fma_f64 v[36:37], v[28:29], v[18:19], s[30:31]
	v_fma_f64 v[18:19], v[16:17], s[16:17], v[32:33]
	v_fma_f64 v[26:27], v[26:27], v[30:31], 1.0
	v_fma_f64 v[30:31], v[28:29], v[36:37], s[24:25]
	v_fma_f64 v[32:33], v[18:19], s[18:19], v[2:3]
	v_ldexp_f64 v[24:25], v[26:27], v24
	v_fma_f64 v[30:31], v[28:29], v[30:31], s[20:21]
	v_fma_f64 v[32:33], v[18:19], v[32:33], s[26:27]
	v_fma_f64 v[26:27], v[28:29], v[30:31], 1.0
	v_fma_f64 v[30:31], v[18:19], v[32:33], s[28:29]
	v_cndmask_b32_e32 v32, v34, v25, vcc
	s_and_b64 vcc, s[0:1], vcc
	v_fma_f64 v[8:9], v[28:29], v[26:27], 1.0
	v_mov_b32_e32 v27, 0xb50d9366
	v_mov_b32_e32 v28, 0x403285b7
	v_fma_f64 v[25:26], v[18:19], v[30:31], s[34:35]
	v_fma_f64 v[27:28], v[6:7], s[58:59], v[27:28]
	v_cvt_i32_f64_e32 v29, v[22:23]
	v_lshlrev_b64 v[22:23], 3, v[0:1]
	v_add_u32_e32 v0, s11, v0
	s_mov_b32 s59, 0xbfe0a3d7
	v_ldexp_f64 v[29:30], v[8:9], v29
	v_fma_f64 v[25:26], v[18:19], v[25:26], s[38:39]
	v_fma_f64 v[8:9], v[4:5], s[2:3], v[27:28]
	v_add_co_u32_e64 v22, s[2:3], s10, v22
	v_addc_co_u32_e64 v23, s[2:3], v35, v23, s[2:3]
	v_cmp_nlt_f64_e64 s[2:3], s[14:15], v[20:21]
	v_cndmask_b32_e64 v21, 0, v32, s[0:1]
	v_fma_f64 v[25:26], v[18:19], v[25:26], s[36:37]
	v_mul_f64 v[27:28], v[8:9], s[22:23]
	v_cndmask_b32_e32 v20, 0, v24, vcc
	s_mov_b32 s0, 0x7ae5796c
	global_store_dwordx2 v[22:23], v[20:21], off
	v_mov_b32_e32 v20, 0xa9c70e47
	v_mov_b32_e32 v21, 0x403d5f8c
	s_mov_b32 s1, 0x4077bedb
	v_fma_f64 v[22:23], v[18:19], v[25:26], s[30:31]
	v_rndne_f64_e32 v[26:27], v[27:28]
	v_fma_f64 v[20:21], v[4:5], s[0:1], v[20:21]
	v_cndmask_b32_e64 v30, v34, v30, s[2:3]
	v_cndmask_b32_e64 v25, 0, v30, s[4:5]
	s_and_b64 vcc, s[4:5], s[2:3]
	v_cndmask_b32_e32 v24, 0, v29, vcc
	v_lshlrev_b64 v[28:29], 3, v[0:1]
	v_fma_f64 v[36:37], v[18:19], v[22:23], s[24:25]
	v_fma_f64 v[30:31], v[26:27], s[12:13], v[8:9]
	v_mul_f64 v[32:33], v[20:21], s[22:23]
	v_add_co_u32_e32 v28, vcc, s10, v28
	v_addc_co_u32_e32 v29, vcc, v35, v29, vcc
	global_store_dwordx2 v[28:29], v[24:25], off
	v_cmp_nlt_f64_e32 vcc, s[14:15], v[10:11]
	v_fma_f64 v[30:31], v[26:27], s[16:17], v[30:31]
	v_rndne_f64_e32 v[22:23], v[32:33]
	v_fma_f64 v[32:33], v[18:19], v[36:37], s[20:21]
	v_cmp_ngt_f64_e64 s[0:1], s[8:9], v[10:11]
	v_add_u32_e32 v0, s11, v0
	s_mov_b32 s2, 0x3f85510d
	s_mov_b32 s3, 0x40605ac3
	v_fma_f64 v[24:25], v[30:31], s[18:19], v[2:3]
	v_fma_f64 v[28:29], v[22:23], s[12:13], v[20:21]
	v_fma_f64 v[32:33], v[18:19], v[32:33], 1.0
	v_fma_f64 v[36:37], v[30:31], v[24:25], s[26:27]
	v_fma_f64 v[24:25], v[22:23], s[16:17], v[28:29]
	v_fma_f64 v[18:19], v[18:19], v[32:33], 1.0
	v_cvt_i32_f64_e32 v22, v[22:23]
	v_fma_f64 v[28:29], v[30:31], v[36:37], s[28:29]
	v_fma_f64 v[32:33], v[24:25], s[18:19], v[2:3]
	v_cvt_i32_f64_e32 v36, v[16:17]
	v_ldexp_f64 v[18:19], v[18:19], v36
	v_fma_f64 v[28:29], v[30:31], v[28:29], s[34:35]
	v_fma_f64 v[32:33], v[24:25], v[32:33], s[26:27]
	v_cndmask_b32_e32 v19, v34, v19, vcc
	s_and_b64 vcc, s[0:1], vcc
	v_fma_f64 v[28:29], v[30:31], v[28:29], s[38:39]
	v_fma_f64 v[32:33], v[24:25], v[32:33], s[28:29]
	v_cndmask_b32_e32 v18, 0, v18, vcc
	v_cndmask_b32_e64 v19, 0, v19, s[0:1]
	s_mov_b32 s0, 0x137b0707
	s_mov_b32 s1, 0xc075b383
	v_fma_f64 v[16:17], v[30:31], v[28:29], s[36:37]
	v_fma_f64 v[28:29], v[24:25], v[32:33], s[34:35]
	;; [unrolled: 1-line block ×6, first 2 shown]
	v_lshlrev_b64 v[28:29], 3, v[0:1]
	v_add_u32_e32 v0, s11, v0
	v_add_co_u32_e32 v28, vcc, s10, v28
	v_addc_co_u32_e32 v29, vcc, v35, v29, vcc
	v_fma_f64 v[10:11], v[30:31], v[10:11], s[20:21]
	v_fma_f64 v[16:17], v[24:25], v[16:17], s[30:31]
	global_store_dwordx2 v[28:29], v[18:19], off
	v_lshlrev_b64 v[18:19], 3, v[0:1]
	v_mov_b32_e32 v28, 0x60480000
	v_add_co_u32_e32 v18, vcc, s10, v18
	v_addc_co_u32_e32 v19, vcc, v35, v19, vcc
	v_fma_f64 v[10:11], v[30:31], v[10:11], 1.0
	v_fma_f64 v[16:17], v[24:25], v[16:17], s[24:25]
	v_mov_b32_e32 v29, 0x42c9ebac
	global_store_dwordx2 v[18:19], v[28:29], off
	v_mov_b32_e32 v18, 0xf1843c3a
	v_mov_b32_e32 v19, 0x403cdad3
	v_fma_f64 v[18:19], v[4:5], s[0:1], v[18:19]
	v_add_u32_e32 v0, s11, v0
	v_fma_f64 v[10:11], v[30:31], v[10:11], 1.0
	v_fma_f64 v[16:17], v[24:25], v[16:17], s[20:21]
	v_cvt_i32_f64_e32 v30, v[26:27]
	v_lshlrev_b64 v[28:29], 3, v[0:1]
	v_mov_b32_e32 v31, 0x403bb79a
	v_add_co_u32_e32 v26, vcc, s10, v28
	v_addc_co_u32_e32 v27, vcc, v35, v29, vcc
	v_ldexp_f64 v[28:29], v[10:11], v30
	v_mov_b32_e32 v30, 0x572ebafe
	v_fma_f64 v[10:11], v[24:25], v[16:17], 1.0
	v_mul_f64 v[16:17], v[18:19], s[22:23]
	v_fma_f64 v[30:31], v[6:7], s[48:49], v[30:31]
	v_cmp_nlt_f64_e32 vcc, s[14:15], v[8:9]
	v_cmp_ngt_f64_e64 s[0:1], s[8:9], v[8:9]
	v_add_u32_e32 v0, s11, v0
	s_mov_b32 s49, 0xc0cc4e51
	v_fma_f64 v[24:25], v[24:25], v[10:11], 1.0
	v_rndne_f64_e32 v[10:11], v[16:17]
	v_fma_f64 v[8:9], v[4:5], s[2:3], v[30:31]
	v_mov_b32_e32 v16, s62
	v_cndmask_b32_e32 v29, v34, v29, vcc
	v_mov_b32_e32 v17, s63
	global_store_dwordx2 v[26:27], v[16:17], off
	v_cndmask_b32_e64 v27, 0, v29, s[0:1]
	v_ldexp_f64 v[22:23], v[24:25], v22
	v_fma_f64 v[24:25], v[10:11], s[12:13], v[18:19]
	v_mul_f64 v[29:30], v[8:9], s[22:23]
	s_and_b64 vcc, s[0:1], vcc
	v_cndmask_b32_e32 v26, 0, v28, vcc
	v_cmp_nlt_f64_e32 vcc, s[14:15], v[20:21]
	v_cmp_ngt_f64_e64 s[0:1], s[8:9], v[20:21]
	v_cmp_ngt_f64_e64 s[4:5], s[8:9], v[8:9]
	s_mov_b32 s63, 0x42ab48eb
	v_fma_f64 v[24:25], v[10:11], s[16:17], v[24:25]
	v_rndne_f64_e32 v[20:21], v[29:30]
	v_lshlrev_b64 v[28:29], 3, v[0:1]
	v_add_u32_e32 v0, s11, v0
	v_add_co_u32_e64 v28, s[2:3], s10, v28
	v_addc_co_u32_e64 v29, s[2:3], v35, v29, s[2:3]
	global_store_dwordx2 v[28:29], v[26:27], off
	v_fma_f64 v[26:27], v[24:25], s[18:19], v[2:3]
	v_fma_f64 v[28:29], v[20:21], s[12:13], v[8:9]
	v_cndmask_b32_e32 v23, v34, v23, vcc
	s_and_b64 vcc, s[0:1], vcc
	v_cndmask_b32_e64 v31, 0, v23, s[0:1]
	v_cndmask_b32_e32 v30, 0, v22, vcc
	s_mov_b32 s0, 0x9778572a
	s_mov_b32 s1, 0x4043e28b
	v_fma_f64 v[26:27], v[24:25], v[26:27], s[26:27]
	v_fma_f64 v[22:23], v[20:21], s[16:17], v[28:29]
	v_lshlrev_b64 v[28:29], 3, v[0:1]
	v_add_u32_e32 v0, s11, v0
	v_add_co_u32_e32 v28, vcc, s10, v28
	v_addc_co_u32_e32 v29, vcc, v35, v29, vcc
	v_fma_f64 v[26:27], v[24:25], v[26:27], s[28:29]
	v_fma_f64 v[32:33], v[22:23], s[18:19], v[2:3]
	global_store_dwordx2 v[28:29], v[30:31], off
	v_lshlrev_b64 v[28:29], 3, v[0:1]
	v_cvt_i32_f64_e32 v10, v[10:11]
	v_add_co_u32_e32 v28, vcc, s10, v28
	v_addc_co_u32_e32 v29, vcc, v35, v29, vcc
	v_fma_f64 v[26:27], v[24:25], v[26:27], s[34:35]
	v_fma_f64 v[32:33], v[22:23], v[32:33], s[26:27]
	v_add_u32_e32 v0, s11, v0
	v_cvt_i32_f64_e32 v20, v[20:21]
	v_fma_f64 v[26:27], v[24:25], v[26:27], s[38:39]
	v_fma_f64 v[32:33], v[22:23], v[32:33], s[28:29]
	;; [unrolled: 1-line block ×6, first 2 shown]
	v_mov_b32_e32 v32, 0x47100000
	v_mov_b32_e32 v33, 0x42be0369
	global_store_dwordx2 v[28:29], v[32:33], off
	v_add_f64 v[32:33], -v[6:7], s[0:1]
	s_mov_b32 s0, 0x780346dc
	s_mov_b32 s1, 0xc0c0b557
	v_fma_f64 v[28:29], v[24:25], v[26:27], s[24:25]
	v_fma_f64 v[30:31], v[22:23], v[30:31], s[36:37]
	v_lshlrev_b64 v[26:27], 3, v[0:1]
	v_add_u32_e32 v0, s11, v0
	v_add_co_u32_e32 v26, vcc, s10, v26
	v_addc_co_u32_e32 v27, vcc, v35, v27, vcc
	v_fma_f64 v[28:29], v[24:25], v[28:29], s[20:21]
	v_fma_f64 v[30:31], v[22:23], v[30:31], s[30:31]
	v_cmp_nlt_f64_e32 vcc, s[14:15], v[18:19]
	v_fma_f64 v[36:37], v[24:25], v[28:29], 1.0
	v_fma_f64 v[30:31], v[22:23], v[30:31], s[24:25]
	v_fma_f64 v[28:29], v[4:5], s[0:1], v[32:33]
	v_cmp_ngt_f64_e64 s[0:1], s[8:9], v[18:19]
	v_fma_f64 v[32:33], v[24:25], v[36:37], 1.0
	v_fma_f64 v[30:31], v[22:23], v[30:31], s[20:21]
	v_mul_f64 v[24:25], v[28:29], s[22:23]
	v_ldexp_f64 v[32:33], v[32:33], v10
	v_fma_f64 v[30:31], v[22:23], v[30:31], 1.0
	v_rndne_f64_e32 v[24:25], v[24:25]
	v_mov_b32_e32 v10, s74
	v_mov_b32_e32 v11, s75
	global_store_dwordx2 v[26:27], v[10:11], off
	v_fma_f64 v[22:23], v[22:23], v[30:31], 1.0
	v_fma_f64 v[26:27], v[24:25], s[12:13], v[28:29]
	v_cndmask_b32_e32 v30, v34, v33, vcc
	s_and_b64 vcc, s[0:1], vcc
	v_ldexp_f64 v[18:19], v[22:23], v20
	v_fma_f64 v[22:23], v[24:25], s[16:17], v[26:27]
	v_lshlrev_b64 v[20:21], 3, v[0:1]
	v_cndmask_b32_e64 v27, 0, v30, s[0:1]
	v_add_co_u32_e64 v20, s[2:3], s10, v20
	v_addc_co_u32_e64 v21, s[2:3], v35, v21, s[2:3]
	s_mov_b32 s0, 0x6045baf5
	v_cmp_nlt_f64_e64 s[2:3], s[14:15], v[8:9]
	v_mov_b32_e32 v8, 0x53678621
	v_mov_b32_e32 v9, 0x403da8bf
	s_mov_b32 s1, 0xc069292c
	v_fma_f64 v[30:31], v[22:23], s[18:19], v[2:3]
	v_fma_f64 v[8:9], v[4:5], s[0:1], v[8:9]
	v_cndmask_b32_e32 v26, 0, v32, vcc
	global_store_dwordx2 v[20:21], v[26:27], off
	v_cndmask_b32_e64 v33, v34, v19, s[2:3]
	s_and_b64 vcc, s[4:5], s[2:3]
	v_add_u32_e32 v0, s11, v0
	s_mov_b32 s3, 0xbfe99999
	v_fma_f64 v[19:20], v[22:23], v[30:31], s[26:27]
	v_mul_f64 v[26:27], v[8:9], s[22:23]
	v_cndmask_b32_e32 v30, 0, v18, vcc
	v_cndmask_b32_e64 v31, 0, v33, s[4:5]
	v_lshlrev_b64 v[32:33], 3, v[0:1]
	v_add_u32_e32 v0, s11, v0
	s_mov_b32 s2, s70
	v_cmp_ngt_f64_e64 s[0:1], s[8:9], v[28:29]
	v_fma_f64 v[18:19], v[22:23], v[19:20], s[28:29]
	v_rndne_f64_e32 v[20:21], v[26:27]
	v_add_co_u32_e32 v26, vcc, s10, v32
	v_addc_co_u32_e32 v27, vcc, v35, v33, vcc
	global_store_dwordx2 v[26:27], v[30:31], off
	v_lshlrev_b64 v[26:27], 3, v[0:1]
	v_fma_f64 v[18:19], v[22:23], v[18:19], s[34:35]
	v_fma_f64 v[30:31], v[20:21], s[12:13], v[8:9]
	v_add_co_u32_e32 v26, vcc, s10, v26
	v_addc_co_u32_e32 v27, vcc, v35, v27, vcc
	v_mov_b32_e32 v32, 0x3b4c0000
	v_mov_b32_e32 v33, 0x42d0b071
	global_store_dwordx2 v[26:27], v[32:33], off
	v_fma_f64 v[18:19], v[22:23], v[18:19], s[38:39]
	v_fma_f64 v[26:27], v[20:21], s[16:17], v[30:31]
	v_add_u32_e32 v0, s11, v0
	v_lshlrev_b64 v[30:31], 3, v[0:1]
	v_add_u32_e32 v0, s11, v0
	v_add_co_u32_e32 v30, vcc, s10, v30
	v_addc_co_u32_e32 v31, vcc, v35, v31, vcc
	v_fma_f64 v[18:19], v[22:23], v[18:19], s[36:37]
	v_fma_f64 v[32:33], v[26:27], s[18:19], v[2:3]
	global_store_dwordx2 v[30:31], v[16:17], off
	v_lshlrev_b64 v[30:31], 3, v[0:1]
	v_add_u32_e32 v0, s11, v0
	v_add_co_u32_e32 v30, vcc, s10, v30
	v_addc_co_u32_e32 v31, vcc, v35, v31, vcc
	v_fma_f64 v[18:19], v[22:23], v[18:19], s[30:31]
	v_fma_f64 v[32:33], v[26:27], v[32:33], s[26:27]
	global_store_dwordx2 v[30:31], v[16:17], off
	v_fma_f64 v[18:19], v[22:23], v[18:19], s[24:25]
	v_fma_f64 v[32:33], v[26:27], v[32:33], s[28:29]
	;; [unrolled: 1-line block ×4, first 2 shown]
	v_fma_f64 v[18:19], v[22:23], v[18:19], 1.0
	v_fma_f64 v[32:33], v[26:27], v[32:33], s[38:39]
	v_fma_f64 v[18:19], v[22:23], v[18:19], 1.0
	v_fma_f64 v[22:23], v[26:27], v[32:33], s[36:37]
	v_cvt_i32_f64_e32 v32, v[24:25]
	v_lshlrev_b64 v[24:25], 3, v[0:1]
	v_mov_b32_e32 v33, 0x402a3ea6
	v_add_u32_e32 v0, s11, v0
	v_ldexp_f64 v[30:31], v[18:19], v32
	v_fma_f64 v[18:19], v[26:27], v[22:23], s[30:31]
	v_add_co_u32_e32 v22, vcc, s10, v24
	v_addc_co_u32_e32 v23, vcc, v35, v25, vcc
	global_store_dwordx2 v[22:23], v[10:11], off
	v_cmp_nlt_f64_e32 vcc, s[14:15], v[28:29]
	v_cvt_i32_f64_e32 v32, v[20:21]
	v_fma_f64 v[22:23], v[26:27], v[18:19], s[24:25]
	v_mov_b32_e32 v18, 0xbf4e5f09
	v_mov_b32_e32 v19, 0x4042e0fa
	v_fma_f64 v[18:19], v[6:7], s[2:3], v[18:19]
	v_lshlrev_b64 v[24:25], 3, v[0:1]
	v_add_u32_e32 v0, s11, v0
	v_add_co_u32_e64 v24, s[2:3], s10, v24
	v_fma_f64 v[22:23], v[26:27], v[22:23], s[20:21]
	v_addc_co_u32_e64 v25, s[2:3], v35, v25, s[2:3]
	v_mul_f64 v[28:29], v[18:19], s[22:23]
	s_mov_b32 s2, 0x55475a32
	v_cndmask_b32_e32 v31, v34, v31, vcc
	s_and_b64 vcc, s[0:1], vcc
	s_mov_b32 s3, 0xc0ac6c83
	v_fma_f64 v[22:23], v[26:27], v[22:23], 1.0
	v_cndmask_b32_e64 v31, 0, v31, s[0:1]
	v_cndmask_b32_e32 v30, 0, v30, vcc
	v_rndne_f64_e32 v[28:29], v[28:29]
	v_cmp_nlt_f64_e32 vcc, s[14:15], v[8:9]
	v_cmp_ngt_f64_e64 s[0:1], s[8:9], v[8:9]
	global_store_dwordx2 v[24:25], v[30:31], off
	v_cmp_ngt_f64_e64 s[4:5], s[8:9], v[18:19]
	v_fma_f64 v[22:23], v[26:27], v[22:23], 1.0
	v_fma_f64 v[26:27], v[28:29], s[12:13], v[18:19]
	v_ldexp_f64 v[22:23], v[22:23], v32
	v_mov_b32_e32 v32, 0x6a627469
	v_fma_f64 v[32:33], v[6:7], 2.0, v[32:33]
	v_fma_f64 v[26:27], v[28:29], s[16:17], v[26:27]
	v_cndmask_b32_e32 v36, v34, v23, vcc
	v_lshlrev_b64 v[23:24], 3, v[0:1]
	s_and_b64 vcc, s[0:1], vcc
	v_fma_f64 v[20:21], v[26:27], s[18:19], v[2:3]
	v_add_u32_e32 v0, s11, v0
	v_fma_f64 v[20:21], v[26:27], v[20:21], s[26:27]
	v_fma_f64 v[20:21], v[26:27], v[20:21], s[28:29]
	;; [unrolled: 1-line block ×8, first 2 shown]
	v_add_co_u32_e64 v23, s[2:3], s10, v23
	v_addc_co_u32_e64 v24, s[2:3], v35, v24, s[2:3]
	v_cmp_nlt_f64_e64 s[2:3], s[14:15], v[18:19]
	v_fma_f64 v[8:9], v[26:27], v[8:9], s[20:21]
	v_mul_f64 v[30:31], v[20:21], s[22:23]
	v_fma_f64 v[8:9], v[26:27], v[8:9], 1.0
	v_rndne_f64_e32 v[30:31], v[30:31]
	v_fma_f64 v[8:9], v[26:27], v[8:9], 1.0
	v_fma_f64 v[25:26], v[30:31], s[12:13], v[20:21]
	v_cvt_i32_f64_e32 v27, v[28:29]
	v_ldexp_f64 v[28:29], v[8:9], v27
	v_fma_f64 v[32:33], v[30:31], s[16:17], v[25:26]
	v_cvt_i32_f64_e32 v31, v[30:31]
	v_fma_f64 v[25:26], v[32:33], s[18:19], v[2:3]
	v_fma_f64 v[25:26], v[32:33], v[25:26], s[26:27]
	;; [unrolled: 1-line block ×7, first 2 shown]
	v_cndmask_b32_e64 v26, 0, v36, s[0:1]
	s_mov_b32 s0, 0x9a1fd157
	s_mov_b32 s1, 0xc0879699
	v_cndmask_b32_e32 v25, 0, v22, vcc
	global_store_dwordx2 v[23:24], v[25:26], off
	v_lshlrev_b64 v[22:23], 3, v[0:1]
	v_cndmask_b32_e64 v36, v34, v29, s[2:3]
	v_fma_f64 v[18:19], v[32:33], v[8:9], s[24:25]
	v_mul_f64 v[8:9], v[4:5], s[0:1]
	v_add_co_u32_e32 v26, vcc, s10, v22
	v_addc_co_u32_e32 v27, vcc, v35, v23, vcc
	s_and_b64 s[2:3], s[4:5], s[2:3]
	v_cmp_nlt_f64_e32 vcc, s[14:15], v[20:21]
	v_fma_f64 v[18:19], v[32:33], v[18:19], s[20:21]
	v_mul_f64 v[22:23], v[8:9], s[22:23]
	v_cmp_ngt_f64_e64 s[0:1], s[8:9], v[20:21]
	v_cndmask_b32_e64 v20, 0, v28, s[2:3]
	v_mov_b32_e32 v28, 0x2c244b39
	v_cndmask_b32_e64 v21, 0, v36, s[4:5]
	global_store_dwordx2 v[26:27], v[20:21], off
	v_add_u32_e32 v0, s11, v0
	v_fma_f64 v[24:25], v[32:33], v[18:19], 1.0
	v_rndne_f64_e32 v[18:19], v[22:23]
	v_fma_f64 v[22:23], v[32:33], v[24:25], 1.0
	v_fma_f64 v[24:25], v[18:19], s[12:13], v[8:9]
	v_cvt_i32_f64_e32 v36, v[18:19]
	v_ldexp_f64 v[31:32], v[22:23], v31
	v_fma_f64 v[24:25], v[18:19], s[16:17], v[24:25]
	v_fma_f64 v[29:30], v[24:25], s[18:19], v[2:3]
	;; [unrolled: 1-line block ×5, first 2 shown]
	v_mov_b32_e32 v29, 0x40303d85
	v_fma_f64 v[28:29], v[6:7], 2.0, v[28:29]
	v_cndmask_b32_e32 v30, v34, v32, vcc
	s_and_b64 vcc, s[0:1], vcc
	v_fma_f64 v[22:23], v[24:25], v[22:23], s[38:39]
	v_fma_f64 v[32:33], v[24:25], v[22:23], s[36:37]
	;; [unrolled: 1-line block ×3, first 2 shown]
	v_cndmask_b32_e64 v29, 0, v30, s[0:1]
	v_cndmask_b32_e32 v28, 0, v31, vcc
	v_lshlrev_b64 v[30:31], 3, v[0:1]
	v_add_u32_e32 v0, s11, v0
	v_add_co_u32_e32 v30, vcc, s10, v30
	v_fma_f64 v[20:21], v[24:25], v[32:33], s[30:31]
	v_mul_f64 v[26:27], v[22:23], s[22:23]
	v_lshlrev_b64 v[18:19], 3, v[0:1]
	v_addc_co_u32_e32 v31, vcc, v35, v31, vcc
	v_add_co_u32_e32 v18, vcc, s10, v18
	v_addc_co_u32_e32 v19, vcc, v35, v19, vcc
	v_fma_f64 v[20:21], v[24:25], v[20:21], s[24:25]
	v_rndne_f64_e32 v[26:27], v[26:27]
	global_store_dwordx2 v[30:31], v[28:29], off
	v_cmp_nlt_f64_e32 vcc, s[14:15], v[8:9]
	v_cmp_ngt_f64_e64 s[0:1], s[8:9], v[8:9]
	v_mov_b32_e32 v30, 0x403b6b98
	v_add_u32_e32 v0, s11, v0
	s_mov_b32 s71, 0x3ff99999
	v_fma_f64 v[20:21], v[24:25], v[20:21], s[20:21]
	v_fma_f64 v[32:33], v[26:27], s[12:13], v[22:23]
	v_fma_f64 v[20:21], v[24:25], v[20:21], 1.0
	v_fma_f64 v[32:33], v[26:27], s[16:17], v[32:33]
	v_fma_f64 v[20:21], v[24:25], v[20:21], 1.0
	v_fma_f64 v[24:25], v[32:33], s[18:19], v[2:3]
	v_ldexp_f64 v[28:29], v[20:21], v36
	v_fma_f64 v[24:25], v[32:33], v[24:25], s[26:27]
	v_mov_b32_e32 v20, 0xe5400000
	v_mov_b32_e32 v21, 0x42d2309c
	global_store_dwordx2 v[18:19], v[20:21], off
	v_lshlrev_b64 v[18:19], 3, v[0:1]
	v_add_u32_e32 v0, s11, v0
	v_add_co_u32_e64 v18, s[2:3], s10, v18
	v_fma_f64 v[24:25], v[32:33], v[24:25], s[28:29]
	v_cndmask_b32_e32 v21, v34, v29, vcc
	v_mov_b32_e32 v29, 0xc990016a
	v_fma_f64 v[29:30], v[6:7], 0.5, v[29:30]
	v_addc_co_u32_e64 v19, s[2:3], v35, v19, s[2:3]
	s_and_b64 vcc, s[0:1], vcc
	s_mov_b32 s2, 0xabc94706
	v_fma_f64 v[24:25], v[32:33], v[24:25], s[34:35]
	s_mov_b32 s3, 0xc0a1bb03
	v_fma_f64 v[24:25], v[32:33], v[24:25], s[38:39]
	v_fma_f64 v[24:25], v[32:33], v[24:25], s[36:37]
	;; [unrolled: 1-line block ×3, first 2 shown]
	v_cndmask_b32_e64 v25, 0, v21, s[0:1]
	v_cndmask_b32_e32 v24, 0, v28, vcc
	s_mov_b32 s1, 0x42a33562
	s_mov_b32 s0, 0x19000000
	v_mul_f64 v[36:37], v[24:25], s[0:1]
	s_mov_b32 s1, 0x42833562
	v_mul_f64 v[24:25], v[24:25], s[0:1]
	v_fma_f64 v[8:9], v[32:33], v[8:9], s[24:25]
	v_cvt_i32_f64_e32 v21, v[26:27]
	v_cmp_ngt_f64_e64 s[0:1], s[8:9], v[22:23]
	global_store_dwordx2 v[18:19], v[36:37], off
	v_fma_f64 v[38:39], v[32:33], v[8:9], s[20:21]
	v_fma_f64 v[8:9], v[4:5], s[2:3], v[29:30]
	v_lshlrev_b64 v[30:31], 3, v[0:1]
	v_add_u32_e32 v0, s11, v0
	s_mov_b32 s2, 0x48ba83f5
	s_mov_b32 s3, 0xc072dee1
	v_fma_f64 v[18:19], v[32:33], v[38:39], 1.0
	v_mul_f64 v[28:29], v[8:9], s[22:23]
	v_fma_f64 v[32:33], v[32:33], v[18:19], 1.0
	v_rndne_f64_e32 v[18:19], v[28:29]
	v_add_co_u32_e32 v28, vcc, s10, v30
	v_addc_co_u32_e32 v29, vcc, v35, v31, vcc
	global_store_dwordx2 v[28:29], v[24:25], off
	v_lshlrev_b64 v[24:25], 3, v[0:1]
	v_ldexp_f64 v[26:27], v[32:33], v21
	v_add_co_u32_e32 v24, vcc, s10, v24
	v_addc_co_u32_e32 v25, vcc, v35, v25, vcc
	v_fma_f64 v[28:29], v[18:19], s[12:13], v[8:9]
	v_cmp_nlt_f64_e32 vcc, s[14:15], v[22:23]
	global_store_dwordx2 v[24:25], v[12:13], off
	v_add_u32_e32 v0, s11, v0
	v_lshlrev_b64 v[21:22], 3, v[0:1]
	v_add_u32_e32 v0, s11, v0
	v_fma_f64 v[23:24], v[18:19], s[16:17], v[28:29]
	v_cndmask_b32_e32 v25, v34, v27, vcc
	v_mov_b32_e32 v27, 0x60708320
	v_mov_b32_e32 v28, 0x403e56cd
	v_fma_f64 v[27:28], v[4:5], s[2:3], v[27:28]
	s_and_b64 vcc, s[0:1], vcc
	v_cndmask_b32_e64 v30, 0, v25, s[0:1]
	v_cndmask_b32_e32 v29, 0, v26, vcc
	v_fma_f64 v[25:26], v[23:24], s[18:19], v[2:3]
	v_add_co_u32_e64 v21, s[2:3], s10, v21
	v_addc_co_u32_e64 v22, s[2:3], v35, v22, s[2:3]
	v_mul_f64 v[31:32], v[27:28], s[22:23]
	global_store_dwordx2 v[21:22], v[29:30], off
	v_cmp_ngt_f64_e64 s[0:1], s[8:9], v[8:9]
	v_fma_f64 v[25:26], v[23:24], v[25:26], s[26:27]
	v_rndne_f64_e32 v[31:32], v[31:32]
	v_fma_f64 v[21:22], v[23:24], v[25:26], s[28:29]
	v_fma_f64 v[25:26], v[31:32], s[12:13], v[27:28]
	v_fma_f64 v[21:22], v[23:24], v[21:22], s[34:35]
	v_fma_f64 v[25:26], v[31:32], s[16:17], v[25:26]
	v_fma_f64 v[21:22], v[23:24], v[21:22], s[38:39]
	v_fma_f64 v[29:30], v[25:26], s[18:19], v[2:3]
	v_fma_f64 v[21:22], v[23:24], v[21:22], s[36:37]
	v_fma_f64 v[29:30], v[25:26], v[29:30], s[26:27]
	v_fma_f64 v[21:22], v[23:24], v[21:22], s[30:31]
	v_fma_f64 v[29:30], v[25:26], v[29:30], s[28:29]
	v_fma_f64 v[21:22], v[23:24], v[21:22], s[24:25]
	v_fma_f64 v[29:30], v[25:26], v[29:30], s[34:35]
	v_fma_f64 v[21:22], v[23:24], v[21:22], s[20:21]
	v_fma_f64 v[29:30], v[25:26], v[29:30], s[38:39]
	v_fma_f64 v[21:22], v[23:24], v[21:22], 1.0
	v_fma_f64 v[29:30], v[25:26], v[29:30], s[36:37]
	v_fma_f64 v[21:22], v[23:24], v[21:22], 1.0
	v_fma_f64 v[23:24], v[25:26], v[29:30], s[30:31]
	v_cvt_i32_f64_e32 v29, v[18:19]
	v_lshlrev_b64 v[18:19], 3, v[0:1]
	v_add_u32_e32 v0, s11, v0
	v_add_co_u32_e32 v18, vcc, s10, v18
	v_addc_co_u32_e32 v19, vcc, v35, v19, vcc
	v_fma_f64 v[23:24], v[25:26], v[23:24], s[24:25]
	global_store_dwordx2 v[18:19], v[12:13], off
	v_ldexp_f64 v[21:22], v[21:22], v29
	v_cmp_nlt_f64_e32 vcc, s[14:15], v[8:9]
	v_lshlrev_b64 v[8:9], 3, v[0:1]
	v_add_u32_e32 v0, s11, v0
	v_add_co_u32_e64 v8, s[2:3], s10, v8
	v_fma_f64 v[18:19], v[25:26], v[23:24], s[20:21]
	v_addc_co_u32_e64 v9, s[2:3], v35, v9, s[2:3]
	v_cndmask_b32_e32 v22, v34, v22, vcc
	s_and_b64 vcc, s[0:1], vcc
	v_cndmask_b32_e64 v22, 0, v22, s[0:1]
	v_cndmask_b32_e32 v21, 0, v21, vcc
	global_store_dwordx2 v[8:9], v[21:22], off
	v_fma_f64 v[18:19], v[25:26], v[18:19], 1.0
	v_lshlrev_b64 v[8:9], 3, v[0:1]
	s_mov_b32 s1, 0x42c2309c
	v_add_co_u32_e32 v8, vcc, s10, v8
	s_mov_b32 s0, s50
	v_mov_b32_e32 v24, s1
	v_addc_co_u32_e32 v9, vcc, v35, v9, vcc
	v_fma_f64 v[18:19], v[25:26], v[18:19], 1.0
	v_mov_b32_e32 v23, s0
	v_add_u32_e32 v0, s11, v0
	v_cvt_i32_f64_e32 v21, v[31:32]
	global_store_dwordx2 v[8:9], v[23:24], off
	v_lshlrev_b64 v[8:9], 3, v[0:1]
	v_cmp_ngt_f64_e64 s[0:1], s[8:9], v[27:28]
	v_add_co_u32_e32 v8, vcc, s10, v8
	v_addc_co_u32_e32 v9, vcc, v35, v9, vcc
	v_ldexp_f64 v[18:19], v[18:19], v21
	v_cmp_nlt_f64_e32 vcc, s[14:15], v[27:28]
	v_mov_b32_e32 v21, s80
	v_mov_b32_e32 v22, s81
	v_add_u32_e32 v0, s11, v0
	global_store_dwordx2 v[8:9], v[21:22], off
	v_lshlrev_b64 v[8:9], 3, v[0:1]
	v_add_u32_e32 v0, s11, v0
	v_add_co_u32_e64 v8, s[2:3], s10, v8
	v_cndmask_b32_e32 v19, v34, v19, vcc
	s_and_b64 vcc, s[0:1], vcc
	v_addc_co_u32_e64 v9, s[2:3], v35, v9, s[2:3]
	v_cndmask_b32_e64 v19, 0, v19, s[0:1]
	v_cndmask_b32_e32 v18, 0, v18, vcc
	global_store_dwordx2 v[8:9], v[18:19], off
	v_lshlrev_b64 v[8:9], 3, v[0:1]
	v_add_u32_e32 v0, s11, v0
	v_add_co_u32_e32 v8, vcc, s10, v8
	v_addc_co_u32_e32 v9, vcc, v35, v9, vcc
	global_store_dwordx2 v[8:9], v[16:17], off
	v_lshlrev_b64 v[8:9], 3, v[0:1]
	v_mov_b32_e32 v18, s62
	v_add_co_u32_e32 v8, vcc, s10, v8
	v_addc_co_u32_e32 v9, vcc, v35, v9, vcc
	v_mov_b32_e32 v19, s63
	v_add_u32_e32 v0, s11, v0
	v_mov_b32_e32 v27, 0x39ffd60f
	v_mov_b32_e32 v28, 0x403b03cc
	global_store_dwordx2 v[8:9], v[18:19], off
	v_lshlrev_b64 v[8:9], 3, v[0:1]
	v_fma_f64 v[27:28], v[6:7], s[66:67], v[27:28]
	v_add_co_u32_e32 v8, vcc, s10, v8
	v_addc_co_u32_e32 v9, vcc, v35, v9, vcc
	v_add_u32_e32 v0, s11, v0
	global_store_dwordx2 v[8:9], v[18:19], off
	v_lshlrev_b64 v[8:9], 3, v[0:1]
	s_mov_b32 s0, 0xf66a551
	v_add_co_u32_e32 v8, vcc, s10, v8
	v_addc_co_u32_e32 v9, vcc, v35, v9, vcc
	v_add_u32_e32 v0, s11, v0
	s_mov_b32 s1, 0xc0947174
	global_store_dwordx2 v[8:9], v[16:17], off
	v_lshlrev_b64 v[8:9], 3, v[0:1]
	v_fma_f64 v[27:28], v[4:5], s[0:1], v[27:28]
	v_add_co_u32_e32 v8, vcc, s10, v8
	v_addc_co_u32_e32 v9, vcc, v35, v9, vcc
	v_mov_b32_e32 v18, 0x91300000
	v_mov_b32_e32 v19, 0x42cfd512
	v_add_u32_e32 v0, s11, v0
	global_store_dwordx2 v[8:9], v[18:19], off
	v_lshlrev_b64 v[8:9], 3, v[0:1]
	v_mov_b32_e32 v18, 0xdc00000
	v_add_co_u32_e32 v8, vcc, s10, v8
	v_addc_co_u32_e32 v9, vcc, v35, v9, vcc
	v_mov_b32_e32 v19, 0x42b97742
	v_add_u32_e32 v0, s11, v0
	global_store_dwordx2 v[8:9], v[18:19], off
	v_lshlrev_b64 v[8:9], 3, v[0:1]
	v_mul_f64 v[31:32], v[27:28], s[22:23]
	v_add_co_u32_e32 v25, vcc, s10, v8
	v_addc_co_u32_e32 v26, vcc, v35, v9, vcc
	v_mov_b32_e32 v8, 0x79800000
	v_mov_b32_e32 v9, 0x42a5d3ef
	v_add_u32_e32 v0, s11, v0
	global_store_dwordx2 v[25:26], v[8:9], off
	v_lshlrev_b64 v[25:26], 3, v[0:1]
	v_add_u32_e32 v0, s11, v0
	v_add_co_u32_e32 v25, vcc, s10, v25
	v_addc_co_u32_e32 v26, vcc, v35, v26, vcc
	global_store_dwordx2 v[25:26], v[16:17], off
	v_lshlrev_b64 v[25:26], 3, v[0:1]
	v_rndne_f64_e32 v[31:32], v[31:32]
	v_add_co_u32_e32 v29, vcc, s10, v25
	v_addc_co_u32_e32 v30, vcc, v35, v26, vcc
	v_mov_b32_e32 v25, 0x9b200000
	v_mov_b32_e32 v26, 0x42a05ef3
	v_add_u32_e32 v0, s11, v0
	global_store_dwordx2 v[29:30], v[25:26], off
	v_lshlrev_b64 v[29:30], 3, v[0:1]
	v_mov_b32_e32 v19, 0x42997742
	v_add_co_u32_e32 v29, vcc, s10, v29
	v_addc_co_u32_e32 v30, vcc, v35, v30, vcc
	global_store_dwordx2 v[29:30], v[18:19], off
	v_fma_f64 v[29:30], v[31:32], s[12:13], v[27:28]
	v_add_u32_e32 v0, s11, v0
	v_cmp_ngt_f64_e64 s[0:1], s[8:9], v[27:28]
	v_mov_b32_e32 v26, 0xb3b09c15
	v_mov_b32_e32 v19, 0x42a97742
	v_cvt_i32_f64_e32 v9, v[31:32]
	s_mov_b32 s81, 0x426d1a94
	s_mov_b32 s63, 0x42cb48eb
	v_fma_f64 v[29:30], v[31:32], s[16:17], v[29:30]
	v_fma_f64 v[36:37], v[29:30], s[18:19], v[2:3]
	;; [unrolled: 1-line block ×10, first 2 shown]
	v_fma_f64 v[36:37], v[29:30], v[36:37], 1.0
	v_fma_f64 v[29:30], v[29:30], v[36:37], 1.0
	v_lshlrev_b64 v[36:37], 3, v[0:1]
	v_add_u32_e32 v0, s11, v0
	v_add_co_u32_e32 v36, vcc, s10, v36
	v_addc_co_u32_e32 v37, vcc, v35, v37, vcc
	v_cmp_nlt_f64_e32 vcc, s[14:15], v[27:28]
	v_mov_b32_e32 v27, 0x4037dbd7
	v_fma_f64 v[26:27], v[6:7], s[54:55], v[26:27]
	global_store_dwordx2 v[36:37], v[18:19], off
	v_lshlrev_b64 v[18:19], 3, v[0:1]
	v_ldexp_f64 v[29:30], v[29:30], v9
	v_add_co_u32_e64 v18, s[2:3], s10, v18
	v_addc_co_u32_e64 v19, s[2:3], v35, v19, s[2:3]
	s_mov_b32 s2, 0x6b8f9b13
	s_mov_b32 s3, 0xc099c023
	v_fma_f64 v[26:27], v[4:5], s[2:3], v[26:27]
	v_cndmask_b32_e32 v9, v34, v30, vcc
	s_and_b64 vcc, s[0:1], vcc
	v_add_u32_e32 v0, s11, v0
	s_mov_b32 s55, 0x4004cccc
	v_mul_f64 v[30:31], v[26:27], s[22:23]
	v_rndne_f64_e32 v[30:31], v[30:31]
	v_fma_f64 v[32:33], v[30:31], s[12:13], v[26:27]
	v_fma_f64 v[32:33], v[30:31], s[16:17], v[32:33]
	;; [unrolled: 1-line block ×11, first 2 shown]
	v_fma_f64 v[36:37], v[32:33], v[36:37], 1.0
	v_fma_f64 v[32:33], v[32:33], v[36:37], 1.0
	v_cndmask_b32_e64 v37, 0, v9, s[0:1]
	v_cndmask_b32_e32 v36, 0, v29, vcc
	global_store_dwordx2 v[18:19], v[36:37], off
	v_lshlrev_b64 v[18:19], 3, v[0:1]
	v_cvt_i32_f64_e32 v9, v[30:31]
	v_add_co_u32_e64 v18, s[2:3], s10, v18
	v_addc_co_u32_e64 v19, s[2:3], v35, v19, s[2:3]
	s_mov_b32 s2, 0x49ba5e35
	v_cmp_nlt_f64_e32 vcc, s[14:15], v[26:27]
	v_cmp_ngt_f64_e64 s[0:1], s[8:9], v[26:27]
	v_mov_b32_e32 v26, 0xc743f6d0
	v_mov_b32_e32 v27, 0x403f4b69
	s_mov_b32 s3, 0xc09bd58c
	v_ldexp_f64 v[28:29], v[32:33], v9
	v_fma_f64 v[26:27], v[4:5], s[2:3], v[26:27]
	v_add_u32_e32 v0, s11, v0
	v_cndmask_b32_e32 v9, v34, v29, vcc
	v_mul_f64 v[29:30], v[26:27], s[22:23]
	s_and_b64 vcc, s[0:1], vcc
	v_rndne_f64_e32 v[29:30], v[29:30]
	v_fma_f64 v[31:32], v[29:30], s[12:13], v[26:27]
	v_fma_f64 v[31:32], v[29:30], s[16:17], v[31:32]
	;; [unrolled: 1-line block ×11, first 2 shown]
	v_fma_f64 v[36:37], v[31:32], v[36:37], 1.0
	v_fma_f64 v[31:32], v[31:32], v[36:37], 1.0
	v_cndmask_b32_e64 v37, 0, v9, s[0:1]
	v_cndmask_b32_e32 v36, 0, v28, vcc
	v_cmp_nlt_f64_e32 vcc, s[14:15], v[26:27]
	v_cmp_ngt_f64_e64 s[0:1], s[8:9], v[26:27]
	v_mov_b32_e32 v26, 0x4f029c9
	v_mov_b32_e32 v27, 0x4035f4b1
	v_fma_f64 v[26:27], v[6:7], s[52:53], v[26:27]
	global_store_dwordx2 v[18:19], v[36:37], off
	v_lshlrev_b64 v[18:19], 3, v[0:1]
	v_cvt_i32_f64_e32 v9, v[29:30]
	v_add_co_u32_e64 v18, s[2:3], s10, v18
	v_addc_co_u32_e64 v19, s[2:3], v35, v19, s[2:3]
	s_mov_b32 s2, 0xde00d1b7
	s_mov_b32 s3, 0x406c1e02
	v_ldexp_f64 v[28:29], v[31:32], v9
	v_fma_f64 v[26:27], v[4:5], s[2:3], v[26:27]
	v_add_u32_e32 v0, s11, v0
	s_mov_b32 s53, 0x3ff6e147
	v_cndmask_b32_e32 v9, v34, v29, vcc
	v_mul_f64 v[29:30], v[26:27], s[22:23]
	s_and_b64 vcc, s[0:1], vcc
	v_rndne_f64_e32 v[29:30], v[29:30]
	v_fma_f64 v[31:32], v[29:30], s[12:13], v[26:27]
	v_fma_f64 v[31:32], v[29:30], s[16:17], v[31:32]
	;; [unrolled: 1-line block ×11, first 2 shown]
	v_fma_f64 v[36:37], v[31:32], v[36:37], 1.0
	v_fma_f64 v[31:32], v[31:32], v[36:37], 1.0
	v_cndmask_b32_e64 v37, 0, v9, s[0:1]
	v_cndmask_b32_e32 v36, 0, v28, vcc
	global_store_dwordx2 v[18:19], v[36:37], off
	v_lshlrev_b64 v[18:19], 3, v[0:1]
	v_cmp_nlt_f64_e32 vcc, s[14:15], v[26:27]
	v_add_co_u32_e64 v18, s[2:3], s10, v18
	v_addc_co_u32_e64 v19, s[2:3], v35, v19, s[2:3]
	s_mov_b32 s2, 0xab367a10
	v_cmp_ngt_f64_e64 s[0:1], s[8:9], v[26:27]
	v_mov_b32_e32 v26, 0x843a8cc4
	v_mov_b32_e32 v27, 0x40401e3b
	s_mov_b32 s3, 0xc0d3a82a
	v_fma_f64 v[26:27], v[4:5], s[2:3], v[26:27]
	v_cvt_i32_f64_e32 v9, v[29:30]
	v_add_u32_e32 v0, s11, v0
	v_ldexp_f64 v[28:29], v[31:32], v9
	v_mul_f64 v[30:31], v[26:27], s[22:23]
	v_cndmask_b32_e32 v9, v34, v29, vcc
	s_and_b64 vcc, s[0:1], vcc
	v_cndmask_b32_e64 v29, 0, v9, s[0:1]
	v_rndne_f64_e32 v[30:31], v[30:31]
	v_cndmask_b32_e32 v28, 0, v28, vcc
	global_store_dwordx2 v[18:19], v[28:29], off
	v_cmp_nlt_f64_e32 vcc, s[14:15], v[26:27]
	v_cmp_ngt_f64_e64 s[0:1], s[8:9], v[26:27]
	v_fma_f64 v[18:19], v[30:31], s[12:13], v[26:27]
	v_cvt_i32_f64_e32 v9, v[30:31]
	v_fma_f64 v[18:19], v[30:31], s[16:17], v[18:19]
	v_fma_f64 v[28:29], v[18:19], s[18:19], v[2:3]
	;; [unrolled: 1-line block ×10, first 2 shown]
	v_fma_f64 v[28:29], v[18:19], v[28:29], 1.0
	v_fma_f64 v[18:19], v[18:19], v[28:29], 1.0
	v_mul_f64 v[28:29], v[4:5], s[64:65]
	v_ldexp_f64 v[18:19], v[18:19], v9
	v_mul_f64 v[26:27], v[28:29], s[22:23]
	v_cmp_ngt_f64_e64 s[4:5], s[8:9], v[28:29]
	v_cndmask_b32_e32 v9, v34, v19, vcc
	v_rndne_f64_e32 v[26:27], v[26:27]
	s_and_b64 vcc, s[0:1], vcc
	v_cndmask_b32_e32 v18, 0, v18, vcc
	v_fma_f64 v[30:31], v[26:27], s[12:13], v[28:29]
	v_cvt_i32_f64_e32 v19, v[26:27]
	v_fma_f64 v[30:31], v[26:27], s[16:17], v[30:31]
	v_fma_f64 v[32:33], v[30:31], s[18:19], v[2:3]
	;; [unrolled: 1-line block ×10, first 2 shown]
	v_fma_f64 v[32:33], v[30:31], v[32:33], 1.0
	v_fma_f64 v[30:31], v[30:31], v[32:33], 1.0
	v_lshlrev_b64 v[32:33], 3, v[0:1]
	v_add_u32_e32 v0, s11, v0
	v_add_co_u32_e64 v32, s[2:3], s10, v32
	v_addc_co_u32_e64 v33, s[2:3], v35, v33, s[2:3]
	v_cmp_nlt_f64_e64 s[2:3], s[14:15], v[28:29]
	v_ldexp_f64 v[26:27], v[30:31], v19
	v_cndmask_b32_e64 v19, 0, v9, s[0:1]
	global_store_dwordx2 v[32:33], v[18:19], off
	v_lshlrev_b64 v[18:19], 3, v[0:1]
	v_mad_u64_u32 v[30:31], s[0:1], s11, 51, v[0:1]
	v_mov_b32_e32 v31, v1
	s_and_b64 vcc, s[4:5], s[2:3]
	v_cndmask_b32_e64 v27, v34, v27, s[2:3]
	v_cndmask_b32_e64 v27, 0, v27, s[4:5]
	v_cndmask_b32_e32 v26, 0, v26, vcc
	v_mul_f64 v[28:29], v[26:27], s[80:81]
	v_add_co_u32_e32 v18, vcc, s10, v18
	v_addc_co_u32_e32 v19, vcc, v35, v19, vcc
	s_mov_b32 s0, 0x5e39713b
	s_mov_b32 s1, 0x40703281
	v_add_u32_e32 v0, s33, v30
	global_store_dwordx2 v[18:19], v[28:29], off
	v_mul_f64 v[28:29], v[26:27], s[74:75]
	v_lshlrev_b64 v[18:19], 3, v[30:31]
	v_mul_f64 v[26:27], v[26:27], s[76:77]
	v_add_co_u32_e32 v18, vcc, s10, v18
	v_addc_co_u32_e32 v19, vcc, v35, v19, vcc
	s_mul_i32 s2, s11, 0xffffffcc
	global_store_dwordx2 v[18:19], v[28:29], off
	v_mov_b32_e32 v18, 0x79f30b25
	v_mov_b32_e32 v19, 0x40401720
	v_fma_f64 v[18:19], v[4:5], s[0:1], v[18:19]
	s_mov_b32 s5, 0xc0a54ede
	s_mov_b32 s4, 0x61cffeb0
	;; [unrolled: 1-line block ×4, first 2 shown]
	v_mul_f64 v[28:29], v[18:19], s[22:23]
	v_cmp_ngt_f64_e64 s[0:1], s[8:9], v[18:19]
	v_rndne_f64_e32 v[28:29], v[28:29]
	v_fma_f64 v[30:31], v[28:29], s[12:13], v[18:19]
	v_cvt_i32_f64_e32 v9, v[28:29]
	v_fma_f64 v[30:31], v[28:29], s[16:17], v[30:31]
	v_fma_f64 v[32:33], v[30:31], s[18:19], v[2:3]
	;; [unrolled: 1-line block ×10, first 2 shown]
	v_fma_f64 v[32:33], v[30:31], v[32:33], 1.0
	v_fma_f64 v[30:31], v[30:31], v[32:33], 1.0
	v_lshlrev_b64 v[32:33], 3, v[0:1]
	v_add_u32_e32 v0, s2, v0
	v_add_co_u32_e32 v32, vcc, s10, v32
	v_addc_co_u32_e32 v33, vcc, v35, v33, vcc
	global_store_dwordx2 v[32:33], v[26:27], off
	v_mov_b32_e32 v26, 0xd6e3a704
	v_mov_b32_e32 v27, 0x40428a49
	v_fma_f64 v[26:27], v[6:7], s[44:45], v[26:27]
	v_cmp_nlt_f64_e32 vcc, s[14:15], v[18:19]
	v_lshlrev_b64 v[18:19], 3, v[0:1]
	v_ldexp_f64 v[28:29], v[30:31], v9
	v_add_co_u32_e64 v18, s[2:3], s10, v18
	v_addc_co_u32_e64 v19, s[2:3], v35, v19, s[2:3]
	s_mov_b32 s2, 0x69b5a640
	s_mov_b32 s3, 0xc068176c
	v_fma_f64 v[26:27], v[4:5], s[2:3], v[26:27]
	v_cndmask_b32_e32 v9, v34, v29, vcc
	s_and_b64 vcc, s[0:1], vcc
	v_add_u32_e32 v0, s11, v0
	s_mov_b32 s45, 0x3fdc28f5
	v_mul_f64 v[29:30], v[26:27], s[22:23]
	v_rndne_f64_e32 v[29:30], v[29:30]
	v_fma_f64 v[31:32], v[29:30], s[12:13], v[26:27]
	v_fma_f64 v[31:32], v[29:30], s[16:17], v[31:32]
	;; [unrolled: 1-line block ×11, first 2 shown]
	v_fma_f64 v[36:37], v[31:32], v[36:37], 1.0
	v_fma_f64 v[31:32], v[31:32], v[36:37], 1.0
	v_cndmask_b32_e64 v37, 0, v9, s[0:1]
	v_cndmask_b32_e32 v36, 0, v28, vcc
	v_cmp_nlt_f64_e32 vcc, s[14:15], v[26:27]
	v_cmp_ngt_f64_e64 s[0:1], s[8:9], v[26:27]
	v_mov_b32_e32 v26, 0xbec1714f
	v_mov_b32_e32 v27, 0x4031d742
	v_fma_f64 v[26:27], v[6:7], s[70:71], v[26:27]
	v_cvt_i32_f64_e32 v9, v[29:30]
	global_store_dwordx2 v[18:19], v[36:37], off
	v_lshlrev_b64 v[18:19], 3, v[0:1]
	v_add_u32_e32 v0, s11, v0
	v_ldexp_f64 v[28:29], v[31:32], v9
	v_add_co_u32_e64 v18, s[2:3], s10, v18
	v_fma_f64 v[26:27], v[4:5], s[4:5], v[26:27]
	v_addc_co_u32_e64 v19, s[2:3], v35, v19, s[2:3]
	s_mov_b32 s5, 0xc0b54ede
	v_cndmask_b32_e32 v9, v34, v29, vcc
	s_and_b64 vcc, s[0:1], vcc
	v_cndmask_b32_e64 v29, 0, v9, s[0:1]
	v_mul_f64 v[30:31], v[26:27], s[22:23]
	v_cndmask_b32_e32 v28, 0, v28, vcc
	global_store_dwordx2 v[18:19], v[28:29], off
	v_cmp_ngt_f64_e64 s[0:1], s[8:9], v[26:27]
	v_rndne_f64_e32 v[30:31], v[30:31]
	v_fma_f64 v[18:19], v[30:31], s[12:13], v[26:27]
	v_cvt_i32_f64_e32 v9, v[30:31]
	v_fma_f64 v[18:19], v[30:31], s[16:17], v[18:19]
	v_mov_b32_e32 v30, 0xe37e0000
	v_mov_b32_e32 v31, 0x42d32ae7
	v_fma_f64 v[28:29], v[18:19], s[18:19], v[2:3]
	v_fma_f64 v[28:29], v[18:19], v[28:29], s[26:27]
	;; [unrolled: 1-line block ×9, first 2 shown]
	v_fma_f64 v[28:29], v[18:19], v[28:29], 1.0
	v_fma_f64 v[18:19], v[18:19], v[28:29], 1.0
	v_lshlrev_b64 v[28:29], 3, v[0:1]
	v_add_u32_e32 v0, s11, v0
	v_add_co_u32_e32 v28, vcc, s10, v28
	v_addc_co_u32_e32 v29, vcc, v35, v29, vcc
	global_store_dwordx2 v[28:29], v[30:31], off
	v_mov_b32_e32 v28, 0x20ecdf9
	v_mov_b32_e32 v29, 0x403f0f3c
	v_fma_f64 v[28:29], v[4:5], s[48:49], v[28:29]
	v_ldexp_f64 v[18:19], v[18:19], v9
	v_cmp_nlt_f64_e32 vcc, s[14:15], v[26:27]
	v_lshlrev_b64 v[26:27], 3, v[0:1]
	v_add_u32_e32 v0, s11, v0
	v_add_co_u32_e64 v26, s[2:3], s10, v26
	v_addc_co_u32_e64 v27, s[2:3], v35, v27, s[2:3]
	v_mul_f64 v[30:31], v[28:29], s[22:23]
	v_cndmask_b32_e32 v9, v34, v19, vcc
	s_and_b64 vcc, s[0:1], vcc
	v_cndmask_b32_e64 v19, 0, v9, s[0:1]
	v_cndmask_b32_e32 v18, 0, v18, vcc
	global_store_dwordx2 v[26:27], v[18:19], off
	v_cmp_ngt_f64_e64 s[0:1], s[8:9], v[28:29]
	s_mov_b32 s49, 0xbfaeb851
	v_rndne_f64_e32 v[30:31], v[30:31]
	v_fma_f64 v[18:19], v[30:31], s[12:13], v[28:29]
	v_cvt_i32_f64_e32 v9, v[30:31]
	v_fma_f64 v[18:19], v[30:31], s[16:17], v[18:19]
	v_mov_b32_e32 v30, 0x2a740000
	v_mov_b32_e32 v31, 0x42b6bf18
	v_fma_f64 v[26:27], v[18:19], s[18:19], v[2:3]
	v_fma_f64 v[26:27], v[18:19], v[26:27], s[26:27]
	;; [unrolled: 1-line block ×9, first 2 shown]
	v_fma_f64 v[26:27], v[18:19], v[26:27], 1.0
	v_fma_f64 v[18:19], v[18:19], v[26:27], 1.0
	v_lshlrev_b64 v[26:27], 3, v[0:1]
	v_add_u32_e32 v0, s11, v0
	v_add_co_u32_e32 v26, vcc, s10, v26
	v_addc_co_u32_e32 v27, vcc, v35, v27, vcc
	global_store_dwordx2 v[26:27], v[30:31], off
	v_lshlrev_b64 v[26:27], 3, v[0:1]
	v_cmp_nlt_f64_e32 vcc, s[14:15], v[28:29]
	v_add_co_u32_e64 v26, s[2:3], s10, v26
	v_addc_co_u32_e64 v27, s[2:3], v35, v27, s[2:3]
	s_mov_b32 s2, 0xcb6848bf
	v_mov_b32_e32 v28, 0x72dae8ef
	v_mov_b32_e32 v29, 0x40384e89
	s_mov_b32 s3, 0xc0b192c1
	v_fma_f64 v[28:29], v[4:5], s[2:3], v[28:29]
	v_ldexp_f64 v[18:19], v[18:19], v9
	v_add_u32_e32 v0, s11, v0
	v_mul_f64 v[30:31], v[28:29], s[22:23]
	v_cndmask_b32_e32 v9, v34, v19, vcc
	v_cndmask_b32_e64 v19, 0, v9, s[0:1]
	s_and_b64 vcc, s[0:1], vcc
	v_cndmask_b32_e32 v18, 0, v18, vcc
	v_cmp_nlt_f64_e32 vcc, s[14:15], v[28:29]
	v_cmp_ngt_f64_e64 s[0:1], s[8:9], v[28:29]
	global_store_dwordx2 v[26:27], v[18:19], off
	v_rndne_f64_e32 v[30:31], v[30:31]
	v_lshlrev_b64 v[18:19], 3, v[0:1]
	v_add_u32_e32 v0, s11, v0
	v_add_co_u32_e64 v18, s[2:3], s10, v18
	v_addc_co_u32_e64 v19, s[2:3], v35, v19, s[2:3]
	v_fma_f64 v[32:33], v[30:31], s[12:13], v[28:29]
	v_cvt_i32_f64_e32 v9, v[30:31]
	v_fma_f64 v[32:33], v[30:31], s[16:17], v[32:33]
	v_fma_f64 v[36:37], v[32:33], s[18:19], v[2:3]
	v_fma_f64 v[36:37], v[32:33], v[36:37], s[26:27]
	v_fma_f64 v[36:37], v[32:33], v[36:37], s[28:29]
	v_fma_f64 v[36:37], v[32:33], v[36:37], s[34:35]
	v_fma_f64 v[36:37], v[32:33], v[36:37], s[38:39]
	v_fma_f64 v[36:37], v[32:33], v[36:37], s[36:37]
	v_fma_f64 v[36:37], v[32:33], v[36:37], s[30:31]
	v_fma_f64 v[36:37], v[32:33], v[36:37], s[24:25]
	v_fma_f64 v[36:37], v[32:33], v[36:37], s[20:21]
	v_fma_f64 v[36:37], v[32:33], v[36:37], 1.0
	v_fma_f64 v[32:33], v[32:33], v[36:37], 1.0
	v_ldexp_f64 v[30:31], v[32:33], v9
	v_cndmask_b32_e32 v9, v34, v31, vcc
	s_and_b64 vcc, s[0:1], vcc
	v_cndmask_b32_e64 v27, 0, v9, s[0:1]
	v_cndmask_b32_e32 v26, 0, v30, vcc
	global_store_dwordx2 v[18:19], v[26:27], off
	v_lshlrev_b64 v[18:19], 3, v[0:1]
	s_mov_b32 s0, 0x1e3a7daa
	v_add_co_u32_e32 v26, vcc, s10, v18
	v_addc_co_u32_e32 v27, vcc, v35, v19, vcc
	v_mov_b32_e32 v18, 0xc882bb31
	v_mov_b32_e32 v19, 0x4024367d
	v_fma_f64 v[28:29], v[6:7], s[78:79], v[18:19]
	s_mov_b32 s1, 0xc0a45d53
	v_mov_b32_e32 v18, 0xa2000000
	v_mov_b32_e32 v19, 0x426d1a94
	v_add_u32_e32 v0, s11, v0
	global_store_dwordx2 v[26:27], v[18:19], off
	v_lshlrev_b64 v[26:27], 3, v[0:1]
	v_mov_b32_e32 v30, 0x7ae00000
	v_fma_f64 v[28:29], v[4:5], s[0:1], v[28:29]
	v_add_co_u32_e32 v26, vcc, s10, v26
	v_addc_co_u32_e32 v27, vcc, v35, v27, vcc
	v_mov_b32_e32 v31, 0x42a85fdc
	global_store_dwordx2 v[26:27], v[30:31], off
	v_add_u32_e32 v0, s11, v0
	v_mul_f64 v[26:27], v[28:29], s[22:23]
	v_cmp_nlt_f64_e32 vcc, s[14:15], v[28:29]
	v_cmp_ngt_f64_e64 s[0:1], s[8:9], v[28:29]
	v_mov_b32_e32 v19, 0x42ad1a94
	s_mov_b32 s79, 0x3ff9c28f
	v_rndne_f64_e32 v[26:27], v[26:27]
	v_fma_f64 v[30:31], v[26:27], s[12:13], v[28:29]
	v_cvt_i32_f64_e32 v9, v[26:27]
	v_fma_f64 v[30:31], v[26:27], s[16:17], v[30:31]
	v_fma_f64 v[32:33], v[30:31], s[18:19], v[2:3]
	;; [unrolled: 1-line block ×10, first 2 shown]
	v_fma_f64 v[32:33], v[30:31], v[32:33], 1.0
	v_fma_f64 v[30:31], v[30:31], v[32:33], 1.0
	v_ldexp_f64 v[26:27], v[30:31], v9
	v_mov_b32_e32 v31, 0x429ed99d
	v_cndmask_b32_e32 v9, v34, v27, vcc
	v_lshlrev_b64 v[27:28], 3, v[0:1]
	s_and_b64 vcc, s[0:1], vcc
	v_add_co_u32_e64 v27, s[2:3], s10, v27
	v_addc_co_u32_e64 v28, s[2:3], v35, v28, s[2:3]
	v_cndmask_b32_e64 v30, 0, v9, s[0:1]
	v_cndmask_b32_e32 v29, 0, v26, vcc
	global_store_dwordx2 v[27:28], v[29:30], off
	v_mov_b32_e32 v28, 0x156da575
	v_mov_b32_e32 v29, 0x40203727
	v_fma_f64 v[28:29], v[6:7], s[60:61], v[28:29]
	s_mov_b32 s0, 0x7f23cc9
	v_add_u32_e32 v0, s11, v0
	s_mov_b32 s1, 0xc0a709b3
	v_lshlrev_b64 v[26:27], 3, v[0:1]
	v_add_u32_e32 v0, s11, v0
	v_add_co_u32_e32 v26, vcc, s10, v26
	v_fma_f64 v[28:29], v[4:5], s[0:1], v[28:29]
	v_addc_co_u32_e32 v27, vcc, v35, v27, vcc
	global_store_dwordx2 v[26:27], v[16:17], off
	v_lshlrev_b64 v[26:27], 3, v[0:1]
	v_mov_b32_e32 v30, 0x8d000000
	v_add_co_u32_e32 v26, vcc, s10, v26
	v_addc_co_u32_e32 v27, vcc, v35, v27, vcc
	global_store_dwordx2 v[26:27], v[30:31], off
	v_mul_f64 v[26:27], v[28:29], s[22:23]
	v_add_u32_e32 v0, s11, v0
	v_cmp_ngt_f64_e64 s[0:1], s[8:9], v[28:29]
	s_mov_b32 s61, 0x401e6666
	s_mov_b32 s60, 0x66666666
	v_rndne_f64_e32 v[26:27], v[26:27]
	v_fma_f64 v[30:31], v[26:27], s[12:13], v[28:29]
	v_cvt_i32_f64_e32 v9, v[26:27]
	v_fma_f64 v[30:31], v[26:27], s[16:17], v[30:31]
	v_mov_b32_e32 v26, 0x42b05ef3
	v_fma_f64 v[32:33], v[30:31], s[18:19], v[2:3]
	v_fma_f64 v[32:33], v[30:31], v[32:33], s[26:27]
	;; [unrolled: 1-line block ×9, first 2 shown]
	v_fma_f64 v[32:33], v[30:31], v[32:33], 1.0
	v_fma_f64 v[30:31], v[30:31], v[32:33], 1.0
	v_lshlrev_b64 v[32:33], 3, v[0:1]
	v_add_u32_e32 v0, s11, v0
	v_add_co_u32_e32 v32, vcc, s10, v32
	v_addc_co_u32_e32 v33, vcc, v35, v33, vcc
	global_store_dwordx2 v[32:33], v[25:26], off
	v_lshlrev_b64 v[25:26], 3, v[0:1]
	v_cmp_nlt_f64_e32 vcc, s[14:15], v[28:29]
	v_add_co_u32_e64 v27, s[2:3], s10, v25
	v_addc_co_u32_e64 v28, s[2:3], v35, v26, s[2:3]
	s_mov_b32 s2, 0x52502ef
	s_mov_b32 s3, 0x4071ed56
	v_mul_f64 v[25:26], v[4:5], s[2:3]
	v_ldexp_f64 v[30:31], v[30:31], v9
	v_add_u32_e32 v0, s11, v0
	v_mul_f64 v[32:33], v[25:26], s[22:23]
	v_cndmask_b32_e32 v9, v34, v31, vcc
	s_and_b64 vcc, s[0:1], vcc
	v_cndmask_b32_e64 v31, 0, v9, s[0:1]
	v_cndmask_b32_e32 v30, 0, v30, vcc
	global_store_dwordx2 v[27:28], v[30:31], off
	s_mov_b32 s0, 0x70a3d70a
	v_mov_b32_e32 v31, 0x22eae693
	v_rndne_f64_e32 v[32:33], v[32:33]
	s_mov_b32 s1, 0xbfef0a3d
	v_fma_f64 v[27:28], v[32:33], s[12:13], v[25:26]
	v_cvt_i32_f64_e32 v9, v[32:33]
	v_fma_f64 v[27:28], v[32:33], s[16:17], v[27:28]
	v_mov_b32_e32 v32, 0x4042cbe0
	v_fma_f64 v[31:32], v[6:7], s[0:1], v[31:32]
	s_mov_b32 s0, 0xcac4b4d0
	s_mov_b32 s1, 0xc0737fe8
	v_fma_f64 v[29:30], v[27:28], s[18:19], v[2:3]
	v_fma_f64 v[29:30], v[27:28], v[29:30], s[26:27]
	;; [unrolled: 1-line block ×9, first 2 shown]
	v_fma_f64 v[29:30], v[27:28], v[29:30], 1.0
	v_fma_f64 v[27:28], v[27:28], v[29:30], 1.0
	v_lshlrev_b64 v[29:30], 3, v[0:1]
	v_add_u32_e32 v0, s11, v0
	v_add_co_u32_e32 v29, vcc, s10, v29
	v_addc_co_u32_e32 v30, vcc, v35, v30, vcc
	global_store_dwordx2 v[29:30], v[23:24], off
	v_ldexp_f64 v[27:28], v[27:28], v9
	v_cmp_nlt_f64_e32 vcc, s[14:15], v[25:26]
	v_fma_f64 v[23:24], v[4:5], s[0:1], v[31:32]
	v_cmp_ngt_f64_e64 s[0:1], s[8:9], v[25:26]
	v_lshlrev_b64 v[25:26], 3, v[0:1]
	v_add_co_u32_e64 v25, s[2:3], s10, v25
	v_addc_co_u32_e64 v26, s[2:3], v35, v26, s[2:3]
	v_cndmask_b32_e32 v9, v34, v28, vcc
	v_mul_f64 v[28:29], v[23:24], s[22:23]
	s_and_b64 vcc, s[0:1], vcc
	v_cndmask_b32_e64 v31, 0, v9, s[0:1]
	v_cndmask_b32_e32 v30, 0, v27, vcc
	v_mul_f64 v[32:33], v[30:31], s[68:69]
	s_mov_b32 s69, 0x42c5d3ef
	v_rndne_f64_e32 v[27:28], v[28:29]
	v_mov_b32_e32 v29, 0x403d3d0b
	global_store_dwordx2 v[25:26], v[32:33], off
	v_fma_f64 v[25:26], v[27:28], s[12:13], v[23:24]
	v_fma_f64 v[25:26], v[27:28], s[16:17], v[25:26]
	;; [unrolled: 1-line block ×11, first 2 shown]
	v_fma_f64 v[32:33], v[25:26], v[32:33], 1.0
	v_fma_f64 v[25:26], v[25:26], v[32:33], 1.0
	v_mad_u64_u32 v[32:33], s[0:1], s11, 15, v[0:1]
	v_cvt_i32_f64_e32 v0, v[27:28]
	v_mul_f64 v[27:28], v[30:31], s[80:81]
	v_mov_b32_e32 v33, v1
	v_lshlrev_b64 v[36:37], 3, v[32:33]
	s_mov_b32 s80, 0x1eb851ec
	v_add_co_u32_e32 v36, vcc, s10, v36
	v_addc_co_u32_e32 v37, vcc, v35, v37, vcc
	global_store_dwordx2 v[36:37], v[27:28], off
	v_mad_u64_u32 v[27:28], s[0:1], s11, -14, v[32:33]
	v_mov_b32_e32 v28, v1
	v_cmp_nlt_f64_e32 vcc, s[14:15], v[23:24]
	v_cmp_ngt_f64_e64 s[0:1], s[8:9], v[23:24]
	v_lshlrev_b64 v[23:24], 3, v[27:28]
	v_mov_b32_e32 v28, 0x84988095
	v_add_co_u32_e64 v23, s[2:3], s10, v23
	v_addc_co_u32_e64 v24, s[2:3], v35, v24, s[2:3]
	s_mov_b32 s3, 0x3fb99999
	s_mov_b32 s2, s70
	v_fma_f64 v[28:29], v[6:7], s[2:3], v[28:29]
	s_mov_b32 s2, 0xc0053e2d
	s_mov_b32 s3, 0xc0b4d618
	v_ldexp_f64 v[25:26], v[25:26], v0
	s_mov_b32 s81, 0x3ff9eb85
	v_fma_f64 v[28:29], v[4:5], s[2:3], v[28:29]
	v_cndmask_b32_e32 v0, v34, v26, vcc
	v_cndmask_b32_e64 v26, 0, v0, s[0:1]
	s_and_b64 vcc, s[0:1], vcc
	v_cndmask_b32_e32 v25, 0, v25, vcc
	global_store_dwordx2 v[23:24], v[25:26], off
	v_mul_f64 v[30:31], v[28:29], s[22:23]
	v_cmp_nlt_f64_e32 vcc, s[14:15], v[28:29]
	v_cmp_ngt_f64_e64 s[0:1], s[8:9], v[28:29]
	v_rndne_f64_e32 v[30:31], v[30:31]
	v_fma_f64 v[32:33], v[30:31], s[12:13], v[28:29]
	v_cvt_i32_f64_e32 v0, v[30:31]
	v_fma_f64 v[32:33], v[30:31], s[16:17], v[32:33]
	v_fma_f64 v[36:37], v[32:33], s[18:19], v[2:3]
	;; [unrolled: 1-line block ×10, first 2 shown]
	v_fma_f64 v[36:37], v[32:33], v[36:37], 1.0
	v_fma_f64 v[32:33], v[32:33], v[36:37], 1.0
	v_ldexp_f64 v[30:31], v[32:33], v0
	v_add_u32_e32 v0, s11, v27
	v_lshlrev_b64 v[23:24], 3, v[0:1]
	v_add_u32_e32 v0, s11, v0
	v_add_co_u32_e64 v23, s[2:3], s10, v23
	v_addc_co_u32_e64 v24, s[2:3], v35, v24, s[2:3]
	v_cndmask_b32_e32 v9, v34, v31, vcc
	s_and_b64 vcc, s[0:1], vcc
	v_cndmask_b32_e64 v26, 0, v9, s[0:1]
	v_cndmask_b32_e32 v25, 0, v30, vcc
	global_store_dwordx2 v[23:24], v[25:26], off
	v_mov_b32_e32 v25, 0x8d576bf8
	v_mov_b32_e32 v26, 0xc03c7aca
	v_fma_f64 v[25:26], v[6:7], s[60:61], v[25:26]
	v_lshlrev_b64 v[23:24], 3, v[0:1]
	s_mov_b32 s0, 0x5b2d4d40
	v_add_co_u32_e32 v23, vcc, s10, v23
	v_addc_co_u32_e32 v24, vcc, v35, v24, vcc
	s_mov_b32 s1, 0x409bc16b
	global_store_dwordx2 v[23:24], v[10:11], off
	v_fma_f64 v[24:25], v[4:5], s[0:1], v[25:26]
	v_add_u32_e32 v0, s11, v0
	v_lshlrev_b64 v[26:27], 3, v[0:1]
	v_add_u32_e32 v0, s11, v0
	v_add_co_u32_e32 v26, vcc, s10, v26
	v_addc_co_u32_e32 v27, vcc, v35, v27, vcc
	global_store_dwordx2 v[26:27], v[12:13], off
	v_mul_f64 v[26:27], v[24:25], s[22:23]
	v_lshlrev_b64 v[28:29], 3, v[0:1]
	v_add_u32_e32 v0, s11, v0
	v_add_co_u32_e32 v28, vcc, s10, v28
	v_addc_co_u32_e32 v29, vcc, v35, v29, vcc
	global_store_dwordx2 v[28:29], v[21:22], off
	v_rndne_f64_e32 v[26:27], v[26:27]
	v_lshlrev_b64 v[21:22], 3, v[0:1]
	v_add_u32_e32 v0, s11, v0
	v_add_co_u32_e32 v21, vcc, s10, v21
	v_addc_co_u32_e32 v22, vcc, v35, v22, vcc
	global_store_dwordx2 v[21:22], v[18:19], off
	v_fma_f64 v[28:29], v[26:27], s[12:13], v[24:25]
	v_lshlrev_b64 v[21:22], 3, v[0:1]
	v_add_u32_e32 v0, s11, v0
	v_add_co_u32_e32 v30, vcc, s10, v21
	v_addc_co_u32_e32 v31, vcc, v35, v22, vcc
	v_mov_b32_e32 v22, s76
	v_fma_f64 v[28:29], v[26:27], s[16:17], v[28:29]
	v_mov_b32_e32 v23, s77
	global_store_dwordx2 v[30:31], v[22:23], off
	v_lshlrev_b64 v[30:31], 3, v[0:1]
	v_cvt_i32_f64_e32 v9, v[26:27]
	v_add_co_u32_e32 v30, vcc, s10, v30
	v_addc_co_u32_e32 v31, vcc, v35, v31, vcc
	v_fma_f64 v[32:33], v[28:29], s[18:19], v[2:3]
	v_cmp_nlt_f64_e32 vcc, s[14:15], v[24:25]
	v_mov_b32_e32 v21, 0x4292309c
	v_add_u32_e32 v0, s11, v0
	global_store_dwordx2 v[30:31], v[20:21], off
	v_lshlrev_b64 v[19:20], 3, v[0:1]
	v_cmp_ngt_f64_e64 s[0:1], s[8:9], v[24:25]
	v_add_co_u32_e64 v24, s[2:3], s10, v19
	v_fma_f64 v[32:33], v[28:29], v[32:33], s[26:27]
	v_addc_co_u32_e64 v25, s[2:3], v35, v20, s[2:3]
	v_add_u32_e32 v0, s11, v0
	s_mov_b32 s61, 0x3ffe6666
	v_fma_f64 v[32:33], v[28:29], v[32:33], s[28:29]
	v_fma_f64 v[32:33], v[28:29], v[32:33], s[34:35]
	;; [unrolled: 1-line block ×7, first 2 shown]
	v_fma_f64 v[32:33], v[28:29], v[32:33], 1.0
	v_fma_f64 v[28:29], v[28:29], v[32:33], 1.0
	v_mov_b32_e32 v32, 0xbaef54b7
	v_mov_b32_e32 v33, 0x40344ec8
	v_fma_f64 v[32:33], v[6:7], s[80:81], v[32:33]
	v_ldexp_f64 v[26:27], v[28:29], v9
	v_fma_f64 v[32:33], v[4:5], s[4:5], v[32:33]
	s_mov_b32 s5, 0x408f7377
	s_mov_b32 s4, 0x7af64064
	v_cndmask_b32_e32 v9, v34, v27, vcc
	v_cndmask_b32_e64 v30, 0, v9, s[0:1]
	s_and_b64 vcc, s[0:1], vcc
	v_mul_f64 v[28:29], v[32:33], s[22:23]
	s_mov_b32 s0, 0xd0a67621
	s_mov_b32 s1, 0xc0b0e7a9
	v_rndne_f64_e32 v[27:28], v[28:29]
	v_cndmask_b32_e32 v29, 0, v26, vcc
	global_store_dwordx2 v[24:25], v[29:30], off
	v_cmp_nlt_f64_e32 vcc, s[14:15], v[32:33]
	v_fma_f64 v[19:20], v[27:28], s[12:13], v[32:33]
	v_cvt_i32_f64_e32 v9, v[27:28]
	v_fma_f64 v[19:20], v[27:28], s[16:17], v[19:20]
	v_fma_f64 v[36:37], v[19:20], s[18:19], v[2:3]
	;; [unrolled: 1-line block ×10, first 2 shown]
	v_fma_f64 v[36:37], v[19:20], v[36:37], 1.0
	v_fma_f64 v[36:37], v[19:20], v[36:37], 1.0
	v_mov_b32_e32 v19, 0xbcba3012
	v_mov_b32_e32 v20, 0x4034be39
	v_fma_f64 v[19:20], v[6:7], s[72:73], v[19:20]
	v_ldexp_f64 v[26:27], v[36:37], v9
	v_fma_f64 v[19:20], v[4:5], s[0:1], v[19:20]
	v_cmp_ngt_f64_e64 s[0:1], s[8:9], v[32:33]
	v_cndmask_b32_e32 v9, v34, v27, vcc
	v_lshlrev_b64 v[27:28], 3, v[0:1]
	v_add_u32_e32 v0, s11, v0
	v_mul_f64 v[36:37], v[19:20], s[22:23]
	v_cndmask_b32_e64 v32, 0, v9, s[0:1]
	s_and_b64 vcc, s[0:1], vcc
	s_mov_b32 s0, 0xdd2f1aa0
	s_mov_b32 s1, 0xc0988824
	v_cndmask_b32_e32 v31, 0, v26, vcc
	v_cmp_nlt_f64_e32 vcc, s[14:15], v[19:20]
	v_add_co_u32_e64 v27, s[2:3], s10, v27
	v_rndne_f64_e32 v[24:25], v[36:37]
	v_addc_co_u32_e64 v28, s[2:3], v35, v28, s[2:3]
	global_store_dwordx2 v[27:28], v[31:32], off
	v_fma_f64 v[29:30], v[24:25], s[12:13], v[19:20]
	v_cvt_i32_f64_e32 v9, v[24:25]
	v_fma_f64 v[29:30], v[24:25], s[16:17], v[29:30]
	v_fma_f64 v[36:37], v[29:30], s[18:19], v[2:3]
	;; [unrolled: 1-line block ×10, first 2 shown]
	v_fma_f64 v[36:37], v[29:30], v[36:37], 1.0
	v_fma_f64 v[29:30], v[29:30], v[36:37], 1.0
	v_mov_b32_e32 v36, 0xbaf88ef2
	v_mov_b32_e32 v37, 0x40326bb1
	v_fma_f64 v[36:37], v[6:7], s[70:71], v[36:37]
	s_mov_b32 s70, 0x9ae924f2
	s_mov_b32 s71, 0xc0a79699
	v_ldexp_f64 v[24:25], v[29:30], v9
	v_fma_f64 v[36:37], v[4:5], s[0:1], v[36:37]
	v_cmp_ngt_f64_e64 s[0:1], s[8:9], v[19:20]
	v_lshlrev_b64 v[19:20], 3, v[0:1]
	v_add_u32_e32 v0, s11, v0
	v_add_co_u32_e64 v19, s[2:3], s10, v19
	v_cndmask_b32_e32 v9, v34, v25, vcc
	v_addc_co_u32_e64 v20, s[2:3], v35, v20, s[2:3]
	v_mul_f64 v[29:30], v[36:37], s[22:23]
	s_and_b64 vcc, s[0:1], vcc
	v_rndne_f64_e32 v[25:26], v[29:30]
	v_cndmask_b32_e64 v30, 0, v9, s[0:1]
	s_mov_b32 s0, 0x122fad6d
	s_mov_b32 s1, 0xc0b0419a
	v_cndmask_b32_e32 v29, 0, v24, vcc
	global_store_dwordx2 v[19:20], v[29:30], off
	v_cmp_nlt_f64_e32 vcc, s[14:15], v[36:37]
	v_fma_f64 v[27:28], v[25:26], s[12:13], v[36:37]
	v_cvt_i32_f64_e32 v9, v[25:26]
	v_fma_f64 v[27:28], v[25:26], s[16:17], v[27:28]
	v_fma_f64 v[31:32], v[27:28], s[18:19], v[2:3]
	;; [unrolled: 1-line block ×10, first 2 shown]
	v_fma_f64 v[31:32], v[27:28], v[31:32], 1.0
	v_fma_f64 v[27:28], v[27:28], v[31:32], 1.0
	v_mov_b32_e32 v31, 0x8c1a5516
	v_mov_b32_e32 v32, 0x402d6e6c
	v_fma_f64 v[31:32], v[6:7], 2.0, v[31:32]
	v_ldexp_f64 v[24:25], v[27:28], v9
	v_fma_f64 v[31:32], v[4:5], s[0:1], v[31:32]
	v_cmp_ngt_f64_e64 s[0:1], s[8:9], v[36:37]
	v_cndmask_b32_e32 v9, v34, v25, vcc
	v_mul_f64 v[26:27], v[31:32], s[22:23]
	s_and_b64 vcc, s[0:1], vcc
	v_rndne_f64_e32 v[19:20], v[26:27]
	v_lshlrev_b64 v[25:26], 3, v[0:1]
	v_add_u32_e32 v0, s11, v0
	v_add_co_u32_e64 v25, s[2:3], s10, v25
	v_addc_co_u32_e64 v26, s[2:3], v35, v26, s[2:3]
	v_fma_f64 v[27:28], v[19:20], s[12:13], v[31:32]
	v_fma_f64 v[27:28], v[19:20], s[16:17], v[27:28]
	v_fma_f64 v[29:30], v[27:28], s[18:19], v[2:3]
	v_fma_f64 v[29:30], v[27:28], v[29:30], s[26:27]
	v_fma_f64 v[29:30], v[27:28], v[29:30], s[28:29]
	v_fma_f64 v[29:30], v[27:28], v[29:30], s[34:35]
	v_fma_f64 v[29:30], v[27:28], v[29:30], s[38:39]
	v_fma_f64 v[29:30], v[27:28], v[29:30], s[36:37]
	v_fma_f64 v[29:30], v[27:28], v[29:30], s[30:31]
	v_fma_f64 v[29:30], v[27:28], v[29:30], s[24:25]
	v_fma_f64 v[29:30], v[27:28], v[29:30], s[20:21]
	v_fma_f64 v[29:30], v[27:28], v[29:30], 1.0
	v_fma_f64 v[27:28], v[27:28], v[29:30], 1.0
	v_cndmask_b32_e64 v30, 0, v9, s[0:1]
	v_cvt_i32_f64_e32 v9, v[19:20]
	v_lshlrev_b64 v[19:20], 3, v[0:1]
	v_cndmask_b32_e32 v29, 0, v24, vcc
	global_store_dwordx2 v[25:26], v[29:30], off
	v_add_co_u32_e32 v26, vcc, s10, v19
	v_ldexp_f64 v[24:25], v[27:28], v9
	v_addc_co_u32_e32 v27, vcc, v35, v20, vcc
	v_cmp_nlt_f64_e32 vcc, s[14:15], v[31:32]
	v_mov_b32_e32 v20, s62
	v_mov_b32_e32 v21, s63
	s_mov_b32 s0, 0xd9ec7000
	global_store_dwordx2 v[26:27], v[20:21], off
	v_mov_b32_e32 v26, 0x403c19dc
	s_mov_b32 s1, 0xc07adbf3
	v_add_u32_e32 v0, s11, v0
	v_cndmask_b32_e32 v9, v34, v25, vcc
	v_mov_b32_e32 v25, 0xc1369695
	v_fma_f64 v[28:29], v[4:5], s[0:1], v[25:26]
	v_cmp_ngt_f64_e64 s[0:1], s[8:9], v[31:32]
	v_lshlrev_b64 v[25:26], 3, v[0:1]
	v_add_u32_e32 v0, s33, v0
	v_add_co_u32_e64 v25, s[2:3], s10, v25
	v_addc_co_u32_e64 v26, s[2:3], v35, v26, s[2:3]
	v_mul_f64 v[30:31], v[28:29], s[22:23]
	s_and_b64 vcc, s[0:1], vcc
	v_cndmask_b32_e64 v33, 0, v9, s[0:1]
	v_cndmask_b32_e32 v32, 0, v24, vcc
	global_store_dwordx2 v[25:26], v[32:33], off
	v_lshlrev_b64 v[26:27], 3, v[0:1]
	v_add_u32_e32 v0, s11, v0
	v_add_co_u32_e32 v32, vcc, s10, v26
	v_rndne_f64_e32 v[30:31], v[30:31]
	v_addc_co_u32_e32 v33, vcc, v35, v27, vcc
	v_mov_b32_e32 v26, s74
	v_mov_b32_e32 v27, s75
	global_store_dwordx2 v[32:33], v[26:27], off
	v_cmp_ngt_f64_e64 s[0:1], s[8:9], v[28:29]
	s_mov_b32 s63, 0x429b48eb
	v_fma_f64 v[36:37], v[30:31], s[12:13], v[28:29]
	v_cvt_i32_f64_e32 v9, v[30:31]
	v_fma_f64 v[36:37], v[30:31], s[16:17], v[36:37]
	v_lshlrev_b64 v[30:31], 3, v[0:1]
	v_add_u32_e32 v0, s11, v0
	v_add_co_u32_e32 v30, vcc, s10, v30
	v_addc_co_u32_e32 v31, vcc, v35, v31, vcc
	global_store_dwordx2 v[30:31], v[26:27], off
	v_fma_f64 v[24:25], v[36:37], s[18:19], v[2:3]
	v_mov_b32_e32 v30, 0xa7d4c5c0
	v_mov_b32_e32 v31, 0x40412866
	v_fma_f64 v[30:31], v[6:7], s[58:59], v[30:31]
	v_cmp_nlt_f64_e32 vcc, s[14:15], v[28:29]
	v_lshlrev_b64 v[28:29], 3, v[0:1]
	v_add_u32_e32 v0, s11, v0
	v_add_co_u32_e64 v28, s[2:3], s10, v28
	v_fma_f64 v[24:25], v[36:37], v[24:25], s[26:27]
	v_addc_co_u32_e64 v29, s[2:3], v35, v29, s[2:3]
	s_mov_b32 s2, 0xbcd35a86
	s_mov_b32 s3, 0xc0d8f08f
	v_fma_f64 v[30:31], v[4:5], s[2:3], v[30:31]
	s_mov_b32 s59, 0xc027a3d7
	v_fma_f64 v[24:25], v[36:37], v[24:25], s[28:29]
	v_mul_f64 v[32:33], v[30:31], s[22:23]
	v_fma_f64 v[24:25], v[36:37], v[24:25], s[34:35]
	v_rndne_f64_e32 v[32:33], v[32:33]
	v_fma_f64 v[24:25], v[36:37], v[24:25], s[38:39]
	v_fma_f64 v[24:25], v[36:37], v[24:25], s[36:37]
	;; [unrolled: 1-line block ×5, first 2 shown]
	v_fma_f64 v[24:25], v[36:37], v[24:25], 1.0
	v_fma_f64 v[24:25], v[36:37], v[24:25], 1.0
	v_ldexp_f64 v[24:25], v[24:25], v9
	v_cndmask_b32_e32 v9, v34, v25, vcc
	s_and_b64 vcc, s[0:1], vcc
	v_cndmask_b32_e64 v25, 0, v9, s[0:1]
	v_cndmask_b32_e32 v24, 0, v24, vcc
	global_store_dwordx2 v[28:29], v[24:25], off
	v_fma_f64 v[28:29], v[32:33], s[12:13], v[30:31]
	v_lshlrev_b64 v[24:25], 3, v[0:1]
	v_add_u32_e32 v0, s11, v0
	v_add_co_u32_e32 v24, vcc, s10, v24
	v_addc_co_u32_e32 v25, vcc, v35, v25, vcc
	global_store_dwordx2 v[24:25], v[10:11], off
	v_fma_f64 v[28:29], v[32:33], s[16:17], v[28:29]
	v_cmp_ngt_f64_e64 s[0:1], s[8:9], v[30:31]
	v_cvt_i32_f64_e32 v9, v[32:33]
	v_fma_f64 v[24:25], v[28:29], s[18:19], v[2:3]
	v_fma_f64 v[24:25], v[28:29], v[24:25], s[26:27]
	;; [unrolled: 1-line block ×9, first 2 shown]
	v_fma_f64 v[24:25], v[28:29], v[24:25], 1.0
	v_fma_f64 v[24:25], v[28:29], v[24:25], 1.0
	v_lshlrev_b64 v[28:29], 3, v[0:1]
	v_add_u32_e32 v0, s11, v0
	v_add_co_u32_e32 v28, vcc, s10, v28
	v_addc_co_u32_e32 v29, vcc, v35, v29, vcc
	global_store_dwordx2 v[28:29], v[16:17], off
	v_lshlrev_b64 v[28:29], 3, v[0:1]
	v_add_u32_e32 v0, s11, v0
	v_add_co_u32_e32 v28, vcc, s10, v28
	v_addc_co_u32_e32 v29, vcc, v35, v29, vcc
	v_cmp_nlt_f64_e32 vcc, s[14:15], v[30:31]
	v_mov_b32_e32 v30, 0xe545699
	v_mov_b32_e32 v31, 0x4033c577
	v_fma_f64 v[30:31], v[6:7], s[80:81], v[30:31]
	global_store_dwordx2 v[28:29], v[22:23], off
	v_lshlrev_b64 v[28:29], 3, v[0:1]
	v_ldexp_f64 v[24:25], v[24:25], v9
	v_add_co_u32_e64 v28, s[2:3], s10, v28
	v_addc_co_u32_e64 v29, s[2:3], v35, v29, s[2:3]
	s_mov_b32 s2, 0x902de01
	s_mov_b32 s3, 0xc0d234d2
	v_fma_f64 v[30:31], v[4:5], s[2:3], v[30:31]
	v_cndmask_b32_e32 v9, v34, v25, vcc
	s_and_b64 vcc, s[0:1], vcc
	v_cndmask_b32_e64 v25, 0, v9, s[0:1]
	v_cndmask_b32_e32 v24, 0, v24, vcc
	global_store_dwordx2 v[28:29], v[24:25], off
	v_add_f64 v[28:29], v[6:7], v[6:7]
	v_add_u32_e32 v0, s11, v0
	v_mul_f64 v[32:33], v[30:31], s[22:23]
	v_lshlrev_b64 v[24:25], 3, v[0:1]
	v_cmp_nlt_f64_e32 vcc, s[14:15], v[30:31]
	v_add_co_u32_e64 v24, s[2:3], s10, v24
	v_addc_co_u32_e64 v25, s[2:3], v35, v25, s[2:3]
	s_mov_b32 s2, 0xb2b777d1
	v_rndne_f64_e32 v[32:33], v[32:33]
	s_mov_b32 s3, 0xc08de0e4
	v_fma_f64 v[28:29], v[4:5], s[2:3], v[28:29]
	v_cmp_ngt_f64_e64 s[0:1], s[8:9], v[30:31]
	v_add_u32_e32 v0, s11, v0
	v_fma_f64 v[36:37], v[32:33], s[12:13], v[30:31]
	v_cvt_i32_f64_e32 v9, v[32:33]
	v_mul_f64 v[30:31], v[28:29], s[22:23]
	v_fma_f64 v[36:37], v[32:33], s[16:17], v[36:37]
	v_rndne_f64_e32 v[30:31], v[30:31]
	v_fma_f64 v[38:39], v[36:37], s[18:19], v[2:3]
	v_fma_f64 v[38:39], v[36:37], v[38:39], s[26:27]
	;; [unrolled: 1-line block ×9, first 2 shown]
	v_fma_f64 v[38:39], v[36:37], v[38:39], 1.0
	v_fma_f64 v[36:37], v[36:37], v[38:39], 1.0
	v_ldexp_f64 v[32:33], v[36:37], v9
	v_fma_f64 v[36:37], v[30:31], s[12:13], v[28:29]
	v_cndmask_b32_e32 v9, v34, v33, vcc
	v_fma_f64 v[36:37], v[30:31], s[16:17], v[36:37]
	s_and_b64 vcc, s[0:1], vcc
	v_cndmask_b32_e64 v33, 0, v9, s[0:1]
	v_cndmask_b32_e32 v32, 0, v32, vcc
	v_cvt_i32_f64_e32 v9, v[30:31]
	global_store_dwordx2 v[24:25], v[32:33], off
	v_lshlrev_b64 v[24:25], 3, v[0:1]
	v_cmp_nlt_f64_e32 vcc, s[14:15], v[28:29]
	v_fma_f64 v[38:39], v[36:37], s[18:19], v[2:3]
	v_add_co_u32_e64 v24, s[2:3], s10, v24
	v_addc_co_u32_e64 v25, s[2:3], v35, v25, s[2:3]
	v_cmp_ngt_f64_e64 s[0:1], s[8:9], v[28:29]
	s_mov_b32 s2, 0
	v_mov_b32_e32 v28, 0x10492360
	v_fma_f64 v[38:39], v[36:37], v[38:39], s[26:27]
	v_mov_b32_e32 v29, 0xc020dcae
	s_mov_b32 s3, 0x40120000
	v_fma_f64 v[28:29], v[6:7], s[2:3], v[28:29]
	v_add_u32_e32 v0, s11, v0
	v_fma_f64 v[38:39], v[36:37], v[38:39], s[28:29]
	v_fma_f64 v[28:29], v[4:5], s[6:7], v[28:29]
	;; [unrolled: 1-line block ×8, first 2 shown]
	v_fma_f64 v[38:39], v[36:37], v[38:39], 1.0
	v_fma_f64 v[36:37], v[36:37], v[38:39], 1.0
	v_ldexp_f64 v[30:31], v[36:37], v9
	v_cndmask_b32_e32 v9, v34, v31, vcc
	v_cndmask_b32_e64 v31, 0, v9, s[0:1]
	s_and_b64 vcc, s[0:1], vcc
	s_mov_b32 s0, 0
	v_cndmask_b32_e32 v30, 0, v30, vcc
	s_mov_b32 s1, 0x416f20c0
	v_mul_f64 v[32:33], v[30:31], s[0:1]
	s_mov_b32 s0, 0
	s_mov_b32 s1, 0x414f20c0
	v_mul_f64 v[30:31], v[30:31], s[0:1]
	v_cmp_ngt_f64_e64 s[0:1], s[8:9], v[28:29]
	global_store_dwordx2 v[24:25], v[32:33], off
	v_mul_f64 v[24:25], v[28:29], s[22:23]
	v_rndne_f64_e32 v[24:25], v[24:25]
	v_fma_f64 v[32:33], v[24:25], s[12:13], v[28:29]
	v_cvt_i32_f64_e32 v9, v[24:25]
	v_fma_f64 v[32:33], v[24:25], s[16:17], v[32:33]
	v_fma_f64 v[36:37], v[32:33], s[18:19], v[2:3]
	;; [unrolled: 1-line block ×10, first 2 shown]
	v_fma_f64 v[36:37], v[32:33], v[36:37], 1.0
	v_fma_f64 v[32:33], v[32:33], v[36:37], 1.0
	v_lshlrev_b64 v[36:37], 3, v[0:1]
	v_add_u32_e32 v0, s11, v0
	v_add_co_u32_e32 v36, vcc, s10, v36
	v_addc_co_u32_e32 v37, vcc, v35, v37, vcc
	global_store_dwordx2 v[36:37], v[30:31], off
	v_mov_b32_e32 v30, 0xe9b53ae0
	v_mov_b32_e32 v31, 0xc01e8abe
	v_fma_f64 v[30:31], v[6:7], 4.0, v[30:31]
	v_ldexp_f64 v[24:25], v[32:33], v9
	v_cmp_nlt_f64_e32 vcc, s[14:15], v[28:29]
	v_lshlrev_b64 v[28:29], 3, v[0:1]
	v_add_u32_e32 v0, s11, v0
	v_add_co_u32_e64 v28, s[2:3], s10, v28
	v_addc_co_u32_e64 v29, s[2:3], v35, v29, s[2:3]
	v_fma_f64 v[30:31], v[4:5], s[4:5], v[30:31]
	v_cndmask_b32_e32 v9, v34, v25, vcc
	s_and_b64 vcc, s[0:1], vcc
	v_cndmask_b32_e64 v25, 0, v9, s[0:1]
	v_cndmask_b32_e32 v24, 0, v24, vcc
	global_store_dwordx2 v[28:29], v[24:25], off
	v_lshlrev_b64 v[24:25], 3, v[0:1]
	v_add_u32_e32 v0, s11, v0
	v_mul_f64 v[32:33], v[30:31], s[22:23]
	v_add_co_u32_e64 v28, s[2:3], s10, v24
	v_cmp_nlt_f64_e32 vcc, s[14:15], v[30:31]
	v_cmp_ngt_f64_e64 s[0:1], s[8:9], v[30:31]
	v_addc_co_u32_e64 v29, s[2:3], v35, v25, s[2:3]
	v_mov_b32_e32 v24, 0x85114c59
	v_rndne_f64_e32 v[32:33], v[32:33]
	v_mov_b32_e32 v25, 0x40301e3b
	v_fma_f64 v[24:25], v[6:7], 2.0, v[24:25]
	s_mov_b32 s5, 0xc08f7377
	v_fma_f64 v[36:37], v[32:33], s[12:13], v[30:31]
	v_cvt_i32_f64_e32 v9, v[32:33]
	v_fma_f64 v[36:37], v[32:33], s[16:17], v[36:37]
	v_fma_f64 v[38:39], v[36:37], s[18:19], v[2:3]
	;; [unrolled: 1-line block ×10, first 2 shown]
	v_fma_f64 v[38:39], v[36:37], v[38:39], 1.0
	v_fma_f64 v[36:37], v[36:37], v[38:39], 1.0
	v_ldexp_f64 v[32:33], v[36:37], v9
	v_cndmask_b32_e32 v9, v34, v33, vcc
	s_and_b64 vcc, s[0:1], vcc
	v_cndmask_b32_e32 v30, 0, v32, vcc
	v_fma_f64 v[32:33], v[4:5], s[70:71], v[24:25]
	v_cndmask_b32_e64 v31, 0, v9, s[0:1]
	global_store_dwordx2 v[28:29], v[30:31], off
	v_fma_f64 v[24:25], v[4:5], s[64:65], v[24:25]
	v_mul_f64 v[28:29], v[32:33], s[22:23]
	v_cmp_nlt_f64_e32 vcc, s[14:15], v[32:33]
	v_cmp_ngt_f64_e64 s[0:1], s[8:9], v[32:33]
	v_rndne_f64_e32 v[28:29], v[28:29]
	v_fma_f64 v[30:31], v[28:29], s[12:13], v[32:33]
	v_cvt_i32_f64_e32 v9, v[28:29]
	v_fma_f64 v[30:31], v[28:29], s[16:17], v[30:31]
	v_fma_f64 v[36:37], v[30:31], s[18:19], v[2:3]
	;; [unrolled: 1-line block ×10, first 2 shown]
	v_fma_f64 v[36:37], v[30:31], v[36:37], 1.0
	v_fma_f64 v[30:31], v[30:31], v[36:37], 1.0
	v_mov_b32_e32 v36, 0x8e7ddca5
	v_mov_b32_e32 v37, 0x405fdb8f
	v_fma_f64 v[36:37], v[6:7], s[58:59], v[36:37]
	s_mov_b32 s59, 0xc006a3d7
	v_ldexp_f64 v[28:29], v[30:31], v9
	v_cndmask_b32_e32 v9, v34, v29, vcc
	v_cndmask_b32_e64 v32, 0, v9, s[0:1]
	s_and_b64 vcc, s[0:1], vcc
	s_mov_b32 s0, 0x9db22d0e
	s_mov_b32 s1, 0xc0d18efb
	v_fma_f64 v[36:37], v[4:5], s[0:1], v[36:37]
	v_lshlrev_b64 v[29:30], 3, v[0:1]
	v_cndmask_b32_e32 v31, 0, v28, vcc
	v_add_co_u32_e64 v29, s[2:3], s10, v29
	v_addc_co_u32_e64 v30, s[2:3], v35, v30, s[2:3]
	global_store_dwordx2 v[29:30], v[31:32], off
	v_mul_f64 v[28:29], v[36:37], s[22:23]
	v_cmp_nlt_f64_e32 vcc, s[14:15], v[36:37]
	v_cmp_ngt_f64_e64 s[0:1], s[8:9], v[36:37]
	v_add_u32_e32 v0, s11, v0
	v_rndne_f64_e32 v[28:29], v[28:29]
	v_fma_f64 v[30:31], v[28:29], s[12:13], v[36:37]
	v_cvt_i32_f64_e32 v9, v[28:29]
	v_fma_f64 v[30:31], v[28:29], s[16:17], v[30:31]
	v_fma_f64 v[32:33], v[30:31], s[18:19], v[2:3]
	;; [unrolled: 1-line block ×10, first 2 shown]
	v_fma_f64 v[32:33], v[30:31], v[32:33], 1.0
	v_fma_f64 v[30:31], v[30:31], v[32:33], 1.0
	v_ldexp_f64 v[28:29], v[30:31], v9
	v_cndmask_b32_e32 v9, v34, v29, vcc
	v_lshlrev_b64 v[29:30], 3, v[0:1]
	s_and_b64 vcc, s[0:1], vcc
	v_add_co_u32_e64 v29, s[2:3], s10, v29
	v_addc_co_u32_e64 v30, s[2:3], v35, v30, s[2:3]
	v_cndmask_b32_e64 v32, 0, v9, s[0:1]
	v_cndmask_b32_e32 v31, 0, v28, vcc
	v_add_u32_e32 v0, s11, v0
	global_store_dwordx2 v[29:30], v[31:32], off
	v_lshlrev_b64 v[28:29], 3, v[0:1]
	s_mov_b32 s0, 0x77af6406
	v_add_co_u32_e32 v28, vcc, s10, v28
	v_addc_co_u32_e32 v29, vcc, v35, v29, vcc
	global_store_dwordx2 v[28:29], v[26:27], off
	v_mov_b32_e32 v28, 0xf8104776
	v_mov_b32_e32 v29, 0x4040b70d
	v_fma_f64 v[28:29], v[6:7], s[48:49], v[28:29]
	s_mov_b32 s1, 0xc0b0b557
	v_add_u32_e32 v0, s11, v0
	v_lshlrev_b64 v[30:31], 3, v[0:1]
	v_add_u32_e32 v0, s11, v0
	v_add_co_u32_e32 v30, vcc, s10, v30
	v_addc_co_u32_e32 v31, vcc, v35, v31, vcc
	v_fma_f64 v[28:29], v[4:5], s[0:1], v[28:29]
	global_store_dwordx2 v[30:31], v[26:27], off
	v_lshlrev_b64 v[30:31], 3, v[0:1]
	v_add_u32_e32 v0, s11, v0
	v_add_co_u32_e32 v30, vcc, s10, v30
	v_addc_co_u32_e32 v31, vcc, v35, v31, vcc
	v_mul_f64 v[32:33], v[28:29], s[22:23]
	global_store_dwordx2 v[30:31], v[12:13], off
	v_cmp_ngt_f64_e64 s[0:1], s[8:9], v[28:29]
	s_mov_b32 s49, 0x3ffeb851
	v_rndne_f64_e32 v[32:33], v[32:33]
	v_fma_f64 v[12:13], v[32:33], s[12:13], v[28:29]
	v_cvt_i32_f64_e32 v9, v[32:33]
	v_fma_f64 v[12:13], v[32:33], s[16:17], v[12:13]
	v_fma_f64 v[30:31], v[12:13], s[18:19], v[2:3]
	;; [unrolled: 1-line block ×10, first 2 shown]
	v_fma_f64 v[30:31], v[12:13], v[30:31], 1.0
	v_fma_f64 v[12:13], v[12:13], v[30:31], 1.0
	v_lshlrev_b64 v[30:31], 3, v[0:1]
	v_add_u32_e32 v0, s11, v0
	v_add_co_u32_e32 v30, vcc, s10, v30
	v_addc_co_u32_e32 v31, vcc, v35, v31, vcc
	global_store_dwordx2 v[30:31], v[22:23], off
	v_mov_b32_e32 v30, 0x821d7c12
	v_mov_b32_e32 v31, 0x403520f4
	v_fma_f64 v[30:31], v[6:7], s[52:53], v[30:31]
	v_cmp_nlt_f64_e32 vcc, s[14:15], v[28:29]
	v_lshlrev_b64 v[28:29], 3, v[0:1]
	v_ldexp_f64 v[12:13], v[12:13], v9
	v_add_co_u32_e64 v28, s[2:3], s10, v28
	v_addc_co_u32_e64 v29, s[2:3], v35, v29, s[2:3]
	s_mov_b32 s2, 0x8216c615
	s_mov_b32 s3, 0xc095269c
	v_fma_f64 v[30:31], v[4:5], s[2:3], v[30:31]
	v_cndmask_b32_e32 v9, v34, v13, vcc
	v_cndmask_b32_e64 v13, 0, v9, s[0:1]
	s_and_b64 vcc, s[0:1], vcc
	s_mov_b32 s0, 0x712a0ec7
	v_cndmask_b32_e32 v12, 0, v12, vcc
	s_mov_b32 s1, 0xc0853abd
	global_store_dwordx2 v[28:29], v[12:13], off
	v_mul_f64 v[32:33], v[30:31], s[22:23]
	v_fma_f64 v[12:13], v[4:5], s[0:1], v[14:15]
	v_cmp_nlt_f64_e32 vcc, s[14:15], v[30:31]
	v_cmp_ngt_f64_e64 s[0:1], s[8:9], v[30:31]
	v_add_u32_e32 v0, s33, v0
	v_lshlrev_b64 v[14:15], 3, v[0:1]
	v_add_u32_e32 v0, s33, v0
	v_add_co_u32_e64 v14, s[2:3], s10, v14
	v_rndne_f64_e32 v[32:33], v[32:33]
	v_mul_f64 v[28:29], v[12:13], s[22:23]
	v_addc_co_u32_e64 v15, s[2:3], v35, v15, s[2:3]
	s_mov_b32 s53, 0x3ffee147
	v_fma_f64 v[36:37], v[32:33], s[12:13], v[30:31]
	v_cvt_i32_f64_e32 v9, v[32:33]
	v_rndne_f64_e32 v[28:29], v[28:29]
	v_fma_f64 v[36:37], v[32:33], s[16:17], v[36:37]
	v_fma_f64 v[38:39], v[36:37], s[18:19], v[2:3]
	;; [unrolled: 1-line block ×10, first 2 shown]
	v_fma_f64 v[38:39], v[36:37], v[38:39], 1.0
	v_fma_f64 v[36:37], v[36:37], v[38:39], 1.0
	v_ldexp_f64 v[32:33], v[36:37], v9
	v_cndmask_b32_e32 v9, v34, v33, vcc
	s_and_b64 vcc, s[0:1], vcc
	v_cndmask_b32_e32 v30, 0, v32, vcc
	v_fma_f64 v[32:33], v[28:29], s[12:13], v[12:13]
	v_cndmask_b32_e64 v31, 0, v9, s[0:1]
	global_store_dwordx2 v[14:15], v[30:31], off
	v_mul_f64 v[30:31], v[4:5], s[4:5]
	v_cvt_i32_f64_e32 v9, v[28:29]
	v_cmp_nlt_f64_e32 vcc, s[14:15], v[12:13]
	v_cmp_ngt_f64_e64 s[0:1], s[8:9], v[12:13]
	v_lshlrev_b64 v[12:13], 3, v[0:1]
	v_fma_f64 v[32:33], v[28:29], s[16:17], v[32:33]
	v_add_co_u32_e64 v12, s[6:7], s10, v12
	v_cmp_nlt_f64_e64 s[2:3], s[14:15], v[30:31]
	v_cmp_ngt_f64_e64 s[4:5], s[8:9], v[30:31]
	v_addc_co_u32_e64 v13, s[6:7], v35, v13, s[6:7]
	v_add_u32_e32 v0, s11, v0
	v_fma_f64 v[14:15], v[32:33], s[18:19], v[2:3]
	s_mov_b32 s7, 0x3fd28f5c
	s_mov_b32 s6, 0x28f5c28f
	v_fma_f64 v[14:15], v[32:33], v[14:15], s[26:27]
	v_fma_f64 v[14:15], v[32:33], v[14:15], s[28:29]
	;; [unrolled: 1-line block ×8, first 2 shown]
	v_fma_f64 v[14:15], v[32:33], v[14:15], 1.0
	v_fma_f64 v[14:15], v[32:33], v[14:15], 1.0
	v_mul_f64 v[32:33], v[30:31], s[22:23]
	v_ldexp_f64 v[14:15], v[14:15], v9
	v_rndne_f64_e32 v[32:33], v[32:33]
	v_fma_f64 v[36:37], v[32:33], s[12:13], v[30:31]
	v_cvt_i32_f64_e32 v9, v[32:33]
	v_fma_f64 v[36:37], v[32:33], s[16:17], v[36:37]
	v_fma_f64 v[38:39], v[36:37], s[18:19], v[2:3]
	;; [unrolled: 1-line block ×10, first 2 shown]
	v_fma_f64 v[38:39], v[36:37], v[38:39], 1.0
	v_fma_f64 v[36:37], v[36:37], v[38:39], 1.0
	v_ldexp_f64 v[28:29], v[36:37], v9
	v_cndmask_b32_e32 v9, v34, v15, vcc
	s_and_b64 vcc, s[0:1], vcc
	v_cndmask_b32_e32 v14, 0, v14, vcc
	s_and_b64 vcc, s[4:5], s[2:3]
	v_cndmask_b32_e64 v15, 0, v9, s[0:1]
	global_store_dwordx2 v[12:13], v[14:15], off
	v_lshlrev_b64 v[14:15], 3, v[0:1]
	v_cndmask_b32_e64 v19, v34, v29, s[2:3]
	v_cndmask_b32_e64 v29, 0, v19, s[4:5]
	v_cndmask_b32_e32 v28, 0, v28, vcc
	v_mul_f64 v[12:13], v[28:29], s[62:63]
	v_add_co_u32_e32 v14, vcc, s10, v14
	v_addc_co_u32_e32 v15, vcc, v35, v15, vcc
	s_mov_b32 s5, 0x3fd147ae
	s_mov_b32 s4, 0x147ae148
	v_mad_u64_u32 v[30:31], s[0:1], s11, 21, v[0:1]
	global_store_dwordx2 v[14:15], v[12:13], off
	v_mov_b32_e32 v14, 0x63073655
	v_mov_b32_e32 v15, 0x403d6f9f
	v_fma_f64 v[14:15], v[6:7], s[4:5], v[14:15]
	v_mov_b32_e32 v31, v1
	v_lshlrev_b64 v[12:13], 3, v[30:31]
	s_mov_b32 s0, 0x4399b2c4
	v_add_co_u32_e32 v31, vcc, s10, v12
	s_mov_b32 s1, 0xc0619cd2
	v_addc_co_u32_e32 v32, vcc, v35, v13, vcc
	v_fma_f64 v[12:13], v[4:5], s[0:1], v[14:15]
	v_mul_f64 v[36:37], v[28:29], s[76:77]
	v_mul_f64 v[28:29], v[28:29], s[50:51]
	s_mul_i32 s2, s11, 0xffffffca
	s_mov_b32 s63, 0x4072beac
	s_mov_b32 s62, 0x94b380cb
	;; [unrolled: 1-line block ×3, first 2 shown]
	v_mov_b32_e32 v19, 0x427d1a94
	v_mul_f64 v[14:15], v[12:13], s[22:23]
	global_store_dwordx2 v[31:32], v[36:37], off
	v_rndne_f64_e32 v[31:32], v[14:15]
	v_fma_f64 v[14:15], v[31:32], s[12:13], v[12:13]
	v_cvt_i32_f64_e32 v0, v[31:32]
	v_fma_f64 v[14:15], v[31:32], s[16:17], v[14:15]
	v_fma_f64 v[36:37], v[14:15], s[18:19], v[2:3]
	;; [unrolled: 1-line block ×10, first 2 shown]
	v_fma_f64 v[36:37], v[14:15], v[36:37], 1.0
	v_fma_f64 v[36:37], v[14:15], v[36:37], 1.0
	v_mad_u64_u32 v[14:15], s[0:1], s11, 34, v[30:31]
	v_mov_b32_e32 v15, v1
	v_cmp_ngt_f64_e64 s[0:1], s[8:9], v[12:13]
	v_lshlrev_b64 v[38:39], 3, v[14:15]
	v_add_co_u32_e32 v38, vcc, s10, v38
	v_addc_co_u32_e32 v39, vcc, v35, v39, vcc
	global_store_dwordx2 v[38:39], v[28:29], off
	v_mov_b32_e32 v28, 0x652a2644
	v_mov_b32_e32 v29, 0x402c3763
	v_fma_f64 v[28:29], v[6:7], s[78:79], v[28:29]
	v_ldexp_f64 v[30:31], v[36:37], v0
	v_cmp_nlt_f64_e32 vcc, s[14:15], v[12:13]
	v_add_u32_e32 v0, s2, v14
	s_mov_b32 s2, 0x590c0ad0
	s_mov_b32 s3, 0x40681ddd
	v_lshlrev_b64 v[12:13], 3, v[0:1]
	v_add_u32_e32 v0, s11, v0
	v_fma_f64 v[14:15], v[4:5], s[2:3], v[28:29]
	v_add_co_u32_e64 v12, s[2:3], s10, v12
	v_cndmask_b32_e32 v9, v34, v31, vcc
	s_and_b64 vcc, s[0:1], vcc
	v_addc_co_u32_e64 v13, s[2:3], v35, v13, s[2:3]
	v_cndmask_b32_e64 v29, 0, v9, s[0:1]
	v_cndmask_b32_e32 v28, 0, v30, vcc
	global_store_dwordx2 v[12:13], v[28:29], off
	v_mul_f64 v[12:13], v[14:15], s[22:23]
	v_lshlrev_b64 v[28:29], 3, v[0:1]
	v_add_u32_e32 v0, s11, v0
	v_add_co_u32_e32 v28, vcc, s10, v28
	v_addc_co_u32_e32 v29, vcc, v35, v29, vcc
	global_store_dwordx2 v[28:29], v[16:17], off
	v_rndne_f64_e32 v[12:13], v[12:13]
	v_lshlrev_b64 v[16:17], 3, v[0:1]
	s_mov_b32 s0, 0x87c07e35
	v_add_co_u32_e32 v16, vcc, s10, v16
	v_addc_co_u32_e32 v17, vcc, v35, v17, vcc
	global_store_dwordx2 v[16:17], v[20:21], off
	v_fma_f64 v[16:17], v[12:13], s[12:13], v[14:15]
	v_add_u32_e32 v0, s11, v0
	s_mov_b32 s1, 0xc016243b
	v_lshlrev_b64 v[28:29], 3, v[0:1]
	v_mov_b32_e32 v30, s68
	v_add_co_u32_e32 v28, vcc, s10, v28
	v_addc_co_u32_e32 v29, vcc, v35, v29, vcc
	v_fma_f64 v[16:17], v[12:13], s[16:17], v[16:17]
	v_mov_b32_e32 v31, s69
	v_add_u32_e32 v0, s11, v0
	global_store_dwordx2 v[28:29], v[30:31], off
	v_lshlrev_b64 v[28:29], 3, v[0:1]
	v_add_u32_e32 v0, s11, v0
	v_add_co_u32_e32 v28, vcc, s10, v28
	v_fma_f64 v[32:33], v[16:17], s[18:19], v[2:3]
	v_addc_co_u32_e32 v29, vcc, v35, v29, vcc
	global_store_dwordx2 v[28:29], v[30:31], off
	v_cvt_i32_f64_e32 v9, v[12:13]
	v_lshlrev_b64 v[12:13], 3, v[0:1]
	v_mov_b32_e32 v30, 0xdaac0000
	v_add_co_u32_e32 v12, vcc, s10, v12
	v_fma_f64 v[32:33], v[16:17], v[32:33], s[26:27]
	v_addc_co_u32_e32 v13, vcc, v35, v13, vcc
	v_mov_b32_e32 v31, 0x42bb6287
	global_store_dwordx2 v[12:13], v[30:31], off
	v_cmp_nlt_f64_e32 vcc, s[14:15], v[14:15]
	v_add_u32_e32 v0, s11, v0
	s_mov_b32 s69, 0x42b5d3ef
	v_fma_f64 v[32:33], v[16:17], v[32:33], s[28:29]
	v_fma_f64 v[32:33], v[16:17], v[32:33], s[34:35]
	;; [unrolled: 1-line block ×7, first 2 shown]
	v_fma_f64 v[32:33], v[16:17], v[32:33], 1.0
	v_fma_f64 v[16:17], v[16:17], v[32:33], 1.0
	v_mov_b32_e32 v32, 0x9924ff9
	v_mov_b32_e32 v33, 0x403a6d53
	v_fma_f64 v[32:33], v[6:7], s[6:7], v[32:33]
	s_mov_b32 s7, 0x3ffe8f5c
	v_ldexp_f64 v[16:17], v[16:17], v9
	v_fma_f64 v[32:33], v[4:5], s[0:1], v[32:33]
	v_cmp_ngt_f64_e64 s[0:1], s[8:9], v[14:15]
	v_lshlrev_b64 v[14:15], 3, v[0:1]
	v_add_u32_e32 v0, s11, v0
	v_add_co_u32_e64 v14, s[2:3], s10, v14
	v_cndmask_b32_e32 v9, v34, v17, vcc
	v_addc_co_u32_e64 v15, s[2:3], v35, v15, s[2:3]
	v_mul_f64 v[28:29], v[32:33], s[22:23]
	v_cndmask_b32_e64 v17, 0, v9, s[0:1]
	s_and_b64 vcc, s[0:1], vcc
	s_mov_b32 s0, 0xa3d70a3d
	s_mov_b32 s1, 0xbff63d70
	v_cndmask_b32_e32 v16, 0, v16, vcc
	global_store_dwordx2 v[14:15], v[16:17], off
	v_cmp_nlt_f64_e32 vcc, s[14:15], v[32:33]
	v_rndne_f64_e32 v[12:13], v[28:29]
	v_lshlrev_b64 v[16:17], 3, v[0:1]
	v_add_u32_e32 v0, s11, v0
	v_add_co_u32_e64 v16, s[2:3], s10, v16
	v_addc_co_u32_e64 v17, s[2:3], v35, v17, s[2:3]
	v_fma_f64 v[28:29], v[12:13], s[12:13], v[32:33]
	v_cvt_i32_f64_e32 v9, v[12:13]
	v_fma_f64 v[28:29], v[12:13], s[16:17], v[28:29]
	v_fma_f64 v[30:31], v[28:29], s[18:19], v[2:3]
	;; [unrolled: 1-line block ×10, first 2 shown]
	v_fma_f64 v[30:31], v[28:29], v[30:31], 1.0
	v_fma_f64 v[28:29], v[28:29], v[30:31], 1.0
	v_mov_b32_e32 v30, 0x8be57bf0
	v_mov_b32_e32 v31, 0x40432f07
	v_fma_f64 v[30:31], v[6:7], s[0:1], v[30:31]
	s_mov_b32 s0, 0x395c4220
	s_mov_b32 s1, 0xc07fc3fb
	v_ldexp_f64 v[12:13], v[28:29], v9
	v_fma_f64 v[30:31], v[4:5], s[0:1], v[30:31]
	v_cmp_ngt_f64_e64 s[0:1], s[8:9], v[32:33]
	v_cndmask_b32_e32 v9, v34, v13, vcc
	v_mul_f64 v[28:29], v[30:31], s[22:23]
	s_and_b64 vcc, s[0:1], vcc
	v_cndmask_b32_e32 v32, 0, v12, vcc
	v_cndmask_b32_e64 v33, 0, v9, s[0:1]
	v_cmp_nlt_f64_e32 vcc, s[14:15], v[30:31]
	global_store_dwordx2 v[16:17], v[32:33], off
	v_lshlrev_b64 v[16:17], 3, v[0:1]
	v_cmp_ngt_f64_e64 s[0:1], s[8:9], v[30:31]
	v_rndne_f64_e32 v[14:15], v[28:29]
	v_mov_b32_e32 v33, 0x404bd570
	v_add_u32_e32 v0, s11, v0
	v_fma_f64 v[28:29], v[14:15], s[12:13], v[30:31]
	v_cvt_i32_f64_e32 v9, v[14:15]
	v_fma_f64 v[28:29], v[14:15], s[16:17], v[28:29]
	v_fma_f64 v[12:13], v[28:29], s[18:19], v[2:3]
	;; [unrolled: 1-line block ×10, first 2 shown]
	v_fma_f64 v[12:13], v[28:29], v[12:13], 1.0
	v_fma_f64 v[28:29], v[28:29], v[12:13], 1.0
	v_mov_b32_e32 v12, 0xa9c205c9
	v_mov_b32_e32 v13, 0x4037376a
	v_fma_f64 v[12:13], v[4:5], s[62:63], v[12:13]
	s_mov_b32 s63, 0x4062beac
	v_ldexp_f64 v[28:29], v[28:29], v9
	v_mul_f64 v[14:15], v[12:13], s[22:23]
	v_cndmask_b32_e32 v9, v34, v29, vcc
	v_add_co_u32_e64 v29, s[2:3], s10, v16
	v_rndne_f64_e32 v[14:15], v[14:15]
	v_addc_co_u32_e64 v30, s[2:3], v35, v17, s[2:3]
	s_and_b64 vcc, s[0:1], vcc
	v_cndmask_b32_e64 v32, 0, v9, s[0:1]
	v_cndmask_b32_e32 v31, 0, v28, vcc
	global_store_dwordx2 v[29:30], v[31:32], off
	v_mov_b32_e32 v32, 0xe113abae
	v_fma_f64 v[16:17], v[14:15], s[12:13], v[12:13]
	v_fma_f64 v[32:33], v[6:7], s[58:59], v[32:33]
	s_mov_b32 s0, 0xa75cd0bb
	s_mov_b32 s1, 0xc0c24c71
	v_lshlrev_b64 v[28:29], 3, v[0:1]
	v_cvt_i32_f64_e32 v9, v[14:15]
	v_add_co_u32_e32 v28, vcc, s10, v28
	v_fma_f64 v[16:17], v[14:15], s[16:17], v[16:17]
	v_fma_f64 v[32:33], v[4:5], s[0:1], v[32:33]
	v_addc_co_u32_e32 v29, vcc, v35, v29, vcc
	v_cmp_nlt_f64_e32 vcc, s[14:15], v[12:13]
	global_store_dwordx2 v[28:29], v[22:23], off
	v_cmp_ngt_f64_e64 s[0:1], s[8:9], v[12:13]
	v_add_u32_e32 v0, s11, v0
	v_fma_f64 v[36:37], v[16:17], s[18:19], v[2:3]
	v_lshlrev_b64 v[12:13], 3, v[0:1]
	v_add_u32_e32 v0, s11, v0
	v_add_co_u32_e64 v12, s[2:3], s10, v12
	v_addc_co_u32_e64 v13, s[2:3], v35, v13, s[2:3]
	v_fma_f64 v[36:37], v[16:17], v[36:37], s[26:27]
	v_fma_f64 v[36:37], v[16:17], v[36:37], s[28:29]
	v_fma_f64 v[36:37], v[16:17], v[36:37], s[34:35]
	v_fma_f64 v[36:37], v[16:17], v[36:37], s[38:39]
	v_fma_f64 v[36:37], v[16:17], v[36:37], s[36:37]
	v_fma_f64 v[36:37], v[16:17], v[36:37], s[30:31]
	v_fma_f64 v[36:37], v[16:17], v[36:37], s[24:25]
	v_fma_f64 v[30:31], v[16:17], v[36:37], s[20:21]
	v_fma_f64 v[30:31], v[16:17], v[30:31], 1.0
	v_fma_f64 v[16:17], v[16:17], v[30:31], 1.0
	v_mul_f64 v[30:31], v[32:33], s[22:23]
	v_ldexp_f64 v[14:15], v[16:17], v9
	v_rndne_f64_e32 v[30:31], v[30:31]
	v_cndmask_b32_e32 v9, v34, v15, vcc
	v_fma_f64 v[16:17], v[30:31], s[12:13], v[32:33]
	s_and_b64 vcc, s[0:1], vcc
	v_cndmask_b32_e64 v29, 0, v9, s[0:1]
	v_cndmask_b32_e32 v28, 0, v14, vcc
	global_store_dwordx2 v[12:13], v[28:29], off
	v_lshlrev_b64 v[12:13], 3, v[0:1]
	v_mov_b32_e32 v28, 0xe4010000
	v_add_co_u32_e32 v12, vcc, s10, v12
	v_fma_f64 v[15:16], v[30:31], s[16:17], v[16:17]
	v_addc_co_u32_e32 v13, vcc, v35, v13, vcc
	v_mov_b32_e32 v29, 0x42d489e5
	s_mov_b32 s0, 0x95810625
	global_store_dwordx2 v[12:13], v[28:29], off
	v_mov_b32_e32 v28, 0x7bb2fec5
	v_mov_b32_e32 v29, 0x40581d72
	v_fma_f64 v[22:23], v[15:16], s[18:19], v[2:3]
	s_mov_b32 s1, 0xc0224b43
	v_fma_f64 v[28:29], v[6:7], s[0:1], v[28:29]
	s_mov_b32 s0, 0x2617c1be
	s_mov_b32 s1, 0xc0d70c37
	v_add_u32_e32 v0, s11, v0
	v_lshlrev_b64 v[12:13], 3, v[0:1]
	v_add_u32_e32 v0, s11, v0
	v_fma_f64 v[22:23], v[15:16], v[22:23], s[26:27]
	v_add_co_u32_e32 v12, vcc, s10, v12
	v_addc_co_u32_e32 v13, vcc, v35, v13, vcc
	v_cvt_i32_f64_e32 v9, v[30:31]
	v_fma_f64 v[22:23], v[15:16], v[22:23], s[28:29]
	v_fma_f64 v[22:23], v[15:16], v[22:23], s[34:35]
	;; [unrolled: 1-line block ×7, first 2 shown]
	v_fma_f64 v[22:23], v[15:16], v[22:23], 1.0
	v_fma_f64 v[16:17], v[15:16], v[22:23], 1.0
	v_fma_f64 v[14:15], v[4:5], s[0:1], v[28:29]
	v_bfrev_b32_e32 v22, 42
	v_mov_b32_e32 v23, 0x4256d141
	global_store_dwordx2 v[12:13], v[22:23], off
	v_lshlrev_b64 v[12:13], 3, v[0:1]
	v_cmp_ngt_f64_e64 s[0:1], s[8:9], v[32:33]
	v_add_co_u32_e32 v28, vcc, s10, v12
	v_mul_f64 v[22:23], v[14:15], s[22:23]
	v_addc_co_u32_e32 v29, vcc, v35, v13, vcc
	v_mov_b32_e32 v12, 0x1e900000
	v_mov_b32_e32 v13, 0x42b6bcc4
	global_store_dwordx2 v[28:29], v[12:13], off
	v_ldexp_f64 v[16:17], v[16:17], v9
	v_cmp_nlt_f64_e32 vcc, s[14:15], v[32:33]
	v_rndne_f64_e32 v[28:29], v[22:23]
	v_add_u32_e32 v0, s11, v0
	v_lshlrev_b64 v[22:23], 3, v[0:1]
	v_add_u32_e32 v0, s11, v0
	v_add_co_u32_e64 v22, s[2:3], s10, v22
	v_addc_co_u32_e64 v23, s[2:3], v35, v23, s[2:3]
	v_fma_f64 v[30:31], v[28:29], s[12:13], v[14:15]
	v_cndmask_b32_e32 v9, v34, v17, vcc
	s_and_b64 vcc, s[0:1], vcc
	v_fma_f64 v[32:33], v[28:29], s[16:17], v[30:31]
	v_cndmask_b32_e32 v30, 0, v16, vcc
	v_cndmask_b32_e64 v31, 0, v9, s[0:1]
	v_cvt_i32_f64_e32 v9, v[28:29]
	global_store_dwordx2 v[22:23], v[30:31], off
	v_cmp_nlt_f64_e32 vcc, s[14:15], v[14:15]
	v_cmp_ngt_f64_e64 s[0:1], s[8:9], v[14:15]
	v_lshlrev_b64 v[13:14], 3, v[0:1]
	v_fma_f64 v[16:17], v[32:33], s[18:19], v[2:3]
	v_add_co_u32_e64 v13, s[2:3], s10, v13
	v_addc_co_u32_e64 v14, s[2:3], v35, v14, s[2:3]
	v_add_u32_e32 v0, s11, v0
	v_fma_f64 v[16:17], v[32:33], v[16:17], s[26:27]
	v_fma_f64 v[16:17], v[32:33], v[16:17], s[28:29]
	;; [unrolled: 1-line block ×8, first 2 shown]
	v_fma_f64 v[16:17], v[32:33], v[16:17], 1.0
	v_fma_f64 v[32:33], v[32:33], v[16:17], 1.0
	v_mul_f64 v[16:17], v[4:5], s[56:57]
	v_ldexp_f64 v[28:29], v[32:33], v9
	v_mul_f64 v[32:33], v[16:17], s[22:23]
	v_cndmask_b32_e32 v9, v34, v29, vcc
	v_rndne_f64_e32 v[22:23], v[32:33]
	s_and_b64 vcc, s[0:1], vcc
	v_cndmask_b32_e64 v32, 0, v9, s[0:1]
	v_cndmask_b32_e32 v31, 0, v28, vcc
	global_store_dwordx2 v[13:14], v[31:32], off
	v_mov_b32_e32 v31, 0xe22d8722
	v_mov_b32_e32 v32, 0x403db5e0
	v_fma_f64 v[31:32], v[6:7], s[44:45], v[31:32]
	v_fma_f64 v[29:30], v[22:23], s[12:13], v[16:17]
	s_mov_b32 s0, 0x652bd3c3
	s_mov_b32 s1, 0xc0e5cfd1
	v_cvt_i32_f64_e32 v9, v[22:23]
	v_mov_b32_e32 v33, 0x4031bdce
	v_fma_f64 v[31:32], v[4:5], s[0:1], v[31:32]
	v_fma_f64 v[29:30], v[22:23], s[16:17], v[29:30]
	v_lshlrev_b64 v[22:23], 3, v[0:1]
	v_add_u32_e32 v0, s11, v0
	v_add_co_u32_e32 v22, vcc, s10, v22
	v_addc_co_u32_e32 v23, vcc, v35, v23, vcc
	global_store_dwordx2 v[22:23], v[26:27], off
	v_fma_f64 v[36:37], v[29:30], s[18:19], v[2:3]
	v_lshlrev_b64 v[22:23], 3, v[0:1]
	v_cmp_ngt_f64_e64 s[0:1], s[8:9], v[16:17]
	v_add_co_u32_e32 v22, vcc, s10, v22
	v_addc_co_u32_e32 v23, vcc, v35, v23, vcc
	v_cmp_nlt_f64_e32 vcc, s[14:15], v[16:17]
	v_fma_f64 v[36:37], v[29:30], v[36:37], s[26:27]
	v_add_u32_e32 v0, s11, v0
	v_lshlrev_b64 v[16:17], 3, v[0:1]
	v_add_u32_e32 v0, s11, v0
	v_add_co_u32_e64 v16, s[2:3], s10, v16
	v_addc_co_u32_e64 v17, s[2:3], v35, v17, s[2:3]
	v_fma_f64 v[36:37], v[29:30], v[36:37], s[28:29]
	v_fma_f64 v[36:37], v[29:30], v[36:37], s[34:35]
	;; [unrolled: 1-line block ×7, first 2 shown]
	v_mov_b32_e32 v36, 0x81e80000
	v_mov_b32_e32 v37, 0x42d476b0
	global_store_dwordx2 v[22:23], v[36:37], off
	v_mov_b32_e32 v36, 0x524b266f
	v_mov_b32_e32 v37, 0x403bb53e
	v_fma_f64 v[36:37], v[6:7], s[66:67], v[36:37]
	v_fma_f64 v[13:14], v[29:30], v[13:14], 1.0
	v_fma_f64 v[13:14], v[29:30], v[13:14], 1.0
	v_mul_f64 v[28:29], v[31:32], s[22:23]
	v_ldexp_f64 v[13:14], v[13:14], v9
	v_rndne_f64_e32 v[28:29], v[28:29]
	v_mul_f64 v[13:14], v[13:14], s[50:51]
	v_fma_f64 v[26:27], v[28:29], s[12:13], v[31:32]
	v_cndmask_b32_e32 v9, v34, v14, vcc
	v_fma_f64 v[14:15], v[28:29], s[16:17], v[26:27]
	s_and_b64 vcc, s[0:1], vcc
	v_cndmask_b32_e64 v27, 0, v9, s[0:1]
	v_cndmask_b32_e32 v26, 0, v13, vcc
	global_store_dwordx2 v[16:17], v[26:27], off
	v_lshlrev_b64 v[16:17], 3, v[0:1]
	s_mov_b32 s0, 0xad96a6a0
	v_add_co_u32_e32 v16, vcc, s10, v16
	v_fma_f64 v[22:23], v[14:15], s[18:19], v[2:3]
	v_addc_co_u32_e32 v17, vcc, v35, v17, vcc
	s_mov_b32 s1, 0xc08c9ed5
	global_store_dwordx2 v[16:17], v[26:27], off
	v_add_u32_e32 v0, s33, v0
	v_lshlrev_b64 v[26:27], 3, v[0:1]
	v_cvt_i32_f64_e32 v9, v[28:29]
	v_fma_f64 v[22:23], v[14:15], v[22:23], s[26:27]
	v_add_co_u32_e32 v26, vcc, s10, v26
	v_addc_co_u32_e32 v27, vcc, v35, v27, vcc
	v_add_u32_e32 v0, s11, v0
	v_fma_f64 v[22:23], v[14:15], v[22:23], s[28:29]
	v_fma_f64 v[22:23], v[14:15], v[22:23], s[34:35]
	;; [unrolled: 1-line block ×8, first 2 shown]
	v_cmp_ngt_f64_e64 s[0:1], s[8:9], v[31:32]
	v_fma_f64 v[16:17], v[14:15], v[16:17], 1.0
	v_mul_f64 v[36:37], v[22:23], s[22:23]
	v_fma_f64 v[13:14], v[14:15], v[16:17], 1.0
	v_rndne_f64_e32 v[15:16], v[36:37]
	v_bfrev_b32_e32 v36, 60
	v_mov_b32_e32 v37, 0x42404c53
	global_store_dwordx2 v[26:27], v[36:37], off
	v_lshlrev_b64 v[26:27], 3, v[0:1]
	v_bfrev_b32_e32 v36, 11
	v_add_co_u32_e32 v26, vcc, s10, v26
	v_fma_f64 v[28:29], v[15:16], s[12:13], v[22:23]
	v_addc_co_u32_e32 v27, vcc, v35, v27, vcc
	v_mov_b32_e32 v37, 0x4210c388
	global_store_dwordx2 v[26:27], v[36:37], off
	v_cmp_nlt_f64_e32 vcc, s[14:15], v[31:32]
	v_ldexp_f64 v[13:14], v[13:14], v9
	v_mov_b32_e32 v32, 0xc84f8f8a
	v_fma_f64 v[26:27], v[15:16], s[16:17], v[28:29]
	v_fma_f64 v[32:33], v[6:7], s[52:53], v[32:33]
	v_add_u32_e32 v0, s11, v0
	v_lshlrev_b64 v[28:29], 3, v[0:1]
	v_add_u32_e32 v0, s11, v0
	v_add_co_u32_e64 v28, s[2:3], s10, v28
	v_cndmask_b32_e32 v9, v34, v14, vcc
	v_fma_f64 v[30:31], v[26:27], s[18:19], v[2:3]
	v_cndmask_b32_e64 v14, 0, v9, s[0:1]
	s_and_b64 vcc, s[0:1], vcc
	s_mov_b32 s0, 0xe5c91d15
	s_mov_b32 s1, 0xc0b974a7
	v_fma_f64 v[32:33], v[4:5], s[0:1], v[32:33]
	v_cvt_i32_f64_e32 v9, v[15:16]
	v_addc_co_u32_e64 v29, s[2:3], v35, v29, s[2:3]
	v_fma_f64 v[30:31], v[26:27], v[30:31], s[26:27]
	v_cndmask_b32_e32 v13, 0, v13, vcc
	global_store_dwordx2 v[28:29], v[13:14], off
	v_cmp_nlt_f64_e32 vcc, s[14:15], v[22:23]
	v_cmp_ngt_f64_e64 s[0:1], s[8:9], v[22:23]
	v_mov_b32_e32 v28, 0x88d7aa76
	v_mov_b32_e32 v29, 0x403087bb
	v_fma_f64 v[28:29], v[6:7], s[6:7], v[28:29]
	v_fma_f64 v[30:31], v[26:27], v[30:31], s[28:29]
	s_mov_b32 s53, 0xc014e147
	v_fma_f64 v[30:31], v[26:27], v[30:31], s[34:35]
	v_fma_f64 v[30:31], v[26:27], v[30:31], s[38:39]
	;; [unrolled: 1-line block ×6, first 2 shown]
	v_fma_f64 v[30:31], v[26:27], v[30:31], 1.0
	v_fma_f64 v[26:27], v[26:27], v[30:31], 1.0
	v_mul_f64 v[30:31], v[32:33], s[22:23]
	v_ldexp_f64 v[15:16], v[26:27], v9
	v_rndne_f64_e32 v[30:31], v[30:31]
	v_cndmask_b32_e32 v9, v34, v16, vcc
	v_fma_f64 v[26:27], v[30:31], s[12:13], v[32:33]
	s_and_b64 vcc, s[0:1], vcc
	v_lshlrev_b64 v[16:17], 3, v[0:1]
	v_add_u32_e32 v0, s11, v0
	v_add_co_u32_e64 v16, s[2:3], s10, v16
	v_addc_co_u32_e64 v17, s[2:3], v35, v17, s[2:3]
	v_fma_f64 v[13:14], v[30:31], s[16:17], v[26:27]
	v_cndmask_b32_e64 v27, 0, v9, s[0:1]
	s_mov_b32 s0, 0x1172ef0b
	s_mov_b32 s1, 0xc09d681f
	v_fma_f64 v[28:29], v[4:5], s[0:1], v[28:29]
	v_cvt_i32_f64_e32 v9, v[30:31]
	v_cndmask_b32_e32 v26, 0, v15, vcc
	v_cmp_nlt_f64_e32 vcc, s[14:15], v[32:33]
	v_fma_f64 v[22:23], v[13:14], s[18:19], v[2:3]
	global_store_dwordx2 v[16:17], v[26:27], off
	v_cmp_ngt_f64_e64 s[0:1], s[8:9], v[32:33]
	v_lshlrev_b64 v[16:17], 3, v[0:1]
	v_add_u32_e32 v0, s11, v0
	v_add_co_u32_e64 v16, s[2:3], s10, v16
	v_addc_co_u32_e64 v17, s[2:3], v35, v17, s[2:3]
	v_fma_f64 v[22:23], v[13:14], v[22:23], s[26:27]
	v_fma_f64 v[22:23], v[13:14], v[22:23], s[28:29]
	;; [unrolled: 1-line block ×8, first 2 shown]
	v_fma_f64 v[22:23], v[13:14], v[22:23], 1.0
	v_fma_f64 v[13:14], v[13:14], v[22:23], 1.0
	v_mul_f64 v[22:23], v[28:29], s[22:23]
	v_ldexp_f64 v[13:14], v[13:14], v9
	v_rndne_f64_e32 v[22:23], v[22:23]
	v_cndmask_b32_e32 v9, v34, v14, vcc
	v_fma_f64 v[30:31], v[22:23], s[12:13], v[28:29]
	s_and_b64 vcc, s[0:1], vcc
	v_fma_f64 v[14:15], v[22:23], s[16:17], v[30:31]
	v_cndmask_b32_e64 v31, 0, v9, s[0:1]
	s_mov_b32 s0, 0x6a875d57
	s_mov_b32 s1, 0xc05bad4a
	v_mul_f64 v[32:33], v[4:5], s[0:1]
	v_cndmask_b32_e32 v30, 0, v13, vcc
	v_cvt_i32_f64_e32 v9, v[22:23]
	v_cmp_nlt_f64_e32 vcc, s[14:15], v[28:29]
	v_fma_f64 v[26:27], v[14:15], s[18:19], v[2:3]
	v_cmp_ngt_f64_e64 s[0:1], s[8:9], v[28:29]
	global_store_dwordx2 v[16:17], v[30:31], off
	v_mov_b32_e32 v30, 0x290fc3c2
	v_fma_f64 v[32:33], v[6:7], s[4:5], v[32:33]
	v_mov_b32_e32 v31, 0x402e3161
	v_fma_f64 v[30:31], v[6:7], 2.0, v[30:31]
	v_lshlrev_b64 v[16:17], 3, v[0:1]
	v_fma_f64 v[26:27], v[14:15], v[26:27], s[26:27]
	v_add_co_u32_e64 v16, s[2:3], s10, v16
	v_addc_co_u32_e64 v17, s[2:3], v35, v17, s[2:3]
	v_add_u32_e32 v0, s11, v0
	v_fma_f64 v[26:27], v[14:15], v[26:27], s[28:29]
	v_fma_f64 v[26:27], v[14:15], v[26:27], s[34:35]
	;; [unrolled: 1-line block ×7, first 2 shown]
	v_fma_f64 v[26:27], v[14:15], v[26:27], 1.0
	v_fma_f64 v[13:14], v[14:15], v[26:27], 1.0
	v_mul_f64 v[26:27], v[32:33], s[22:23]
	v_ldexp_f64 v[13:14], v[13:14], v9
	v_rndne_f64_e32 v[26:27], v[26:27]
	v_cndmask_b32_e32 v9, v34, v14, vcc
	v_fma_f64 v[22:23], v[26:27], s[12:13], v[32:33]
	v_cndmask_b32_e64 v29, 0, v9, s[0:1]
	s_and_b64 vcc, s[0:1], vcc
	s_mov_b32 s0, 0xab8a5ce6
	s_mov_b32 s1, 0xc093a82a
	v_fma_f64 v[30:31], v[4:5], s[0:1], v[30:31]
	v_cndmask_b32_e32 v28, 0, v13, vcc
	v_cvt_i32_f64_e32 v9, v[26:27]
	v_fma_f64 v[14:15], v[26:27], s[16:17], v[22:23]
	v_cmp_nlt_f64_e32 vcc, s[14:15], v[32:33]
	v_cmp_ngt_f64_e64 s[0:1], s[8:9], v[32:33]
	global_store_dwordx2 v[16:17], v[28:29], off
	v_lshlrev_b64 v[16:17], 3, v[0:1]
	v_add_u32_e32 v0, s11, v0
	v_add_co_u32_e64 v16, s[2:3], s10, v16
	v_fma_f64 v[22:23], v[14:15], s[18:19], v[2:3]
	v_addc_co_u32_e64 v17, s[2:3], v35, v17, s[2:3]
	v_fma_f64 v[22:23], v[14:15], v[22:23], s[26:27]
	v_fma_f64 v[22:23], v[14:15], v[22:23], s[28:29]
	;; [unrolled: 1-line block ×8, first 2 shown]
	v_fma_f64 v[22:23], v[14:15], v[22:23], 1.0
	v_fma_f64 v[13:14], v[14:15], v[22:23], 1.0
	v_mul_f64 v[22:23], v[30:31], s[22:23]
	v_ldexp_f64 v[13:14], v[13:14], v9
	v_rndne_f64_e32 v[22:23], v[22:23]
	v_cndmask_b32_e32 v9, v34, v14, vcc
	v_fma_f64 v[26:27], v[22:23], s[12:13], v[30:31]
	v_cndmask_b32_e64 v29, 0, v9, s[0:1]
	s_and_b64 vcc, s[0:1], vcc
	s_mov_b32 s0, 0
	v_cndmask_b32_e32 v28, 0, v13, vcc
	s_mov_b32 s1, 0x41724f80
	v_mul_f64 v[32:33], v[28:29], s[0:1]
	s_mov_b32 s0, 0xb295e9e2
	v_fma_f64 v[14:15], v[22:23], s[16:17], v[26:27]
	s_mov_b32 s1, 0xc0dde0e4
	v_cvt_i32_f64_e32 v9, v[22:23]
	global_store_dwordx2 v[16:17], v[32:33], off
	v_mov_b32_e32 v32, 0xd95a79c9
	v_fma_f64 v[26:27], v[14:15], s[18:19], v[2:3]
	v_mov_b32_e32 v33, 0x403f5f99
	v_fma_f64 v[32:33], v[4:5], s[0:1], v[32:33]
	v_lshlrev_b64 v[16:17], 3, v[0:1]
	s_mov_b32 s0, 0
	v_add_co_u32_e32 v16, vcc, s10, v16
	v_addc_co_u32_e32 v17, vcc, v35, v17, vcc
	v_fma_f64 v[26:27], v[14:15], v[26:27], s[26:27]
	s_mov_b32 s1, 0x41177000
	v_mul_f64 v[22:23], v[28:29], s[0:1]
	v_cmp_nlt_f64_e32 vcc, s[14:15], v[30:31]
	v_cmp_ngt_f64_e64 s[0:1], s[8:9], v[30:31]
	v_mov_b32_e32 v30, 0xb196e661
	v_mov_b32_e32 v31, 0x403c52fc
	v_add_u32_e32 v0, s11, v0
	v_fma_f64 v[26:27], v[14:15], v[26:27], s[28:29]
	global_store_dwordx2 v[16:17], v[22:23], off
	v_lshlrev_b64 v[16:17], 3, v[0:1]
	v_add_u32_e32 v0, s11, v0
	v_add_co_u32_e64 v16, s[2:3], s10, v16
	v_addc_co_u32_e64 v17, s[2:3], v35, v17, s[2:3]
	v_fma_f64 v[26:27], v[14:15], v[26:27], s[34:35]
	v_fma_f64 v[26:27], v[14:15], v[26:27], s[38:39]
	;; [unrolled: 1-line block ×6, first 2 shown]
	v_fma_f64 v[26:27], v[14:15], v[26:27], 1.0
	v_fma_f64 v[13:14], v[14:15], v[26:27], 1.0
	v_mul_f64 v[26:27], v[32:33], s[22:23]
	v_ldexp_f64 v[13:14], v[13:14], v9
	v_rndne_f64_e32 v[26:27], v[26:27]
	v_cndmask_b32_e32 v9, v34, v14, vcc
	v_fma_f64 v[28:29], v[26:27], s[12:13], v[32:33]
	s_and_b64 vcc, s[0:1], vcc
	v_fma_f64 v[14:15], v[26:27], s[16:17], v[28:29]
	v_cndmask_b32_e64 v29, 0, v9, s[0:1]
	s_mov_b32 s0, 0x89a02752
	s_mov_b32 s1, 0xc0bb8508
	v_fma_f64 v[30:31], v[4:5], s[0:1], v[30:31]
	v_cndmask_b32_e32 v28, 0, v13, vcc
	v_cvt_i32_f64_e32 v9, v[26:27]
	v_cmp_nlt_f64_e32 vcc, s[14:15], v[32:33]
	v_fma_f64 v[22:23], v[14:15], s[18:19], v[2:3]
	v_cmp_ngt_f64_e64 s[0:1], s[8:9], v[32:33]
	v_mul_f64 v[32:33], v[24:25], s[22:23]
	global_store_dwordx2 v[16:17], v[28:29], off
	v_lshlrev_b64 v[16:17], 3, v[0:1]
	v_add_u32_e32 v0, s11, v0
	v_add_co_u32_e64 v16, s[2:3], s10, v16
	v_fma_f64 v[22:23], v[14:15], v[22:23], s[26:27]
	v_addc_co_u32_e64 v17, s[2:3], v35, v17, s[2:3]
	v_rndne_f64_e32 v[32:33], v[32:33]
	v_fma_f64 v[22:23], v[14:15], v[22:23], s[28:29]
	v_fma_f64 v[22:23], v[14:15], v[22:23], s[34:35]
	;; [unrolled: 1-line block ×7, first 2 shown]
	v_fma_f64 v[22:23], v[14:15], v[22:23], 1.0
	v_fma_f64 v[13:14], v[14:15], v[22:23], 1.0
	v_mul_f64 v[22:23], v[30:31], s[22:23]
	v_ldexp_f64 v[13:14], v[13:14], v9
	v_rndne_f64_e32 v[22:23], v[22:23]
	v_cndmask_b32_e32 v9, v34, v14, vcc
	v_fma_f64 v[26:27], v[22:23], s[12:13], v[30:31]
	s_and_b64 vcc, s[0:1], vcc
	v_cndmask_b32_e32 v28, 0, v13, vcc
	v_cndmask_b32_e64 v29, 0, v9, s[0:1]
	v_cvt_i32_f64_e32 v9, v[22:23]
	v_cmp_nlt_f64_e32 vcc, s[14:15], v[30:31]
	v_cmp_ngt_f64_e64 s[0:1], s[8:9], v[30:31]
	global_store_dwordx2 v[16:17], v[28:29], off
	v_fma_f64 v[14:15], v[22:23], s[16:17], v[26:27]
	v_lshlrev_b64 v[16:17], 3, v[0:1]
	v_add_u32_e32 v0, s11, v0
	v_add_co_u32_e64 v16, s[2:3], s10, v16
	v_addc_co_u32_e64 v17, s[2:3], v35, v17, s[2:3]
	v_fma_f64 v[26:27], v[14:15], s[18:19], v[2:3]
	v_fma_f64 v[26:27], v[14:15], v[26:27], s[26:27]
	;; [unrolled: 1-line block ×9, first 2 shown]
	v_fma_f64 v[26:27], v[14:15], v[26:27], 1.0
	v_fma_f64 v[13:14], v[14:15], v[26:27], 1.0
	v_fma_f64 v[26:27], v[32:33], s[12:13], v[24:25]
	v_ldexp_f64 v[13:14], v[13:14], v9
	v_fma_f64 v[26:27], v[32:33], s[16:17], v[26:27]
	v_cndmask_b32_e32 v9, v34, v14, vcc
	v_fma_f64 v[22:23], v[26:27], s[18:19], v[2:3]
	s_and_b64 vcc, s[0:1], vcc
	v_cndmask_b32_e32 v28, 0, v13, vcc
	v_cndmask_b32_e64 v29, 0, v9, s[0:1]
	v_cvt_i32_f64_e32 v9, v[32:33]
	v_cmp_nlt_f64_e32 vcc, s[14:15], v[24:25]
	v_cmp_ngt_f64_e64 s[0:1], s[8:9], v[24:25]
	v_mov_b32_e32 v24, 0x595d6968
	v_fma_f64 v[22:23], v[26:27], v[22:23], s[26:27]
	v_mov_b32_e32 v25, 0x4028aa58
	v_fma_f64 v[24:25], v[6:7], 2.0, v[24:25]
	global_store_dwordx2 v[16:17], v[28:29], off
	v_lshlrev_b64 v[16:17], 3, v[0:1]
	v_add_u32_e32 v0, s11, v0
	v_add_co_u32_e64 v16, s[2:3], s10, v16
	v_fma_f64 v[22:23], v[26:27], v[22:23], s[28:29]
	v_addc_co_u32_e64 v17, s[2:3], v35, v17, s[2:3]
	s_mov_b32 s2, 0xe5215769
	s_mov_b32 s3, 0xc0b21597
	v_fma_f64 v[24:25], v[4:5], s[2:3], v[24:25]
	v_fma_f64 v[22:23], v[26:27], v[22:23], s[34:35]
	;; [unrolled: 1-line block ×5, first 2 shown]
	v_mov_b32_e32 v22, 0xe92ba824
	v_mov_b32_e32 v23, 0x403ea072
	v_fma_f64 v[22:23], v[4:5], s[70:71], v[22:23]
	v_fma_f64 v[14:15], v[26:27], v[14:15], s[24:25]
	v_mul_f64 v[30:31], v[22:23], s[22:23]
	v_fma_f64 v[13:14], v[26:27], v[14:15], s[20:21]
	v_rndne_f64_e32 v[30:31], v[30:31]
	v_fma_f64 v[13:14], v[26:27], v[13:14], 1.0
	v_fma_f64 v[13:14], v[26:27], v[13:14], 1.0
	v_fma_f64 v[26:27], v[30:31], s[12:13], v[22:23]
	v_ldexp_f64 v[13:14], v[13:14], v9
	v_fma_f64 v[26:27], v[30:31], s[16:17], v[26:27]
	v_cndmask_b32_e32 v9, v34, v14, vcc
	v_fma_f64 v[32:33], v[26:27], s[18:19], v[2:3]
	s_and_b64 vcc, s[0:1], vcc
	v_cndmask_b32_e32 v28, 0, v13, vcc
	v_cndmask_b32_e64 v29, 0, v9, s[0:1]
	v_cvt_i32_f64_e32 v9, v[30:31]
	v_cmp_nlt_f64_e32 vcc, s[14:15], v[22:23]
	v_cmp_ngt_f64_e64 s[0:1], s[8:9], v[22:23]
	global_store_dwordx2 v[16:17], v[28:29], off
	v_fma_f64 v[32:33], v[26:27], v[32:33], s[26:27]
	v_fma_f64 v[32:33], v[26:27], v[32:33], s[28:29]
	;; [unrolled: 1-line block ×5, first 2 shown]
	v_mul_f64 v[32:33], v[24:25], s[22:23]
	v_fma_f64 v[14:15], v[26:27], v[14:15], s[30:31]
	v_rndne_f64_e32 v[32:33], v[32:33]
	v_fma_f64 v[14:15], v[26:27], v[14:15], s[24:25]
	v_fma_f64 v[13:14], v[26:27], v[14:15], s[20:21]
	v_fma_f64 v[13:14], v[26:27], v[13:14], 1.0
	v_fma_f64 v[13:14], v[26:27], v[13:14], 1.0
	v_fma_f64 v[26:27], v[32:33], s[12:13], v[24:25]
	v_ldexp_f64 v[13:14], v[13:14], v9
	v_fma_f64 v[26:27], v[32:33], s[16:17], v[26:27]
	v_cndmask_b32_e32 v9, v34, v14, vcc
	v_fma_f64 v[30:31], v[26:27], s[18:19], v[2:3]
	v_lshlrev_b64 v[14:15], 3, v[0:1]
	s_and_b64 vcc, s[0:1], vcc
	v_add_co_u32_e64 v14, s[2:3], s10, v14
	v_addc_co_u32_e64 v15, s[2:3], v35, v15, s[2:3]
	v_cndmask_b32_e64 v23, 0, v9, s[0:1]
	v_fma_f64 v[30:31], v[26:27], v[30:31], s[26:27]
	v_cndmask_b32_e32 v22, 0, v13, vcc
	s_mov_b32 s0, 0x63dc486b
	global_store_dwordx2 v[14:15], v[22:23], off
	v_mov_b32_e32 v13, 0x496249a1
	v_mov_b32_e32 v14, 0x403a85b9
	s_mov_b32 s1, 0xc0ae4589
	v_fma_f64 v[13:14], v[4:5], s[0:1], v[13:14]
	v_fma_f64 v[30:31], v[26:27], v[30:31], s[28:29]
	v_add_u32_e32 v0, s11, v0
	v_lshlrev_b64 v[22:23], 3, v[0:1]
	s_mov_b32 s0, 0x9f40a287
	v_add_co_u32_e32 v22, vcc, s10, v22
	v_addc_co_u32_e32 v23, vcc, v35, v23, vcc
	v_fma_f64 v[30:31], v[26:27], v[30:31], s[34:35]
	v_mul_f64 v[28:29], v[13:14], s[22:23]
	global_store_dwordx2 v[22:23], v[10:11], off
	s_mov_b32 s1, 0xc088d8a8
	v_cvt_i32_f64_e32 v9, v[32:33]
	v_add_u32_e32 v0, s11, v0
	v_fma_f64 v[30:31], v[26:27], v[30:31], s[38:39]
	v_rndne_f64_e32 v[22:23], v[28:29]
	v_lshlrev_b64 v[28:29], 3, v[0:1]
	v_add_u32_e32 v0, s11, v0
	v_add_co_u32_e32 v28, vcc, s10, v28
	v_addc_co_u32_e32 v29, vcc, v35, v29, vcc
	v_fma_f64 v[30:31], v[26:27], v[30:31], s[36:37]
	v_cmp_nlt_f64_e32 vcc, s[14:15], v[24:25]
	global_store_dwordx2 v[28:29], v[10:11], off
	v_fma_f64 v[30:31], v[26:27], v[30:31], s[30:31]
	v_fma_f64 v[16:17], v[26:27], v[30:31], s[24:25]
	v_mov_b32_e32 v30, 0xa83e781
	v_mov_b32_e32 v31, 0x404465b3
	v_fma_f64 v[30:31], v[6:7], s[46:47], v[30:31]
	v_fma_f64 v[15:16], v[26:27], v[16:17], s[20:21]
	v_fma_f64 v[15:16], v[26:27], v[15:16], 1.0
	v_fma_f64 v[26:27], v[26:27], v[15:16], 1.0
	v_fma_f64 v[15:16], v[4:5], s[0:1], v[30:31]
	v_fma_f64 v[30:31], v[22:23], s[12:13], v[13:14]
	v_cmp_ngt_f64_e64 s[0:1], s[8:9], v[24:25]
	v_ldexp_f64 v[26:27], v[26:27], v9
	v_mul_f64 v[32:33], v[15:16], s[22:23]
	v_fma_f64 v[28:29], v[22:23], s[16:17], v[30:31]
	v_lshlrev_b64 v[9:10], 3, v[0:1]
	v_cmp_ngt_f64_e64 s[4:5], s[8:9], v[15:16]
	v_add_co_u32_e64 v9, s[2:3], s10, v9
	v_addc_co_u32_e64 v10, s[2:3], v35, v10, s[2:3]
	v_rndne_f64_e32 v[24:25], v[32:33]
	v_cndmask_b32_e32 v11, v34, v27, vcc
	s_and_b64 vcc, s[0:1], vcc
	v_cndmask_b32_e32 v30, 0, v26, vcc
	v_fma_f64 v[26:27], v[28:29], s[18:19], v[2:3]
	v_cndmask_b32_e64 v31, 0, v11, s[0:1]
	global_store_dwordx2 v[9:10], v[30:31], off
	s_mov_b32 s0, 0xe8427419
	v_fma_f64 v[32:33], v[24:25], s[12:13], v[15:16]
	s_mov_b32 s1, 0xc07ea220
	v_cvt_i32_f64_e32 v11, v[22:23]
	v_cmp_nlt_f64_e32 vcc, s[14:15], v[13:14]
	v_fma_f64 v[36:37], v[28:29], v[26:27], s[26:27]
	v_cmp_nlt_f64_e64 s[2:3], s[14:15], v[15:16]
	v_add_u32_e32 v0, s11, v0
	v_fma_f64 v[26:27], v[24:25], s[16:17], v[32:33]
	v_fma_f64 v[9:10], v[28:29], v[36:37], s[28:29]
	;; [unrolled: 1-line block ×15, first 2 shown]
	v_fma_f64 v[30:31], v[28:29], v[9:10], 1.0
	v_mov_b32_e32 v9, 0x7d7a7f22
	v_mov_b32_e32 v10, 0x4036e2f7
	v_fma_f64 v[9:10], v[4:5], s[0:1], v[9:10]
	v_fma_f64 v[32:33], v[26:27], v[32:33], s[24:25]
	v_cmp_ngt_f64_e64 s[0:1], s[8:9], v[13:14]
	v_lshlrev_b64 v[13:14], 3, v[0:1]
	v_add_u32_e32 v0, s11, v0
	v_fma_f64 v[30:31], v[28:29], v[30:31], 1.0
	v_add_co_u32_e64 v13, s[6:7], s10, v13
	v_addc_co_u32_e64 v14, s[6:7], v35, v14, s[6:7]
	v_fma_f64 v[28:29], v[26:27], v[32:33], s[20:21]
	v_mul_f64 v[32:33], v[9:10], s[22:23]
	v_ldexp_f64 v[30:31], v[30:31], v11
	v_cvt_i32_f64_e32 v11, v[24:25]
	v_fma_f64 v[36:37], v[26:27], v[28:29], 1.0
	v_rndne_f64_e32 v[28:29], v[32:33]
	v_fma_f64 v[26:27], v[26:27], v[36:37], 1.0
	v_fma_f64 v[32:33], v[28:29], s[12:13], v[9:10]
	v_ldexp_f64 v[26:27], v[26:27], v11
	v_fma_f64 v[22:23], v[28:29], s[16:17], v[32:33]
	v_cndmask_b32_e32 v11, v34, v31, vcc
	s_and_b64 vcc, s[0:1], vcc
	v_cndmask_b32_e64 v16, 0, v11, s[0:1]
	v_cndmask_b32_e32 v15, 0, v30, vcc
	global_store_dwordx2 v[13:14], v[15:16], off
	v_lshlrev_b64 v[15:16], 3, v[0:1]
	s_and_b64 vcc, s[4:5], s[2:3]
	v_fma_f64 v[24:25], v[22:23], s[18:19], v[2:3]
	v_cndmask_b32_e64 v17, v34, v27, s[2:3]
	v_cndmask_b32_e32 v13, 0, v26, vcc
	v_add_co_u32_e32 v15, vcc, s10, v15
	v_cndmask_b32_e64 v14, 0, v17, s[4:5]
	v_addc_co_u32_e32 v16, vcc, v35, v16, vcc
	v_fma_f64 v[24:25], v[22:23], v[24:25], s[26:27]
	global_store_dwordx2 v[15:16], v[13:14], off
	v_add_u32_e32 v0, s11, v0
	v_lshlrev_b64 v[13:14], 3, v[0:1]
	v_add_u32_e32 v0, s11, v0
	v_add_co_u32_e32 v13, vcc, s10, v13
	v_addc_co_u32_e32 v14, vcc, v35, v14, vcc
	v_fma_f64 v[24:25], v[22:23], v[24:25], s[28:29]
	global_store_dwordx2 v[13:14], v[18:19], off
	v_lshlrev_b64 v[13:14], 3, v[0:1]
	v_mov_b32_e32 v17, 0x1200000
	v_add_co_u32_e32 v13, vcc, s10, v13
	v_addc_co_u32_e32 v14, vcc, v35, v14, vcc
	v_fma_f64 v[24:25], v[22:23], v[24:25], s[34:35]
	v_mov_b32_e32 v18, 0x42ad2d35
	global_store_dwordx2 v[13:14], v[17:18], off
	v_mov_b32_e32 v18, 0x2c3bc82d
	v_mov_b32_e32 v19, 0x40328f79
	v_add_u32_e32 v0, s11, v0
	s_mov_b32 s0, 0x69c23b79
	v_mov_b32_e32 v17, 0x20b40000
	v_fma_f64 v[15:16], v[22:23], v[24:25], s[38:39]
	v_fma_f64 v[24:25], v[6:7], s[60:61], v[18:19]
	v_mov_b32_e32 v18, 0x42d23c41
	s_mov_b32 s1, 0xc0ad9a71
	v_cvt_i32_f64_e32 v11, v[28:29]
	s_mov_b32 s4, 0x51eb851f
	s_mov_b32 s5, 0xc0031eb8
	;; [unrolled: 1-line block ×3, first 2 shown]
	v_fma_f64 v[15:16], v[22:23], v[15:16], s[36:37]
	v_fma_f64 v[13:14], v[22:23], v[15:16], s[30:31]
	v_lshlrev_b64 v[15:16], 3, v[0:1]
	v_add_u32_e32 v0, s11, v0
	v_add_co_u32_e32 v15, vcc, s10, v15
	v_addc_co_u32_e32 v16, vcc, v35, v16, vcc
	global_store_dwordx2 v[15:16], v[17:18], off
	v_fma_f64 v[13:14], v[22:23], v[13:14], s[24:25]
	v_lshlrev_b64 v[15:16], 3, v[0:1]
	v_add_u32_e32 v0, s11, v0
	v_add_co_u32_e32 v15, vcc, s10, v15
	v_addc_co_u32_e32 v16, vcc, v35, v16, vcc
	v_fma_f64 v[17:18], v[22:23], v[13:14], s[20:21]
	v_fma_f64 v[13:14], v[4:5], s[0:1], v[24:25]
	v_bfrev_b32_e32 v24, 4
	v_mov_b32_e32 v25, 0x4212a05f
	global_store_dwordx2 v[15:16], v[24:25], off
	v_lshlrev_b64 v[24:25], 3, v[0:1]
	s_mov_b32 s0, 0x2e000000
	s_mov_b32 s1, 0x42517659
	v_fma_f64 v[15:16], v[22:23], v[17:18], 1.0
	v_mul_f64 v[17:18], v[13:14], s[22:23]
	v_add_co_u32_e32 v24, vcc, s10, v24
	v_addc_co_u32_e32 v25, vcc, v35, v25, vcc
	v_add_u32_e32 v0, s11, v0
	v_fma_f64 v[15:16], v[22:23], v[15:16], 1.0
	v_rndne_f64_e32 v[17:18], v[17:18]
	v_mov_b32_e32 v23, s1
	v_mov_b32_e32 v22, s0
	global_store_dwordx2 v[24:25], v[22:23], off
	v_lshlrev_b64 v[24:25], 3, v[0:1]
	v_cmp_ngt_f64_e64 s[0:1], s[8:9], v[9:10]
	v_add_co_u32_e32 v24, vcc, s10, v24
	v_fma_f64 v[26:27], v[17:18], s[12:13], v[13:14]
	v_addc_co_u32_e32 v25, vcc, v35, v25, vcc
	global_store_dwordx2 v[24:25], v[22:23], off
	v_cmp_nlt_f64_e32 vcc, s[14:15], v[9:10]
	v_mov_b32_e32 v9, 0x6d50657
	v_mov_b32_e32 v10, 0x40325027
	v_add_u32_e32 v0, s11, v0
	v_fma_f64 v[24:25], v[17:18], s[16:17], v[26:27]
	v_fma_f64 v[26:27], v[6:7], s[48:49], v[9:10]
	v_lshlrev_b64 v[22:23], 3, v[0:1]
	v_ldexp_f64 v[15:16], v[15:16], v11
	v_add_co_u32_e64 v22, s[2:3], s10, v22
	v_addc_co_u32_e64 v23, s[2:3], v35, v23, s[2:3]
	v_fma_f64 v[28:29], v[24:25], s[18:19], v[2:3]
	v_mov_b32_e32 v10, s68
	s_mov_b32 s2, 0xdd82fd7
	v_mov_b32_e32 v11, s69
	s_mov_b32 s3, 0xc0a65e9b
	global_store_dwordx2 v[22:23], v[10:11], off
	v_fma_f64 v[22:23], v[4:5], s[2:3], v[26:27]
	v_add_u32_e32 v0, s11, v0
	v_fma_f64 v[28:29], v[24:25], v[28:29], s[26:27]
	v_lshlrev_b64 v[26:27], 3, v[0:1]
	v_cndmask_b32_e32 v16, v34, v16, vcc
	v_add_co_u32_e64 v26, s[2:3], s10, v26
	s_and_b64 vcc, s[0:1], vcc
	v_mul_f64 v[30:31], v[22:23], s[22:23]
	v_addc_co_u32_e64 v27, s[2:3], v35, v27, s[2:3]
	v_fma_f64 v[28:29], v[24:25], v[28:29], s[28:29]
	v_cndmask_b32_e64 v16, 0, v16, s[0:1]
	v_cndmask_b32_e32 v15, 0, v15, vcc
	global_store_dwordx2 v[26:27], v[15:16], off
	v_add_u32_e32 v0, s11, v0
	v_rndne_f64_e32 v[30:31], v[30:31]
	v_cvt_i32_f64_e32 v9, v[17:18]
	s_mov_b32 s0, 0x8f5c28f6
	v_fma_f64 v[28:29], v[24:25], v[28:29], s[34:35]
	s_mov_b32 s1, 0x4000f5c2
	s_mov_b32 s2, 0xa8fc0d2c
	;; [unrolled: 1-line block ×3, first 2 shown]
	v_fma_f64 v[32:33], v[30:31], s[12:13], v[22:23]
	v_cvt_i32_f64_e32 v19, v[30:31]
	v_fma_f64 v[28:29], v[24:25], v[28:29], s[38:39]
	v_fma_f64 v[32:33], v[30:31], s[16:17], v[32:33]
	;; [unrolled: 1-line block ×5, first 2 shown]
	v_lshlrev_b64 v[28:29], 3, v[0:1]
	v_add_u32_e32 v0, s11, v0
	v_add_co_u32_e32 v17, vcc, s10, v28
	v_fma_f64 v[15:16], v[32:33], v[15:16], s[26:27]
	v_addc_co_u32_e32 v18, vcc, v35, v29, vcc
	v_fma_f64 v[26:27], v[24:25], v[26:27], s[24:25]
	v_mov_b32_e32 v28, 0x385e155f
	v_mov_b32_e32 v29, 0x402e28c6
	v_fma_f64 v[28:29], v[6:7], s[0:1], v[28:29]
	v_cmp_nlt_f64_e32 vcc, s[14:15], v[13:14]
	v_fma_f64 v[15:16], v[32:33], v[15:16], s[28:29]
	v_cmp_ngt_f64_e64 s[0:1], s[8:9], v[13:14]
	v_fma_f64 v[26:27], v[24:25], v[26:27], s[20:21]
	v_fma_f64 v[13:14], v[4:5], s[2:3], v[28:29]
	;; [unrolled: 1-line block ×3, first 2 shown]
	v_fma_f64 v[26:27], v[24:25], v[26:27], 1.0
	v_fma_f64 v[15:16], v[32:33], v[15:16], s[38:39]
	v_fma_f64 v[24:25], v[24:25], v[26:27], 1.0
	v_mov_b32_e32 v26, 0x57e00000
	v_mov_b32_e32 v27, 0x42db48eb
	global_store_dwordx2 v[17:18], v[26:27], off
	v_lshlrev_b64 v[17:18], 3, v[0:1]
	v_fma_f64 v[15:16], v[32:33], v[15:16], s[36:37]
	v_add_co_u32_e64 v17, s[2:3], s10, v17
	v_ldexp_f64 v[24:25], v[24:25], v9
	v_addc_co_u32_e64 v18, s[2:3], v35, v18, s[2:3]
	s_mov_b32 s2, 0x820e6299
	s_mov_b32 s3, 0x40714c4e
	v_fma_f64 v[15:16], v[32:33], v[15:16], s[30:31]
	v_add_u32_e32 v0, s11, v0
	v_cndmask_b32_e32 v9, v34, v25, vcc
	v_mul_f64 v[25:26], v[13:14], s[22:23]
	s_and_b64 vcc, s[0:1], vcc
	v_cndmask_b32_e32 v31, 0, v24, vcc
	v_cmp_nlt_f64_e32 vcc, s[14:15], v[22:23]
	v_fma_f64 v[15:16], v[32:33], v[15:16], s[24:25]
	v_mov_b32_e32 v24, 0x4ef60759
	v_rndne_f64_e32 v[25:26], v[25:26]
	v_fma_f64 v[15:16], v[32:33], v[15:16], s[20:21]
	v_fma_f64 v[27:28], v[25:26], s[12:13], v[13:14]
	v_fma_f64 v[15:16], v[32:33], v[15:16], 1.0
	v_fma_f64 v[27:28], v[25:26], s[16:17], v[27:28]
	v_fma_f64 v[15:16], v[32:33], v[15:16], 1.0
	v_cndmask_b32_e64 v32, 0, v9, s[0:1]
	global_store_dwordx2 v[17:18], v[31:32], off
	v_mov_b32_e32 v17, 0x403f51e5
	v_fma_f64 v[29:30], v[27:28], s[18:19], v[2:3]
	v_cmp_ngt_f64_e64 s[0:1], s[8:9], v[22:23]
	v_lshlrev_b64 v[22:23], 3, v[0:1]
	v_add_u32_e32 v0, s11, v0
	v_ldexp_f64 v[15:16], v[15:16], v19
	v_fma_f64 v[29:30], v[27:28], v[29:30], s[26:27]
	v_cndmask_b32_e32 v9, v34, v16, vcc
	v_mov_b32_e32 v16, 0x176f885
	v_fma_f64 v[16:17], v[4:5], s[2:3], v[16:17]
	v_cndmask_b32_e64 v32, 0, v9, s[0:1]
	v_fma_f64 v[29:30], v[27:28], v[29:30], s[28:29]
	v_cvt_i32_f64_e32 v9, v[25:26]
	v_mov_b32_e32 v25, 0x402f42bb
	v_fma_f64 v[24:25], v[6:7], s[42:43], v[24:25]
	s_and_b64 vcc, s[0:1], vcc
	v_cndmask_b32_e32 v31, 0, v15, vcc
	v_cmp_nlt_f64_e32 vcc, s[14:15], v[13:14]
	v_cmp_ngt_f64_e64 s[0:1], s[8:9], v[13:14]
	v_fma_f64 v[29:30], v[27:28], v[29:30], s[34:35]
	v_fma_f64 v[29:30], v[27:28], v[29:30], s[38:39]
	;; [unrolled: 1-line block ×3, first 2 shown]
	v_add_co_u32_e64 v29, s[2:3], s10, v22
	v_addc_co_u32_e64 v30, s[2:3], v35, v23, s[2:3]
	v_mul_f64 v[22:23], v[16:17], s[22:23]
	s_mov_b32 s2, 0x3ae685db
	s_mov_b32 s3, 0xc0b48a9d
	v_fma_f64 v[18:19], v[27:28], v[18:19], s[30:31]
	global_store_dwordx2 v[29:30], v[31:32], off
	v_rndne_f64_e32 v[22:23], v[22:23]
	v_fma_f64 v[18:19], v[27:28], v[18:19], s[24:25]
	v_fma_f64 v[36:37], v[22:23], s[12:13], v[16:17]
	v_fma_f64 v[18:19], v[27:28], v[18:19], s[20:21]
	v_fma_f64 v[36:37], v[22:23], s[16:17], v[36:37]
	v_fma_f64 v[18:19], v[27:28], v[18:19], 1.0
	v_fma_f64 v[18:19], v[27:28], v[18:19], 1.0
	v_fma_f64 v[27:28], v[36:37], s[18:19], v[2:3]
	v_ldexp_f64 v[38:39], v[18:19], v9
	v_fma_f64 v[27:28], v[36:37], v[27:28], s[26:27]
	v_cndmask_b32_e32 v9, v34, v39, vcc
	v_fma_f64 v[27:28], v[36:37], v[27:28], s[28:29]
	v_cndmask_b32_e64 v29, 0, v9, s[0:1]
	s_and_b64 vcc, s[0:1], vcc
	s_mov_b32 s0, 0xb7564303
	s_mov_b32 s1, 0xc099a35a
	v_cvt_i32_f64_e32 v9, v[22:23]
	v_fma_f64 v[27:28], v[36:37], v[27:28], s[34:35]
	v_fma_f64 v[18:19], v[36:37], v[27:28], s[38:39]
	v_cndmask_b32_e32 v28, 0, v38, vcc
	v_cmp_nlt_f64_e32 vcc, s[14:15], v[16:17]
	v_fma_f64 v[13:14], v[36:37], v[18:19], s[36:37]
	v_fma_f64 v[18:19], v[4:5], s[2:3], v[24:25]
	v_lshlrev_b64 v[24:25], 3, v[0:1]
	v_add_u32_e32 v0, s11, v0
	v_add_co_u32_e64 v24, s[2:3], s10, v24
	v_addc_co_u32_e64 v25, s[2:3], v35, v25, s[2:3]
	v_fma_f64 v[13:14], v[36:37], v[13:14], s[30:31]
	v_mul_f64 v[26:27], v[18:19], s[22:23]
	global_store_dwordx2 v[24:25], v[28:29], off
	v_lshlrev_b64 v[24:25], 3, v[0:1]
	v_add_u32_e32 v0, s11, v0
	v_add_co_u32_e64 v28, s[2:3], s10, v24
	v_addc_co_u32_e64 v29, s[2:3], v35, v25, s[2:3]
	v_fma_f64 v[13:14], v[36:37], v[13:14], s[24:25]
	v_rndne_f64_e32 v[26:27], v[26:27]
	v_cmp_nlt_f64_e64 s[2:3], s[14:15], v[18:19]
	v_fma_f64 v[13:14], v[36:37], v[13:14], s[20:21]
	v_fma_f64 v[30:31], v[26:27], s[12:13], v[18:19]
	v_fma_f64 v[13:14], v[36:37], v[13:14], 1.0
	v_fma_f64 v[30:31], v[26:27], s[16:17], v[30:31]
	v_fma_f64 v[32:33], v[36:37], v[13:14], 1.0
	v_fma_f64 v[13:14], v[30:31], s[18:19], v[2:3]
	v_ldexp_f64 v[32:33], v[32:33], v9
	v_fma_f64 v[13:14], v[30:31], v[13:14], s[26:27]
	v_cvt_i32_f64_e32 v9, v[26:27]
	v_fma_f64 v[13:14], v[30:31], v[13:14], s[28:29]
	v_fma_f64 v[13:14], v[30:31], v[13:14], s[34:35]
	;; [unrolled: 1-line block ×7, first 2 shown]
	v_fma_f64 v[13:14], v[30:31], v[13:14], 1.0
	v_fma_f64 v[30:31], v[30:31], v[13:14], 1.0
	v_mov_b32_e32 v13, 0x4e8ed94c
	v_mov_b32_e32 v14, 0x403e3802
	v_fma_f64 v[14:15], v[4:5], s[0:1], v[13:14]
	v_cmp_ngt_f64_e64 s[0:1], s[8:9], v[16:17]
	v_cndmask_b32_e32 v13, v34, v33, vcc
	v_mov_b32_e32 v33, 0x42835aa2
	v_ldexp_f64 v[26:27], v[30:31], v9
	v_mul_f64 v[22:23], v[14:15], s[22:23]
	s_and_b64 vcc, s[0:1], vcc
	v_cndmask_b32_e64 v9, v34, v27, s[2:3]
	v_rndne_f64_e32 v[22:23], v[22:23]
	v_fma_f64 v[16:17], v[22:23], s[12:13], v[14:15]
	v_fma_f64 v[24:25], v[22:23], s[16:17], v[16:17]
	v_mov_b32_e32 v16, 0x7683141c
	v_mov_b32_e32 v17, 0x4049903d
	v_fma_f64 v[16:17], v[6:7], s[4:5], v[16:17]
	v_cmp_ngt_f64_e64 s[4:5], s[8:9], v[18:19]
	v_cndmask_b32_e64 v19, 0, v13, s[0:1]
	s_mov_b32 s0, 0x5bea0ba2
	s_mov_b32 s1, 0xc0b5f9f6
	v_fma_f64 v[30:31], v[24:25], s[18:19], v[2:3]
	v_cndmask_b32_e32 v18, 0, v32, vcc
	global_store_dwordx2 v[28:29], v[18:19], off
	v_fma_f64 v[16:17], v[4:5], s[0:1], v[16:17]
	s_and_b64 vcc, s[4:5], s[2:3]
	v_cndmask_b32_e32 v29, 0, v26, vcc
	v_mov_b32_e32 v13, 0x42e6bcc4
	s_mov_b32 s0, 0
	v_fma_f64 v[18:19], v[24:25], v[30:31], s[26:27]
	v_cndmask_b32_e64 v30, 0, v9, s[4:5]
	s_mov_b32 s1, 0x40040000
	v_mul_f64 v[27:28], v[16:17], s[22:23]
	v_cvt_i32_f64_e32 v9, v[22:23]
	v_fma_f64 v[31:32], v[24:25], v[18:19], s[28:29]
	v_rndne_f64_e32 v[18:19], v[27:28]
	v_lshlrev_b64 v[26:27], 3, v[0:1]
	v_add_u32_e32 v0, s11, v0
	v_add_co_u32_e32 v26, vcc, s10, v26
	v_fma_f64 v[31:32], v[24:25], v[31:32], s[34:35]
	v_addc_co_u32_e32 v27, vcc, v35, v27, vcc
	v_fma_f64 v[36:37], v[18:19], s[12:13], v[16:17]
	global_store_dwordx2 v[26:27], v[29:30], off
	v_lshlrev_b64 v[26:27], 3, v[0:1]
	v_add_u32_e32 v0, s33, v0
	v_add_co_u32_e32 v26, vcc, s10, v26
	v_fma_f64 v[28:29], v[24:25], v[31:32], s[38:39]
	v_addc_co_u32_e32 v27, vcc, v35, v27, vcc
	v_fma_f64 v[30:31], v[18:19], s[16:17], v[36:37]
	global_store_dwordx2 v[26:27], v[12:13], off
	v_lshlrev_b64 v[12:13], 3, v[0:1]
	v_mov_b32_e32 v32, 0xd7400000
	v_add_co_u32_e32 v12, vcc, s10, v12
	v_fma_f64 v[26:27], v[24:25], v[28:29], s[36:37]
	v_addc_co_u32_e32 v13, vcc, v35, v13, vcc
	v_fma_f64 v[28:29], v[30:31], s[18:19], v[2:3]
	v_add_u32_e32 v0, s11, v0
	global_store_dwordx2 v[12:13], v[32:33], off
	v_lshlrev_b64 v[12:13], 3, v[0:1]
	v_mov_b32_e32 v32, 0x9f400000
	v_fma_f64 v[26:27], v[24:25], v[26:27], s[30:31]
	v_add_co_u32_e32 v12, vcc, s10, v12
	v_fma_f64 v[28:29], v[30:31], v[28:29], s[26:27]
	v_addc_co_u32_e32 v13, vcc, v35, v13, vcc
	v_mov_b32_e32 v33, 0x429802ba
	global_store_dwordx2 v[12:13], v[32:33], off
	v_fma_f64 v[12:13], v[24:25], v[26:27], s[24:25]
	v_add_u32_e32 v0, s11, v0
	v_fma_f64 v[26:27], v[30:31], v[28:29], s[28:29]
	v_mov_b32_e32 v28, 0xabaa3d56
	v_mov_b32_e32 v29, 0x4028164c
	v_fma_f64 v[28:29], v[6:7], s[0:1], v[28:29]
	s_mov_b32 s0, 0xba5e353f
	s_mov_b32 s1, 0xc0939409
	v_fma_f64 v[32:33], v[24:25], v[12:13], s[20:21]
	v_fma_f64 v[26:27], v[30:31], v[26:27], s[34:35]
	;; [unrolled: 1-line block ×3, first 2 shown]
	v_cmp_ngt_f64_e64 s[0:1], s[8:9], v[14:15]
	v_fma_f64 v[28:29], v[24:25], v[32:33], 1.0
	v_fma_f64 v[26:27], v[30:31], v[26:27], s[38:39]
	v_mul_f64 v[32:33], v[12:13], s[22:23]
	v_fma_f64 v[24:25], v[24:25], v[28:29], 1.0
	v_lshlrev_b64 v[28:29], 3, v[0:1]
	v_fma_f64 v[26:27], v[30:31], v[26:27], s[36:37]
	v_add_co_u32_e32 v28, vcc, s10, v28
	v_rndne_f64_e32 v[22:23], v[32:33]
	v_addc_co_u32_e32 v29, vcc, v35, v29, vcc
	v_ldexp_f64 v[24:25], v[24:25], v9
	v_cmp_nlt_f64_e32 vcc, s[14:15], v[14:15]
	v_fma_f64 v[26:27], v[30:31], v[26:27], s[30:31]
	v_add_u32_e32 v0, s11, v0
	global_store_dwordx2 v[28:29], v[20:21], off
	v_fma_f64 v[32:33], v[22:23], s[12:13], v[12:13]
	v_lshlrev_b64 v[20:21], 3, v[0:1]
	v_add_u32_e32 v0, s11, v0
	v_cndmask_b32_e32 v9, v34, v25, vcc
	v_fma_f64 v[14:15], v[30:31], v[26:27], s[24:25]
	v_add_co_u32_e64 v27, s[2:3], s10, v20
	v_fma_f64 v[25:26], v[22:23], s[16:17], v[32:33]
	v_addc_co_u32_e64 v28, s[2:3], v35, v21, s[2:3]
	s_mov_b32 s2, 0xc154c986
	s_mov_b32 s3, 0xc06491a8
	v_fma_f64 v[14:15], v[30:31], v[14:15], s[20:21]
	v_cvt_i32_f64_e32 v33, v[18:19]
	s_and_b64 vcc, s[0:1], vcc
	v_fma_f64 v[20:21], v[25:26], s[18:19], v[2:3]
	v_fma_f64 v[14:15], v[30:31], v[14:15], 1.0
	v_fma_f64 v[20:21], v[25:26], v[20:21], s[26:27]
	v_fma_f64 v[29:30], v[30:31], v[14:15], 1.0
	v_fma_f64 v[14:15], v[25:26], v[20:21], s[28:29]
	v_mov_b32_e32 v20, 0x5bd5e9ac
	v_mov_b32_e32 v21, 0x40329a5e
	v_fma_f64 v[20:21], v[6:7], s[60:61], v[20:21]
	v_ldexp_f64 v[29:30], v[29:30], v33
	v_fma_f64 v[31:32], v[25:26], v[14:15], s[34:35]
	v_fma_f64 v[14:15], v[4:5], s[2:3], v[20:21]
	;; [unrolled: 1-line block ×3, first 2 shown]
	v_cndmask_b32_e64 v32, 0, v9, s[0:1]
	v_cndmask_b32_e32 v31, 0, v24, vcc
	v_mul_f64 v[20:21], v[14:15], s[22:23]
	v_cmp_nlt_f64_e32 vcc, s[14:15], v[16:17]
	v_cmp_ngt_f64_e64 s[0:1], s[8:9], v[16:17]
	global_store_dwordx2 v[27:28], v[31:32], off
	v_lshlrev_b64 v[27:28], 3, v[0:1]
	v_fma_f64 v[18:19], v[25:26], v[18:19], s[36:37]
	v_add_co_u32_e64 v27, s[2:3], s10, v27
	v_rndne_f64_e32 v[20:21], v[20:21]
	v_cndmask_b32_e32 v9, v34, v30, vcc
	v_addc_co_u32_e64 v28, s[2:3], v35, v28, s[2:3]
	s_mov_b32 s2, 0x8ec52a41
	v_fma_f64 v[18:19], v[25:26], v[18:19], s[30:31]
	s_mov_b32 s3, 0x407e9206
	s_and_b64 vcc, s[0:1], vcc
	v_fma_f64 v[36:37], v[20:21], s[12:13], v[14:15]
	v_add_u32_e32 v0, s11, v0
	v_fma_f64 v[16:17], v[25:26], v[18:19], s[24:25]
	v_fma_f64 v[18:19], v[20:21], s[16:17], v[36:37]
	;; [unrolled: 1-line block ×4, first 2 shown]
	v_fma_f64 v[16:17], v[25:26], v[16:17], 1.0
	v_fma_f64 v[30:31], v[18:19], v[30:31], s[26:27]
	v_fma_f64 v[24:25], v[25:26], v[16:17], 1.0
	v_cvt_i32_f64_e32 v26, v[22:23]
	v_fma_f64 v[16:17], v[18:19], v[30:31], s[28:29]
	v_mov_b32_e32 v30, 0x96d670ba
	v_mov_b32_e32 v31, 0x40315ef0
	v_fma_f64 v[30:31], v[6:7], s[60:61], v[30:31]
	s_mov_b32 s61, 0x3fe66666
	v_fma_f64 v[32:33], v[18:19], v[16:17], s[34:35]
	v_fma_f64 v[16:17], v[4:5], s[2:3], v[30:31]
	v_fma_f64 v[22:23], v[18:19], v[32:33], s[38:39]
	v_mul_f64 v[30:31], v[16:17], s[22:23]
	v_fma_f64 v[32:33], v[18:19], v[22:23], s[36:37]
	v_rndne_f64_e32 v[22:23], v[30:31]
	v_ldexp_f64 v[30:31], v[24:25], v26
	v_cndmask_b32_e64 v25, 0, v9, s[0:1]
	v_cndmask_b32_e32 v24, 0, v29, vcc
	global_store_dwordx2 v[27:28], v[24:25], off
	v_fma_f64 v[32:33], v[18:19], v[32:33], s[30:31]
	v_cmp_nlt_f64_e32 vcc, s[14:15], v[12:13]
	v_cmp_ngt_f64_e64 s[0:1], s[8:9], v[12:13]
	v_fma_f64 v[36:37], v[22:23], s[12:13], v[16:17]
	v_lshlrev_b64 v[24:25], 3, v[0:1]
	v_add_u32_e32 v0, s11, v0
	v_add_co_u32_e64 v28, s[2:3], s10, v24
	v_fma_f64 v[12:13], v[18:19], v[32:33], s[24:25]
	v_addc_co_u32_e64 v29, s[2:3], v35, v25, s[2:3]
	v_fma_f64 v[26:27], v[22:23], s[16:17], v[36:37]
	s_mov_b32 s2, 0xf91e646f
	v_cndmask_b32_e32 v9, v34, v31, vcc
	s_mov_b32 s3, 0xc0a71dd3
	v_cvt_i32_f64_e32 v33, v[20:21]
	v_fma_f64 v[12:13], v[18:19], v[12:13], s[20:21]
	s_and_b64 vcc, s[0:1], vcc
	v_cndmask_b32_e32 v30, 0, v30, vcc
	v_fma_f64 v[24:25], v[26:27], s[18:19], v[2:3]
	v_cmp_nlt_f64_e32 vcc, s[14:15], v[14:15]
	v_fma_f64 v[12:13], v[18:19], v[12:13], 1.0
	v_fma_f64 v[24:25], v[26:27], v[24:25], s[26:27]
	v_fma_f64 v[12:13], v[18:19], v[12:13], 1.0
	v_fma_f64 v[18:19], v[26:27], v[24:25], s[28:29]
	v_mov_b32_e32 v24, 0x92245a52
	v_mov_b32_e32 v25, 0x4039ea8d
	v_fma_f64 v[24:25], v[6:7], s[60:61], v[24:25]
	v_ldexp_f64 v[12:13], v[12:13], v33
	v_fma_f64 v[31:32], v[26:27], v[18:19], s[34:35]
	v_fma_f64 v[18:19], v[4:5], s[2:3], v[24:25]
	;; [unrolled: 1-line block ×3, first 2 shown]
	v_cndmask_b32_e64 v31, 0, v9, s[0:1]
	v_cndmask_b32_e32 v9, v34, v13, vcc
	v_mul_f64 v[24:25], v[18:19], s[22:23]
	v_cmp_ngt_f64_e64 s[0:1], s[8:9], v[14:15]
	global_store_dwordx2 v[28:29], v[30:31], off
	v_cvt_i32_f64_e32 v15, v[22:23]
	v_fma_f64 v[20:21], v[26:27], v[20:21], s[36:37]
	v_rndne_f64_e32 v[24:25], v[24:25]
	s_and_b64 vcc, s[0:1], vcc
	v_cndmask_b32_e32 v12, 0, v12, vcc
	v_cmp_nlt_f64_e32 vcc, s[14:15], v[16:17]
	v_fma_f64 v[20:21], v[26:27], v[20:21], s[30:31]
	v_fma_f64 v[32:33], v[24:25], s[12:13], v[18:19]
	;; [unrolled: 1-line block ×3, first 2 shown]
	v_lshlrev_b64 v[20:21], 3, v[0:1]
	v_add_u32_e32 v0, s11, v0
	v_fma_f64 v[28:29], v[24:25], s[16:17], v[32:33]
	v_add_co_u32_e64 v30, s[2:3], s10, v20
	v_addc_co_u32_e64 v31, s[2:3], v35, v21, s[2:3]
	v_fma_f64 v[13:14], v[26:27], v[13:14], s[20:21]
	v_fma_f64 v[20:21], v[28:29], s[18:19], v[2:3]
	v_fma_f64 v[13:14], v[26:27], v[13:14], 1.0
	v_fma_f64 v[20:21], v[28:29], v[20:21], s[26:27]
	v_fma_f64 v[13:14], v[26:27], v[13:14], 1.0
	v_mov_b32_e32 v26, 0xbdcd5589
	v_mov_b32_e32 v27, 0x402de4d1
	v_fma_f64 v[20:21], v[28:29], v[20:21], s[28:29]
	v_fma_f64 v[26:27], v[6:7], 2.0, v[26:27]
	v_fma_f64 v[32:33], v[28:29], v[20:21], s[34:35]
	v_fma_f64 v[20:21], v[4:5], s[62:63], v[26:27]
	;; [unrolled: 1-line block ×3, first 2 shown]
	v_mul_f64 v[26:27], v[20:21], s[22:23]
	v_fma_f64 v[32:33], v[28:29], v[22:23], s[36:37]
	v_rndne_f64_e32 v[22:23], v[26:27]
	v_ldexp_f64 v[26:27], v[13:14], v15
	v_cndmask_b32_e64 v13, 0, v9, s[0:1]
	global_store_dwordx2 v[30:31], v[12:13], off
	v_cmp_ngt_f64_e64 s[0:1], s[8:9], v[16:17]
	v_fma_f64 v[14:15], v[28:29], v[32:33], s[30:31]
	v_fma_f64 v[32:33], v[22:23], s[12:13], v[20:21]
	v_cndmask_b32_e32 v9, v34, v27, vcc
	s_and_b64 vcc, s[0:1], vcc
	v_fma_f64 v[12:13], v[28:29], v[14:15], s[24:25]
	v_fma_f64 v[16:17], v[22:23], s[16:17], v[32:33]
	v_lshlrev_b64 v[14:15], 3, v[0:1]
	v_add_u32_e32 v0, s11, v0
	v_add_co_u32_e64 v30, s[2:3], s10, v14
	v_addc_co_u32_e64 v31, s[2:3], v35, v15, s[2:3]
	v_fma_f64 v[12:13], v[28:29], v[12:13], s[20:21]
	v_fma_f64 v[14:15], v[16:17], s[18:19], v[2:3]
	s_mov_b32 s2, 0x6cf41f21
	s_mov_b32 s3, 0xc0bb57be
	v_fma_f64 v[12:13], v[28:29], v[12:13], 1.0
	v_fma_f64 v[14:15], v[16:17], v[14:15], s[26:27]
	v_fma_f64 v[27:28], v[28:29], v[12:13], 1.0
	v_fma_f64 v[12:13], v[16:17], v[14:15], s[28:29]
	v_mov_b32_e32 v14, 0x1cf45780
	v_mov_b32_e32 v15, 0x402256cb
	v_fma_f64 v[14:15], v[6:7], s[54:55], v[14:15]
	v_cvt_i32_f64_e32 v29, v[24:25]
	v_fma_f64 v[32:33], v[16:17], v[12:13], s[34:35]
	v_ldexp_f64 v[27:28], v[27:28], v29
	v_fma_f64 v[12:13], v[4:5], s[2:3], v[14:15]
	v_fma_f64 v[14:15], v[16:17], v[32:33], s[38:39]
	v_mul_f64 v[24:25], v[12:13], s[22:23]
	v_fma_f64 v[32:33], v[16:17], v[14:15], s[36:37]
	v_rndne_f64_e32 v[14:15], v[24:25]
	v_cndmask_b32_e64 v25, 0, v9, s[0:1]
	v_cndmask_b32_e32 v24, 0, v26, vcc
	global_store_dwordx2 v[30:31], v[24:25], off
	v_cmp_nlt_f64_e32 vcc, s[14:15], v[18:19]
	v_fma_f64 v[32:33], v[16:17], v[32:33], s[30:31]
	v_cmp_ngt_f64_e64 s[0:1], s[8:9], v[18:19]
	v_cvt_i32_f64_e32 v26, v[22:23]
	v_fma_f64 v[36:37], v[14:15], s[12:13], v[12:13]
	v_cndmask_b32_e32 v9, v34, v28, vcc
	v_fma_f64 v[18:19], v[16:17], v[32:33], s[24:25]
	v_lshlrev_b64 v[28:29], 3, v[0:1]
	s_and_b64 vcc, s[0:1], vcc
	v_fma_f64 v[24:25], v[14:15], s[16:17], v[36:37]
	v_add_co_u32_e64 v28, s[2:3], s10, v28
	v_addc_co_u32_e64 v29, s[2:3], v35, v29, s[2:3]
	v_fma_f64 v[18:19], v[16:17], v[18:19], s[20:21]
	s_mov_b32 s2, 0
	s_mov_b32 s3, 0x400c0000
	v_fma_f64 v[30:31], v[24:25], s[18:19], v[2:3]
	v_cndmask_b32_e64 v37, 0, v9, s[0:1]
	v_cndmask_b32_e32 v36, 0, v27, vcc
	v_cmp_nlt_f64_e32 vcc, s[14:15], v[20:21]
	v_cmp_ngt_f64_e64 s[0:1], s[8:9], v[20:21]
	v_fma_f64 v[18:19], v[16:17], v[18:19], 1.0
	global_store_dwordx2 v[28:29], v[36:37], off
	v_add_u32_e32 v0, s11, v0
	v_fma_f64 v[30:31], v[24:25], v[30:31], s[26:27]
	v_fma_f64 v[18:19], v[16:17], v[18:19], 1.0
	v_fma_f64 v[16:17], v[24:25], v[30:31], s[28:29]
	v_mov_b32_e32 v30, 0xedefb22a
	v_mov_b32_e32 v31, 0x3fe93b0a
	v_fma_f64 v[30:31], v[6:7], s[2:3], v[30:31]
	s_mov_b32 s2, 0x599ed7c7
	s_mov_b32 s3, 0xc0a64f82
	v_fma_f64 v[32:33], v[24:25], v[16:17], s[34:35]
	v_fma_f64 v[16:17], v[4:5], s[2:3], v[30:31]
	;; [unrolled: 1-line block ×3, first 2 shown]
	v_ldexp_f64 v[32:33], v[18:19], v26
	v_lshlrev_b64 v[26:27], 3, v[0:1]
	v_mul_f64 v[30:31], v[16:17], s[22:23]
	v_add_co_u32_e64 v26, s[2:3], s10, v26
	v_addc_co_u32_e64 v27, s[2:3], v35, v27, s[2:3]
	v_fma_f64 v[22:23], v[24:25], v[22:23], s[36:37]
	v_cndmask_b32_e32 v9, v34, v33, vcc
	s_and_b64 vcc, s[0:1], vcc
	v_rndne_f64_e32 v[18:19], v[30:31]
	v_cndmask_b32_e64 v31, 0, v9, s[0:1]
	s_mov_b32 s0, 0x743e963e
	s_mov_b32 s1, 0xc0b894b9
	v_cndmask_b32_e32 v30, 0, v32, vcc
	v_fma_f64 v[20:21], v[24:25], v[22:23], s[30:31]
	global_store_dwordx2 v[26:27], v[30:31], off
	v_cvt_i32_f64_e32 v9, v[14:15]
	v_fma_f64 v[22:23], v[18:19], s[12:13], v[16:17]
	v_add_u32_e32 v0, s11, v0
	v_cmp_nlt_f64_e64 s[2:3], s[14:15], v[16:17]
	v_cmp_ngt_f64_e64 s[4:5], s[8:9], v[16:17]
	v_fma_f64 v[28:29], v[24:25], v[20:21], s[24:25]
	v_fma_f64 v[20:21], v[18:19], s[16:17], v[22:23]
	v_mov_b32_e32 v22, 0xd2079f3
	v_mov_b32_e32 v23, 0x404c4902
	v_fma_f64 v[22:23], v[6:7], s[40:41], v[22:23]
	v_fma_f64 v[28:29], v[24:25], v[28:29], s[20:21]
	;; [unrolled: 1-line block ×4, first 2 shown]
	s_mov_b32 s0, 0x8049667b
	s_mov_b32 s1, 0xc0c36882
	v_fma_f64 v[28:29], v[24:25], v[28:29], 1.0
	v_fma_f64 v[26:27], v[20:21], v[32:33], s[26:27]
	v_mul_f64 v[32:33], v[22:23], s[22:23]
	v_fma_f64 v[28:29], v[24:25], v[28:29], 1.0
	v_lshlrev_b64 v[24:25], 3, v[0:1]
	v_fma_f64 v[30:31], v[20:21], v[26:27], s[28:29]
	v_add_co_u32_e32 v24, vcc, s10, v24
	v_rndne_f64_e32 v[26:27], v[32:33]
	v_mov_b32_e32 v32, 0xf8fcd680
	v_mov_b32_e32 v33, 0x4052c2cb
	v_fma_f64 v[6:7], v[6:7], s[52:53], v[32:33]
	v_ldexp_f64 v[28:29], v[28:29], v9
	v_fma_f64 v[30:31], v[20:21], v[30:31], s[34:35]
	v_cvt_i32_f64_e32 v9, v[18:19]
	v_addc_co_u32_e32 v25, vcc, v35, v25, vcc
	v_fma_f64 v[32:33], v[26:27], s[12:13], v[22:23]
	v_cmp_nlt_f64_e32 vcc, s[14:15], v[12:13]
	v_fma_f64 v[4:5], v[4:5], s[0:1], v[6:7]
	v_cmp_ngt_f64_e64 s[0:1], s[8:9], v[12:13]
	v_fma_f64 v[30:31], v[20:21], v[30:31], s[38:39]
	v_cvt_i32_f64_e32 v16, v[26:27]
	v_add_u32_e32 v0, s11, v0
	v_fma_f64 v[32:33], v[26:27], s[16:17], v[32:33]
	v_fma_f64 v[30:31], v[20:21], v[30:31], s[36:37]
	;; [unrolled: 1-line block ×8, first 2 shown]
	v_mul_f64 v[30:31], v[4:5], s[22:23]
	v_fma_f64 v[6:7], v[32:33], v[6:7], s[34:35]
	v_fma_f64 v[14:15], v[20:21], v[14:15], 1.0
	v_fma_f64 v[36:37], v[32:33], v[6:7], s[38:39]
	v_rndne_f64_e32 v[6:7], v[30:31]
	v_fma_f64 v[20:21], v[20:21], v[14:15], 1.0
	v_fma_f64 v[30:31], v[32:33], v[36:37], s[36:37]
	v_fma_f64 v[14:15], v[6:7], s[12:13], v[4:5]
	v_ldexp_f64 v[20:21], v[20:21], v9
	v_cndmask_b32_e32 v9, v34, v29, vcc
	s_and_b64 vcc, s[0:1], vcc
	v_cndmask_b32_e64 v13, 0, v9, s[0:1]
	v_fma_f64 v[30:31], v[32:33], v[30:31], s[30:31]
	v_fma_f64 v[14:15], v[6:7], s[16:17], v[14:15]
	v_cndmask_b32_e32 v12, 0, v28, vcc
	s_and_b64 vcc, s[4:5], s[2:3]
	global_store_dwordx2 v[24:25], v[12:13], off
	v_cmp_ngt_f64_e64 s[0:1], s[8:9], v[22:23]
	v_cndmask_b32_e64 v9, v34, v21, s[2:3]
	v_cndmask_b32_e64 v17, 0, v9, s[4:5]
	v_fma_f64 v[30:31], v[32:33], v[30:31], s[24:25]
	v_fma_f64 v[2:3], v[14:15], s[18:19], v[2:3]
	;; [unrolled: 1-line block ×4, first 2 shown]
	v_fma_f64 v[18:19], v[32:33], v[30:31], 1.0
	v_fma_f64 v[2:3], v[14:15], v[2:3], s[28:29]
	v_fma_f64 v[18:19], v[32:33], v[18:19], 1.0
	v_fma_f64 v[2:3], v[14:15], v[2:3], s[34:35]
	v_ldexp_f64 v[12:13], v[18:19], v16
	v_fma_f64 v[2:3], v[14:15], v[2:3], s[38:39]
	v_cndmask_b32_e32 v16, 0, v20, vcc
	v_cmp_nlt_f64_e32 vcc, s[14:15], v[22:23]
	v_lshlrev_b64 v[18:19], 3, v[0:1]
	v_add_u32_e32 v0, s11, v0
	v_add_co_u32_e64 v18, s[2:3], s10, v18
	v_addc_co_u32_e64 v19, s[2:3], v35, v19, s[2:3]
	v_fma_f64 v[2:3], v[14:15], v[2:3], s[36:37]
	global_store_dwordx2 v[18:19], v[16:17], off
	v_lshlrev_b64 v[16:17], 3, v[0:1]
	v_cndmask_b32_e32 v9, v34, v13, vcc
	s_and_b64 vcc, s[0:1], vcc
	v_cndmask_b32_e32 v12, 0, v12, vcc
	v_add_co_u32_e32 v16, vcc, s10, v16
	v_fma_f64 v[2:3], v[14:15], v[2:3], s[30:31]
	v_cndmask_b32_e64 v13, 0, v9, s[0:1]
	v_addc_co_u32_e32 v17, vcc, v35, v17, vcc
	v_add_u32_e32 v0, s11, v0
	global_store_dwordx2 v[16:17], v[12:13], off
	v_lshlrev_b64 v[12:13], 3, v[0:1]
	v_mov_b32_e32 v16, 0xc5000000
	v_fma_f64 v[2:3], v[14:15], v[2:3], s[24:25]
	v_add_co_u32_e32 v12, vcc, s10, v12
	v_addc_co_u32_e32 v13, vcc, v35, v13, vcc
	v_mov_b32_e32 v17, 0x427a3185
	v_add_u32_e32 v0, s11, v0
	global_store_dwordx2 v[12:13], v[16:17], off
	v_fma_f64 v[2:3], v[14:15], v[2:3], s[20:21]
	v_lshlrev_b64 v[12:13], 3, v[0:1]
	v_mov_b32_e32 v9, 0x42d5d3ef
	v_add_co_u32_e32 v12, vcc, s10, v12
	v_addc_co_u32_e32 v13, vcc, v35, v13, vcc
	v_add_u32_e32 v0, s11, v0
	v_fma_f64 v[2:3], v[14:15], v[2:3], 1.0
	global_store_dwordx2 v[12:13], v[8:9], off
	v_lshlrev_b64 v[8:9], 3, v[0:1]
	v_add_u32_e32 v0, s11, v0
	v_add_co_u32_e32 v8, vcc, s10, v8
	v_addc_co_u32_e32 v9, vcc, v35, v9, vcc
	v_fma_f64 v[2:3], v[14:15], v[2:3], 1.0
	global_store_dwordx2 v[8:9], v[10:11], off
	v_lshlrev_b64 v[8:9], 3, v[0:1]
	v_add_u32_e32 v0, s11, v0
	v_add_co_u32_e32 v8, vcc, s10, v8
	v_cvt_i32_f64_e32 v14, v[6:7]
	v_lshlrev_b64 v[6:7], 3, v[0:1]
	v_addc_co_u32_e32 v9, vcc, v35, v9, vcc
	v_add_co_u32_e32 v6, vcc, s10, v6
	v_addc_co_u32_e32 v7, vcc, v35, v7, vcc
	v_ldexp_f64 v[2:3], v[2:3], v14
	v_cmp_nlt_f64_e32 vcc, s[14:15], v[4:5]
	v_cmp_ngt_f64_e64 s[0:1], s[8:9], v[4:5]
	v_bfrev_b32_e32 v12, 32
	v_mov_b32_e32 v13, 0x4234f46b
	v_add_u32_e32 v0, s11, v0
	global_store_dwordx2 v[8:9], v[12:13], off
	global_store_dwordx2 v[6:7], v[10:11], off
	v_lshlrev_b64 v[6:7], 3, v[0:1]
	v_add_u32_e32 v0, s11, v0
	v_lshlrev_b64 v[0:1], 3, v[0:1]
	v_cndmask_b32_e32 v8, v34, v3, vcc
	v_add_co_u32_e64 v3, s[2:3], s10, v6
	s_and_b64 vcc, s[0:1], vcc
	v_addc_co_u32_e64 v4, s[2:3], v35, v7, s[2:3]
	v_mov_b32_e32 v5, 0x2f600000
	v_mov_b32_e32 v6, 0x42a40246
	v_cndmask_b32_e32 v2, 0, v2, vcc
	v_add_co_u32_e32 v0, vcc, s10, v0
	global_store_dwordx2 v[3:4], v[5:6], off
	v_cndmask_b32_e64 v3, 0, v8, s[0:1]
	v_addc_co_u32_e32 v1, vcc, v35, v1, vcc
	global_store_dwordx2 v[0:1], v[2:3], off
	s_endpgm
	.section	.rodata,"a",@progbits
	.p2align	6, 0x0
	.amdhsa_kernel _Z11ratt_kernelIdEvPKT_PS0_S0_
		.amdhsa_group_segment_fixed_size 0
		.amdhsa_private_segment_fixed_size 0
		.amdhsa_kernarg_size 280
		.amdhsa_user_sgpr_count 6
		.amdhsa_user_sgpr_private_segment_buffer 1
		.amdhsa_user_sgpr_dispatch_ptr 0
		.amdhsa_user_sgpr_queue_ptr 0
		.amdhsa_user_sgpr_kernarg_segment_ptr 1
		.amdhsa_user_sgpr_dispatch_id 0
		.amdhsa_user_sgpr_flat_scratch_init 0
		.amdhsa_user_sgpr_private_segment_size 0
		.amdhsa_uses_dynamic_stack 0
		.amdhsa_system_sgpr_private_segment_wavefront_offset 0
		.amdhsa_system_sgpr_workgroup_id_x 1
		.amdhsa_system_sgpr_workgroup_id_y 0
		.amdhsa_system_sgpr_workgroup_id_z 0
		.amdhsa_system_sgpr_workgroup_info 0
		.amdhsa_system_vgpr_workitem_id 0
		.amdhsa_next_free_vgpr 40
		.amdhsa_next_free_sgpr 82
		.amdhsa_reserve_vcc 1
		.amdhsa_reserve_flat_scratch 0
		.amdhsa_float_round_mode_32 0
		.amdhsa_float_round_mode_16_64 0
		.amdhsa_float_denorm_mode_32 3
		.amdhsa_float_denorm_mode_16_64 3
		.amdhsa_dx10_clamp 1
		.amdhsa_ieee_mode 1
		.amdhsa_fp16_overflow 0
		.amdhsa_exception_fp_ieee_invalid_op 0
		.amdhsa_exception_fp_denorm_src 0
		.amdhsa_exception_fp_ieee_div_zero 0
		.amdhsa_exception_fp_ieee_overflow 0
		.amdhsa_exception_fp_ieee_underflow 0
		.amdhsa_exception_fp_ieee_inexact 0
		.amdhsa_exception_int_div_zero 0
	.end_amdhsa_kernel
	.section	.text._Z11ratt_kernelIdEvPKT_PS0_S0_,"axG",@progbits,_Z11ratt_kernelIdEvPKT_PS0_S0_,comdat
.Lfunc_end27:
	.size	_Z11ratt_kernelIdEvPKT_PS0_S0_, .Lfunc_end27-_Z11ratt_kernelIdEvPKT_PS0_S0_
                                        ; -- End function
	.set _Z11ratt_kernelIdEvPKT_PS0_S0_.num_vgpr, 40
	.set _Z11ratt_kernelIdEvPKT_PS0_S0_.num_agpr, 0
	.set _Z11ratt_kernelIdEvPKT_PS0_S0_.numbered_sgpr, 82
	.set _Z11ratt_kernelIdEvPKT_PS0_S0_.num_named_barrier, 0
	.set _Z11ratt_kernelIdEvPKT_PS0_S0_.private_seg_size, 0
	.set _Z11ratt_kernelIdEvPKT_PS0_S0_.uses_vcc, 1
	.set _Z11ratt_kernelIdEvPKT_PS0_S0_.uses_flat_scratch, 0
	.set _Z11ratt_kernelIdEvPKT_PS0_S0_.has_dyn_sized_stack, 0
	.set _Z11ratt_kernelIdEvPKT_PS0_S0_.has_recursion, 0
	.set _Z11ratt_kernelIdEvPKT_PS0_S0_.has_indirect_call, 0
	.section	.AMDGPU.csdata,"",@progbits
; Kernel info:
; codeLenInByte = 31716
; TotalNumSgprs: 86
; NumVgprs: 40
; ScratchSize: 0
; MemoryBound: 0
; FloatMode: 240
; IeeeMode: 1
; LDSByteSize: 0 bytes/workgroup (compile time only)
; SGPRBlocks: 10
; VGPRBlocks: 9
; NumSGPRsForWavesPerEU: 86
; NumVGPRsForWavesPerEU: 40
; Occupancy: 6
; WaveLimiterHint : 0
; COMPUTE_PGM_RSRC2:SCRATCH_EN: 0
; COMPUTE_PGM_RSRC2:USER_SGPR: 6
; COMPUTE_PGM_RSRC2:TRAP_HANDLER: 0
; COMPUTE_PGM_RSRC2:TGID_X_EN: 1
; COMPUTE_PGM_RSRC2:TGID_Y_EN: 0
; COMPUTE_PGM_RSRC2:TGID_Z_EN: 0
; COMPUTE_PGM_RSRC2:TIDIG_COMP_CNT: 0
	.section	.text._Z12rdsmh_kernelIdEvPKT_PS0_S0_,"axG",@progbits,_Z12rdsmh_kernelIdEvPKT_PS0_S0_,comdat
	.protected	_Z12rdsmh_kernelIdEvPKT_PS0_S0_ ; -- Begin function _Z12rdsmh_kernelIdEvPKT_PS0_S0_
	.globl	_Z12rdsmh_kernelIdEvPKT_PS0_S0_
	.p2align	8
	.type	_Z12rdsmh_kernelIdEvPKT_PS0_S0_,@function
_Z12rdsmh_kernelIdEvPKT_PS0_S0_:        ; @_Z12rdsmh_kernelIdEvPKT_PS0_S0_
; %bb.0:
	s_load_dword s7, s[4:5], 0x24
	s_load_dwordx4 s[0:3], s[4:5], 0x0
	s_load_dwordx2 s[8:9], s[4:5], 0x10
	v_mov_b32_e32 v1, 0
	s_load_dword s4, s[4:5], 0x18
	s_waitcnt lgkmcnt(0)
	s_and_b32 s10, s7, 0xffff
	s_mul_i32 s6, s6, s10
	v_add_u32_e32 v0, s6, v0
	v_lshlrev_b64 v[12:13], 3, v[0:1]
	v_mov_b32_e32 v3, s1
	v_add_co_u32_e32 v2, vcc, s0, v12
	v_addc_co_u32_e32 v3, vcc, v3, v13, vcc
	global_load_dwordx2 v[2:3], v[2:3], off
	s_mov_b32 s1, 0x3fe55555
	s_mov_b32 s0, 0x55555555
	;; [unrolled: 1-line block ×4, first 2 shown]
	s_mul_i32 s33, s4, s10
	s_waitcnt vmcnt(0)
	v_mul_f64 v[2:3], s[8:9], v[2:3]
	s_mov_b32 s9, 0x3c7abc9e
	s_mov_b32 s8, 0x3b39803f
	v_frexp_mant_f64_e32 v[4:5], v[2:3]
	v_cmp_gt_f64_e32 vcc, s[0:1], v[4:5]
	s_mov_b32 s0, 0x55555780
	v_cndmask_b32_e64 v6, 0, 1, vcc
	v_ldexp_f64 v[4:5], v[4:5], v6
	v_add_f64 v[6:7], v[4:5], 1.0
	v_add_f64 v[14:15], v[4:5], -1.0
	v_rcp_f64_e32 v[8:9], v[6:7]
	v_add_f64 v[16:17], v[6:7], -1.0
	v_add_f64 v[4:5], v[4:5], -v[16:17]
	v_fma_f64 v[10:11], -v[6:7], v[8:9], 1.0
	v_fma_f64 v[8:9], v[10:11], v[8:9], v[8:9]
	v_fma_f64 v[10:11], -v[6:7], v[8:9], 1.0
	v_fma_f64 v[8:9], v[10:11], v[8:9], v[8:9]
	v_mul_f64 v[10:11], v[14:15], v[8:9]
	v_mul_f64 v[18:19], v[6:7], v[10:11]
	v_fma_f64 v[6:7], v[10:11], v[6:7], -v[18:19]
	v_fma_f64 v[4:5], v[10:11], v[4:5], v[6:7]
	v_add_f64 v[6:7], v[18:19], v[4:5]
	v_add_f64 v[16:17], v[14:15], -v[6:7]
	v_add_f64 v[18:19], v[6:7], -v[18:19]
	;; [unrolled: 1-line block ×5, first 2 shown]
	v_mov_b32_e32 v14, 0x6b47b09a
	v_mov_b32_e32 v15, 0x3fc38538
	v_add_f64 v[4:5], v[4:5], v[6:7]
	v_add_f64 v[4:5], v[16:17], v[4:5]
	v_mul_f64 v[4:5], v[8:9], v[4:5]
	v_add_f64 v[6:7], v[10:11], v[4:5]
	v_mul_f64 v[8:9], v[6:7], v[6:7]
	v_fma_f64 v[14:15], v[8:9], s[6:7], v[14:15]
	s_mov_b32 s6, 0xd7f4df2e
	s_mov_b32 s7, 0x3fc7474d
	v_mul_f64 v[16:17], v[6:7], v[8:9]
	v_fma_f64 v[14:15], v[8:9], v[14:15], s[6:7]
	s_mov_b32 s6, 0x16291751
	s_mov_b32 s7, 0x3fcc71c0
	v_fma_f64 v[14:15], v[8:9], v[14:15], s[6:7]
	s_mov_b32 s6, 0x9b27acf1
	s_mov_b32 s7, 0x3fd24924
	;; [unrolled: 3-line block ×4, first 2 shown]
	v_fma_f64 v[8:9], v[8:9], v[14:15], s[0:1]
	v_ldexp_f64 v[14:15], v[6:7], 1
	v_add_f64 v[6:7], v[6:7], -v[10:11]
	v_mul_f64 v[8:9], v[16:17], v[8:9]
	v_frexp_exp_i32_f64_e32 v16, v[2:3]
	v_add_f64 v[4:5], v[4:5], -v[6:7]
	v_add_f64 v[10:11], v[14:15], v[8:9]
	v_subbrev_co_u32_e32 v16, vcc, 0, v16, vcc
	v_cvt_f64_i32_e32 v[16:17], v16
	v_ldexp_f64 v[4:5], v[4:5], 1
	v_mul_f64 v[18:19], v[16:17], s[6:7]
	v_add_f64 v[6:7], v[10:11], -v[14:15]
	v_fma_f64 v[14:15], v[16:17], s[6:7], -v[18:19]
	v_add_f64 v[6:7], v[8:9], -v[6:7]
	v_fma_f64 v[8:9], v[16:17], s[8:9], v[14:15]
	v_add_f64 v[4:5], v[4:5], v[6:7]
	v_add_f64 v[6:7], v[18:19], v[8:9]
	;; [unrolled: 1-line block ×3, first 2 shown]
	v_add_f64 v[16:17], v[6:7], -v[18:19]
	v_add_f64 v[10:11], v[14:15], -v[10:11]
	v_add_f64 v[18:19], v[6:7], v[14:15]
	v_add_f64 v[8:9], v[8:9], -v[16:17]
	v_add_f64 v[4:5], v[4:5], -v[10:11]
	;; [unrolled: 1-line block ×3, first 2 shown]
	v_div_scale_f64 v[16:17], s[0:1], v[2:3], v[2:3], 1.0
	s_movk_i32 s0, 0x204
	v_add_f64 v[14:15], v[14:15], -v[10:11]
	v_add_f64 v[10:11], v[18:19], -v[10:11]
	;; [unrolled: 1-line block ×3, first 2 shown]
	v_rcp_f64_e32 v[10:11], v[16:17]
	v_add_f64 v[6:7], v[14:15], v[6:7]
	v_add_f64 v[14:15], v[8:9], v[4:5]
	v_fma_f64 v[20:21], -v[16:17], v[10:11], 1.0
	v_add_f64 v[6:7], v[14:15], v[6:7]
	v_fma_f64 v[10:11], v[10:11], v[20:21], v[10:11]
	v_add_f64 v[20:21], v[14:15], -v[8:9]
	v_add_f64 v[4:5], v[4:5], -v[20:21]
	;; [unrolled: 1-line block ×3, first 2 shown]
	v_fma_f64 v[14:15], -v[16:17], v[10:11], 1.0
	v_add_f64 v[8:9], v[8:9], -v[20:21]
	v_fma_f64 v[10:11], v[10:11], v[14:15], v[10:11]
	v_div_scale_f64 v[14:15], vcc, 1.0, v[2:3], 1.0
	v_add_f64 v[4:5], v[4:5], v[8:9]
	v_add_f64 v[8:9], v[18:19], v[6:7]
	v_add_f64 v[18:19], v[8:9], -v[18:19]
	v_add_f64 v[6:7], v[6:7], -v[18:19]
	v_mul_f64 v[18:19], v[14:15], v[10:11]
	v_add_f64 v[4:5], v[4:5], v[6:7]
	v_fma_f64 v[14:15], -v[16:17], v[18:19], v[14:15]
	v_add_f64 v[4:5], v[8:9], v[4:5]
	v_div_fmas_f64 v[6:7], v[14:15], v[10:11], v[18:19]
	v_cmp_class_f64_e64 vcc, v[2:3], s0
	s_mov_b32 s0, 0
	s_mov_b32 s1, 0x408f4000
	v_mov_b32_e32 v8, 0x7ff80000
	v_mov_b32_e32 v9, 0xfff00000
                                        ; implicit-def: $vgpr14_vgpr15
	v_cndmask_b32_e32 v5, v5, v3, vcc
	v_cndmask_b32_e32 v4, v4, v2, vcc
	v_add_f64 v[4:5], v[4:5], -1.0
	v_cmp_nlt_f64_e32 vcc, s[0:1], v[2:3]
	v_cmp_ngt_f64_e64 s[0:1], 0, v[2:3]
	v_div_fixup_f64 v[6:7], v[6:7], v[2:3], 1.0
	v_cndmask_b32_e64 v5, v8, v5, s[0:1]
	v_cmp_nge_f64_e64 s[0:1], 0, v[2:3]
	v_add_u32_e32 v8, s33, v0
	v_cndmask_b32_e64 v4, 0, v4, s[0:1]
	v_cmp_neq_f64_e64 s[0:1], 0, v[2:3]
	v_cndmask_b32_e64 v5, v9, v5, s[0:1]
                                        ; implicit-def: $vgpr9_vgpr10
	s_and_saveexec_b64 s[0:1], vcc
	s_xor_b64 s[4:5], exec, s[0:1]
	s_cbranch_execz .LBB28_2
; %bb.1:
	s_mov_b32 s0, 0x3bfb58d1
	v_mov_b32_e32 v9, 0x496161b4
	v_mov_b32_e32 v10, 0x3fe5db38
	s_mov_b32 s1, 0x408caf7b
	v_fma_f64 v[9:10], v[6:7], s[0:1], v[9:10]
	s_mov_b32 s0, 0xac9b2911
	s_mov_b32 s1, 0x4002c130
	v_mov_b32_e32 v14, 0x3f5fda7
	v_mov_b32_e32 v15, 0x3e1cdbb2
	s_mov_b32 s10, 0x652b82fe
	s_mov_b32 s11, 0x3ff71547
	;; [unrolled: 1-line block ×3, first 2 shown]
	v_fma_f64 v[9:10], v[4:5], s[0:1], v[9:10]
	s_mov_b32 s0, 0xecc7a7b5
	s_mov_b32 s1, 0xbd59f3d0
	v_fma_f64 v[14:15], v[2:3], s[0:1], v[14:15]
	s_mov_b32 s0, 0x759749d1
	s_mov_b32 s1, 0xbecb3b80
	s_mov_b32 s9, 0xbc7abc9e
	s_mov_b32 s12, 0x6a5dcb37
	s_mov_b32 s13, 0x3e5ade15
	s_mov_b32 s14, 0x623fde64
	s_mov_b32 s15, 0x3ec71dee
	v_fma_f64 v[14:15], v[2:3], v[14:15], s[0:1]
	s_mov_b32 s0, 0x5caab342
	s_mov_b32 s1, 0x3f705817
	s_mov_b32 s16, 0x7c89e6b0
	s_mov_b32 s17, 0x3efa0199
	s_mov_b32 s18, 0x14761f6e
	;; [unrolled: 8-line block ×4, first 2 shown]
	s_mov_b32 s34, 0
	s_mov_b32 s31, 0x40900000
	v_mul_f64 v[9:10], v[15:16], s[10:11]
	s_mov_b32 s35, 0xc090cc00
	v_cmp_nlt_f64_e32 vcc, s[30:31], v[15:16]
	v_mov_b32_e32 v14, 0x7ff00000
	s_mov_b32 s37, 0xc0c914d0
	s_mov_b32 s36, 0x3126e979
	v_rndne_f64_e32 v[17:18], v[9:10]
	v_fma_f64 v[9:10], v[17:18], s[6:7], v[15:16]
	v_fma_f64 v[19:20], v[17:18], s[8:9], v[9:10]
	v_mov_b32_e32 v11, s1
	v_mov_b32_e32 v10, s0
	v_cvt_i32_f64_e32 v9, v[17:18]
	v_cmp_ngt_f64_e64 s[0:1], s[34:35], v[15:16]
	v_fma_f64 v[21:22], v[19:20], s[12:13], v[10:11]
	v_fma_f64 v[21:22], v[19:20], v[21:22], s[14:15]
	;; [unrolled: 1-line block ×9, first 2 shown]
	v_fma_f64 v[21:22], v[19:20], v[21:22], 1.0
	v_fma_f64 v[19:20], v[19:20], v[21:22], 1.0
	v_ldexp_f64 v[17:18], v[19:20], v9
	v_cndmask_b32_e32 v9, v14, v18, vcc
	s_and_b64 vcc, s[0:1], vcc
	v_cndmask_b32_e32 v15, 0, v17, vcc
	v_cndmask_b32_e64 v16, 0, v9, s[0:1]
	v_add_co_u32_e32 v12, vcc, s2, v12
	v_mov_b32_e32 v9, s3
	v_addc_co_u32_e32 v13, vcc, v9, v13, vcc
	s_mov_b32 s0, 0x3bcd35a8
	global_store_dwordx2 v[12:13], v[15:16], off
	v_mov_b32_e32 v12, 0xad546a18
	v_mov_b32_e32 v13, 0xbfdc9673
	s_mov_b32 s1, 0xc0d8e06a
	v_fma_f64 v[12:13], v[6:7], s[0:1], v[12:13]
	s_mov_b32 s0, 0
	s_mov_b32 s1, 0x40040000
	v_mov_b32_e32 v15, 0x2ac5033d
	v_mov_b32_e32 v16, 0x3c0c4b88
	v_fma_f64 v[12:13], v[4:5], s[0:1], v[12:13]
	s_mov_b32 s0, 0x33011ea8
	s_mov_b32 s1, 0xbb4c09fb
	v_fma_f64 v[15:16], v[2:3], s[0:1], v[15:16]
	s_mov_b32 s0, 0xaab581f1
	s_mov_b32 s1, 0xbcb7f85e
	v_fma_f64 v[15:16], v[2:3], v[15:16], s[0:1]
	s_mov_b32 s0, 0xbf5fb7e0
	s_mov_b32 s1, 0x3d58d112
	v_fma_f64 v[15:16], v[2:3], v[15:16], s[0:1]
	v_fma_f64 v[12:13], v[2:3], v[15:16], v[12:13]
	v_mul_f64 v[15:16], v[12:13], s[10:11]
	v_cmp_nlt_f64_e32 vcc, s[30:31], v[12:13]
	v_cmp_ngt_f64_e64 s[0:1], s[34:35], v[12:13]
	v_rndne_f64_e32 v[15:16], v[15:16]
	v_fma_f64 v[17:18], v[15:16], s[6:7], v[12:13]
	v_cvt_i32_f64_e32 v9, v[15:16]
	v_fma_f64 v[17:18], v[15:16], s[8:9], v[17:18]
	v_fma_f64 v[19:20], v[17:18], s[12:13], v[10:11]
	v_fma_f64 v[19:20], v[17:18], v[19:20], s[14:15]
	v_fma_f64 v[19:20], v[17:18], v[19:20], s[16:17]
	v_fma_f64 v[19:20], v[17:18], v[19:20], s[18:19]
	v_fma_f64 v[19:20], v[17:18], v[19:20], s[20:21]
	v_fma_f64 v[19:20], v[17:18], v[19:20], s[22:23]
	v_fma_f64 v[19:20], v[17:18], v[19:20], s[24:25]
	v_fma_f64 v[19:20], v[17:18], v[19:20], s[26:27]
	v_fma_f64 v[19:20], v[17:18], v[19:20], s[28:29]
	v_fma_f64 v[19:20], v[17:18], v[19:20], 1.0
	v_fma_f64 v[17:18], v[17:18], v[19:20], 1.0
	v_ldexp_f64 v[15:16], v[17:18], v9
	v_cndmask_b32_e32 v9, v14, v16, vcc
	s_and_b64 vcc, s[0:1], vcc
	v_cndmask_b32_e64 v13, 0, v9, s[0:1]
	v_mov_b32_e32 v9, v1
	v_cndmask_b32_e32 v12, 0, v15, vcc
	v_lshlrev_b64 v[15:16], 3, v[8:9]
	v_mov_b32_e32 v9, s3
	v_add_co_u32_e32 v15, vcc, s2, v15
	v_addc_co_u32_e32 v16, vcc, v9, v16, vcc
	s_mov_b32 s0, 0x96bb98c8
	global_store_dwordx2 v[15:16], v[12:13], off
	v_mov_b32_e32 v12, 0x1702251e
	v_mov_b32_e32 v13, 0x40006a5c
	s_mov_b32 s1, 0xc0dc7090
	v_fma_f64 v[12:13], v[6:7], s[0:1], v[12:13]
	s_mov_b32 s0, 0x6bdbf12d
	s_mov_b32 s1, 0x4009589c
	v_mov_b32_e32 v15, 0x89193451
	v_mov_b32_e32 v16, 0xbe018beb
	v_add_u32_e32 v8, s33, v8
	v_fma_f64 v[12:13], v[4:5], s[0:1], v[12:13]
	s_mov_b32 s0, 0xa8926402
	s_mov_b32 s1, 0x3d3dbba8
	v_fma_f64 v[15:16], v[2:3], s[0:1], v[15:16]
	s_mov_b32 s0, 0x592d2311
	s_mov_b32 s1, 0x3eb2934a
	v_fma_f64 v[15:16], v[2:3], v[15:16], s[0:1]
	s_mov_b32 s0, 0xe5787a18
	s_mov_b32 s1, 0xbf5add3a
	v_fma_f64 v[15:16], v[2:3], v[15:16], s[0:1]
	v_fma_f64 v[12:13], v[2:3], v[15:16], v[12:13]
	v_mul_f64 v[15:16], v[12:13], s[10:11]
	v_cmp_nlt_f64_e32 vcc, s[30:31], v[12:13]
	v_cmp_ngt_f64_e64 s[0:1], s[34:35], v[12:13]
	v_rndne_f64_e32 v[15:16], v[15:16]
	v_fma_f64 v[17:18], v[15:16], s[6:7], v[12:13]
	v_cvt_i32_f64_e32 v9, v[15:16]
	v_fma_f64 v[17:18], v[15:16], s[8:9], v[17:18]
	v_fma_f64 v[19:20], v[17:18], s[12:13], v[10:11]
	v_fma_f64 v[19:20], v[17:18], v[19:20], s[14:15]
	v_fma_f64 v[19:20], v[17:18], v[19:20], s[16:17]
	v_fma_f64 v[19:20], v[17:18], v[19:20], s[18:19]
	v_fma_f64 v[19:20], v[17:18], v[19:20], s[20:21]
	v_fma_f64 v[19:20], v[17:18], v[19:20], s[22:23]
	v_fma_f64 v[19:20], v[17:18], v[19:20], s[24:25]
	v_fma_f64 v[19:20], v[17:18], v[19:20], s[26:27]
	v_fma_f64 v[19:20], v[17:18], v[19:20], s[28:29]
	v_fma_f64 v[19:20], v[17:18], v[19:20], 1.0
	v_fma_f64 v[17:18], v[17:18], v[19:20], 1.0
	v_ldexp_f64 v[15:16], v[17:18], v9
	v_cndmask_b32_e32 v9, v14, v16, vcc
	s_and_b64 vcc, s[0:1], vcc
	v_cndmask_b32_e64 v13, 0, v9, s[0:1]
	v_mov_b32_e32 v9, v1
	v_cndmask_b32_e32 v12, 0, v15, vcc
	v_lshlrev_b64 v[15:16], 3, v[8:9]
	v_mov_b32_e32 v9, s3
	v_add_co_u32_e32 v15, vcc, s2, v15
	v_addc_co_u32_e32 v16, vcc, v9, v16, vcc
	s_mov_b32 s0, 0x3497b741
	global_store_dwordx2 v[15:16], v[12:13], off
	v_mov_b32_e32 v12, 0x7e3dc88d
	v_mov_b32_e32 v13, 0x400d42eb
	s_mov_b32 s1, 0x40909fc6
	v_fma_f64 v[12:13], v[6:7], s[0:1], v[12:13]
	s_mov_b32 s0, 0x7ae5fa45
	s_mov_b32 s1, 0x400e4278
	v_mov_b32_e32 v15, 0xdfaaca22
	v_mov_b32_e32 v16, 0xbe0bb876
	v_add_u32_e32 v8, s33, v8
	;; [unrolled: 50-line block ×20, first 2 shown]
	v_fma_f64 v[12:13], v[4:5], s[0:1], v[12:13]
	s_mov_b32 s0, 0x7e223a7d
	s_mov_b32 s1, 0x3d77bd41
	v_fma_f64 v[15:16], v[2:3], s[0:1], v[15:16]
	s_mov_b32 s0, 0x7854cd93
	s_mov_b32 s1, 0x3ee3f522
	;; [unrolled: 3-line block ×3, first 2 shown]
	v_fma_f64 v[15:16], v[2:3], v[15:16], s[0:1]
	v_fma_f64 v[12:13], v[2:3], v[15:16], v[12:13]
	v_mul_f64 v[15:16], v[12:13], s[10:11]
	v_cmp_nlt_f64_e32 vcc, s[30:31], v[12:13]
	v_cmp_ngt_f64_e64 s[0:1], s[34:35], v[12:13]
	v_rndne_f64_e32 v[15:16], v[15:16]
	v_fma_f64 v[17:18], v[15:16], s[6:7], v[12:13]
	v_cvt_i32_f64_e32 v9, v[15:16]
	v_fma_f64 v[17:18], v[15:16], s[8:9], v[17:18]
	v_fma_f64 v[19:20], v[17:18], s[12:13], v[10:11]
	;; [unrolled: 1-line block ×10, first 2 shown]
	v_fma_f64 v[19:20], v[17:18], v[19:20], 1.0
	v_fma_f64 v[17:18], v[17:18], v[19:20], 1.0
	v_ldexp_f64 v[15:16], v[17:18], v9
	v_cndmask_b32_e32 v9, v14, v16, vcc
	s_and_b64 vcc, s[0:1], vcc
	v_cndmask_b32_e64 v13, 0, v9, s[0:1]
	v_mov_b32_e32 v9, v1
	v_cndmask_b32_e32 v12, 0, v15, vcc
	v_lshlrev_b64 v[15:16], 3, v[8:9]
	v_mov_b32_e32 v9, s3
	v_add_co_u32_e32 v15, vcc, s2, v15
	v_addc_co_u32_e32 v16, vcc, v9, v16, vcc
	global_store_dwordx2 v[15:16], v[12:13], off
	v_mov_b32_e32 v12, 0xa8b4ea83
	v_mov_b32_e32 v13, 0x4012d42e
	v_fma_f64 v[12:13], v[6:7], s[36:37], v[12:13]
	s_mov_b32 s0, 0x23a3c91d
	s_mov_b32 s1, 0x401139d2
	v_mov_b32_e32 v15, 0x3ad81749
	v_mov_b32_e32 v16, 0xbe35718e
	v_add_u32_e32 v8, s33, v8
	s_mov_b32 s37, 0x40d51138
	v_fma_f64 v[12:13], v[4:5], s[0:1], v[12:13]
	s_mov_b32 s0, 0xf0472426
	s_mov_b32 s1, 0x3d744699
	v_fma_f64 v[15:16], v[2:3], s[0:1], v[15:16]
	s_mov_b32 s0, 0xc90bd661
	;; [unrolled: 3-line block ×3, first 2 shown]
	s_mov_b32 s1, 0xbf6125f4
	v_fma_f64 v[15:16], v[2:3], v[15:16], s[0:1]
	v_fma_f64 v[12:13], v[2:3], v[15:16], v[12:13]
	v_mul_f64 v[15:16], v[12:13], s[10:11]
	v_cmp_nlt_f64_e32 vcc, s[30:31], v[12:13]
	v_cmp_ngt_f64_e64 s[0:1], s[34:35], v[12:13]
	v_rndne_f64_e32 v[15:16], v[15:16]
	v_fma_f64 v[17:18], v[15:16], s[6:7], v[12:13]
	v_cvt_i32_f64_e32 v9, v[15:16]
	v_fma_f64 v[17:18], v[15:16], s[8:9], v[17:18]
	v_fma_f64 v[19:20], v[17:18], s[12:13], v[10:11]
	v_fma_f64 v[19:20], v[17:18], v[19:20], s[14:15]
	v_fma_f64 v[19:20], v[17:18], v[19:20], s[16:17]
	v_fma_f64 v[19:20], v[17:18], v[19:20], s[18:19]
	v_fma_f64 v[19:20], v[17:18], v[19:20], s[20:21]
	v_fma_f64 v[19:20], v[17:18], v[19:20], s[22:23]
	v_fma_f64 v[19:20], v[17:18], v[19:20], s[24:25]
	v_fma_f64 v[19:20], v[17:18], v[19:20], s[26:27]
	v_fma_f64 v[19:20], v[17:18], v[19:20], s[28:29]
	v_fma_f64 v[19:20], v[17:18], v[19:20], 1.0
	v_fma_f64 v[17:18], v[17:18], v[19:20], 1.0
	v_ldexp_f64 v[15:16], v[17:18], v9
	v_cndmask_b32_e32 v9, v14, v16, vcc
	s_and_b64 vcc, s[0:1], vcc
	v_cndmask_b32_e64 v13, 0, v9, s[0:1]
	v_mov_b32_e32 v9, v1
	v_cndmask_b32_e32 v12, 0, v15, vcc
	v_lshlrev_b64 v[15:16], 3, v[8:9]
	v_mov_b32_e32 v9, s3
	v_add_co_u32_e32 v15, vcc, s2, v15
	v_addc_co_u32_e32 v16, vcc, v9, v16, vcc
	s_mov_b32 s0, 0x4dd2f1aa
	global_store_dwordx2 v[15:16], v[12:13], off
	v_mov_b32_e32 v12, 0x618352b0
	v_mov_b32_e32 v13, 0x400555a7
	s_mov_b32 s1, 0x40c6811a
	v_fma_f64 v[12:13], v[6:7], s[0:1], v[12:13]
	s_mov_b32 s0, 0x4b528ec3
	s_mov_b32 s1, 0x40112a6b
	v_mov_b32_e32 v15, 0x17bccd0f
	v_mov_b32_e32 v16, 0xbe395b64
	v_add_u32_e32 v8, s33, v8
	v_fma_f64 v[12:13], v[4:5], s[0:1], v[12:13]
	s_mov_b32 s0, 0x5c95727
	s_mov_b32 s1, 0x3d77a244
	v_fma_f64 v[15:16], v[2:3], s[0:1], v[15:16]
	s_mov_b32 s0, 0xd95eec46
	s_mov_b32 s1, 0x3ee4f3ae
	v_fma_f64 v[15:16], v[2:3], v[15:16], s[0:1]
	s_mov_b32 s0, 0x1f95b2df
	s_mov_b32 s1, 0xbf6688c9
	v_fma_f64 v[15:16], v[2:3], v[15:16], s[0:1]
	v_fma_f64 v[12:13], v[2:3], v[15:16], v[12:13]
	v_mul_f64 v[15:16], v[12:13], s[10:11]
	v_cmp_nlt_f64_e32 vcc, s[30:31], v[12:13]
	v_cmp_ngt_f64_e64 s[0:1], s[34:35], v[12:13]
	v_rndne_f64_e32 v[15:16], v[15:16]
	v_fma_f64 v[17:18], v[15:16], s[6:7], v[12:13]
	v_cvt_i32_f64_e32 v9, v[15:16]
	v_fma_f64 v[17:18], v[15:16], s[8:9], v[17:18]
	v_fma_f64 v[19:20], v[17:18], s[12:13], v[10:11]
	v_fma_f64 v[19:20], v[17:18], v[19:20], s[14:15]
	v_fma_f64 v[19:20], v[17:18], v[19:20], s[16:17]
	v_fma_f64 v[19:20], v[17:18], v[19:20], s[18:19]
	v_fma_f64 v[19:20], v[17:18], v[19:20], s[20:21]
	v_fma_f64 v[19:20], v[17:18], v[19:20], s[22:23]
	v_fma_f64 v[19:20], v[17:18], v[19:20], s[24:25]
	v_fma_f64 v[19:20], v[17:18], v[19:20], s[26:27]
	v_fma_f64 v[19:20], v[17:18], v[19:20], s[28:29]
	v_fma_f64 v[19:20], v[17:18], v[19:20], 1.0
	v_fma_f64 v[17:18], v[17:18], v[19:20], 1.0
	v_ldexp_f64 v[15:16], v[17:18], v9
	v_cndmask_b32_e32 v9, v14, v16, vcc
	s_and_b64 vcc, s[0:1], vcc
	v_cndmask_b32_e64 v13, 0, v9, s[0:1]
	v_mov_b32_e32 v9, v1
	v_cndmask_b32_e32 v12, 0, v15, vcc
	v_lshlrev_b64 v[15:16], 3, v[8:9]
	v_mov_b32_e32 v9, s3
	v_add_co_u32_e32 v15, vcc, s2, v15
	v_addc_co_u32_e32 v16, vcc, v9, v16, vcc
	s_mov_b32 s0, 0xbc6a7efa
	global_store_dwordx2 v[15:16], v[12:13], off
	v_mov_b32_e32 v12, 0xefe0ce0c
	v_mov_b32_e32 v13, 0x4028fb17
	s_mov_b32 s1, 0xc0d396dc
	v_fma_f64 v[12:13], v[6:7], s[0:1], v[12:13]
	s_mov_b32 s0, 0x8265a06e
	s_mov_b32 s1, 0x40020386
	v_mov_b32_e32 v15, 0xf34767a7
	v_mov_b32_e32 v16, 0x3e18bba1
	v_add_u32_e32 v8, s33, v8
	v_fma_f64 v[12:13], v[4:5], s[0:1], v[12:13]
	s_mov_b32 s0, 0xa8be7d
	s_mov_b32 s1, 0xbd51d37b
	v_fma_f64 v[15:16], v[2:3], s[0:1], v[15:16]
	s_mov_b32 s0, 0xefdfac2e
	s_mov_b32 s1, 0xbed0967c
	v_fma_f64 v[15:16], v[2:3], v[15:16], s[0:1]
	s_mov_b32 s0, 0x67388492
	;; [unrolled: 50-line block ×4, first 2 shown]
	s_mov_b32 s1, 0x3f75fe1b
	v_fma_f64 v[15:16], v[2:3], v[15:16], s[0:1]
	v_fma_f64 v[12:13], v[2:3], v[15:16], v[12:13]
	v_mul_f64 v[15:16], v[12:13], s[10:11]
	v_cmp_nlt_f64_e32 vcc, s[30:31], v[12:13]
	v_cmp_ngt_f64_e64 s[0:1], s[34:35], v[12:13]
	v_rndne_f64_e32 v[15:16], v[15:16]
	v_fma_f64 v[17:18], v[15:16], s[6:7], v[12:13]
	v_cvt_i32_f64_e32 v9, v[15:16]
	v_fma_f64 v[17:18], v[15:16], s[8:9], v[17:18]
	v_fma_f64 v[19:20], v[17:18], s[12:13], v[10:11]
	;; [unrolled: 1-line block ×10, first 2 shown]
	v_fma_f64 v[19:20], v[17:18], v[19:20], 1.0
	v_fma_f64 v[17:18], v[17:18], v[19:20], 1.0
	v_ldexp_f64 v[15:16], v[17:18], v9
	v_cndmask_b32_e32 v9, v14, v16, vcc
	s_and_b64 vcc, s[0:1], vcc
	v_cndmask_b32_e64 v13, 0, v9, s[0:1]
	v_mov_b32_e32 v9, v1
	v_cndmask_b32_e32 v12, 0, v15, vcc
	v_lshlrev_b64 v[15:16], 3, v[8:9]
	v_mov_b32_e32 v9, s3
	v_add_co_u32_e32 v15, vcc, s2, v15
	v_addc_co_u32_e32 v16, vcc, v9, v16, vcc
	global_store_dwordx2 v[15:16], v[12:13], off
	v_mov_b32_e32 v12, 0x5df3d
	v_mov_b32_e32 v13, 0x4010697d
	v_fma_f64 v[12:13], v[6:7], s[36:37], v[12:13]
	s_mov_b32 s0, 0x6e6106ab
	s_mov_b32 s1, 0x4012eaf7
	v_mov_b32_e32 v15, 0x6e8b7f34
	v_mov_b32_e32 v16, 0xbe3490b3
	v_add_u32_e32 v8, s33, v8
	v_fma_f64 v[12:13], v[4:5], s[0:1], v[12:13]
	s_mov_b32 s0, 0x8840b02f
	s_mov_b32 s1, 0x3d734a72
	v_fma_f64 v[15:16], v[2:3], s[0:1], v[15:16]
	s_mov_b32 s0, 0x4c7edf0f
	s_mov_b32 s1, 0x3ee09d5a
	;; [unrolled: 3-line block ×3, first 2 shown]
	v_fma_f64 v[15:16], v[2:3], v[15:16], s[0:1]
	v_fma_f64 v[12:13], v[2:3], v[15:16], v[12:13]
	v_mul_f64 v[15:16], v[12:13], s[10:11]
	v_cmp_nlt_f64_e32 vcc, s[30:31], v[12:13]
	v_cmp_ngt_f64_e64 s[0:1], s[34:35], v[12:13]
	v_rndne_f64_e32 v[15:16], v[15:16]
	v_fma_f64 v[17:18], v[15:16], s[6:7], v[12:13]
	v_cvt_i32_f64_e32 v9, v[15:16]
	v_fma_f64 v[17:18], v[15:16], s[8:9], v[17:18]
	v_fma_f64 v[19:20], v[17:18], s[12:13], v[10:11]
	;; [unrolled: 1-line block ×10, first 2 shown]
	v_fma_f64 v[19:20], v[17:18], v[19:20], 1.0
	v_fma_f64 v[17:18], v[17:18], v[19:20], 1.0
	v_ldexp_f64 v[15:16], v[17:18], v9
	v_cndmask_b32_e32 v9, v14, v16, vcc
	s_and_b64 vcc, s[0:1], vcc
	v_cndmask_b32_e64 v13, 0, v9, s[0:1]
	v_mov_b32_e32 v9, v1
	v_cndmask_b32_e32 v12, 0, v15, vcc
	v_lshlrev_b64 v[15:16], 3, v[8:9]
	v_mov_b32_e32 v9, s3
	v_add_co_u32_e32 v15, vcc, s2, v15
	v_addc_co_u32_e32 v16, vcc, v9, v16, vcc
	s_mov_b32 s0, 0x4189374c
	global_store_dwordx2 v[15:16], v[12:13], off
	v_mov_b32_e32 v12, 0xc0b13598
	v_mov_b32_e32 v13, 0x40312c57
	s_mov_b32 s1, 0xc0d2cb68
	v_fma_f64 v[12:13], v[6:7], s[0:1], v[12:13]
	s_mov_b32 s0, 0x806f2629
	s_mov_b32 s1, 0x3ff5cf99
	v_mov_b32_e32 v15, 0x57b3f20f
	v_mov_b32_e32 v16, 0xbe27e078
	v_add_u32_e32 v8, s33, v8
	v_fma_f64 v[12:13], v[4:5], s[0:1], v[12:13]
	s_mov_b32 s0, 0x3f7e1a43
	s_mov_b32 s1, 0x3d6be0a9
	v_fma_f64 v[15:16], v[2:3], s[0:1], v[15:16]
	s_mov_b32 s0, 0x3ae6df7c
	s_mov_b32 s1, 0x3ec178df
	;; [unrolled: 3-line block ×3, first 2 shown]
	v_fma_f64 v[15:16], v[2:3], v[15:16], s[0:1]
	v_fma_f64 v[12:13], v[2:3], v[15:16], v[12:13]
	v_mul_f64 v[15:16], v[12:13], s[10:11]
	v_cmp_nlt_f64_e32 vcc, s[30:31], v[12:13]
	v_cmp_ngt_f64_e64 s[0:1], s[34:35], v[12:13]
	v_rndne_f64_e32 v[15:16], v[15:16]
	v_fma_f64 v[17:18], v[15:16], s[6:7], v[12:13]
	v_cvt_i32_f64_e32 v9, v[15:16]
	v_fma_f64 v[17:18], v[15:16], s[8:9], v[17:18]
	v_fma_f64 v[19:20], v[17:18], s[12:13], v[10:11]
	;; [unrolled: 1-line block ×10, first 2 shown]
	v_fma_f64 v[19:20], v[17:18], v[19:20], 1.0
	v_fma_f64 v[17:18], v[17:18], v[19:20], 1.0
	v_ldexp_f64 v[15:16], v[17:18], v9
	v_cndmask_b32_e32 v9, v14, v16, vcc
	s_and_b64 vcc, s[0:1], vcc
	v_cndmask_b32_e64 v13, 0, v9, s[0:1]
	v_mov_b32_e32 v9, v1
	v_cndmask_b32_e32 v12, 0, v15, vcc
	v_lshlrev_b64 v[15:16], 3, v[8:9]
	v_mov_b32_e32 v9, s3
	v_add_co_u32_e32 v15, vcc, s2, v15
	v_addc_co_u32_e32 v16, vcc, v9, v16, vcc
	s_mov_b32 s0, 0xd2f1a9fc
	global_store_dwordx2 v[15:16], v[12:13], off
	v_mov_b32_e32 v12, 0x92ccf7
	v_mov_b32_e32 v13, 0x40302535
	s_mov_b32 s1, 0xc090cb4d
	v_fma_f64 v[12:13], v[6:7], s[0:1], v[12:13]
	s_mov_b32 s0, 0xe17e34b9
	s_mov_b32 s1, 0x3ff7e495
	v_mov_b32_e32 v15, 0x8defcf27
	v_mov_b32_e32 v16, 0xbe17e4a0
	v_fma_f64 v[12:13], v[4:5], s[0:1], v[12:13]
	s_mov_b32 s0, 0x175fa3c6
	s_mov_b32 s1, 0x3d592f7c
	v_fma_f64 v[15:16], v[2:3], s[0:1], v[15:16]
	s_mov_b32 s0, 0x6437efdc
	s_mov_b32 s1, 0x3ea9178b
	;; [unrolled: 3-line block ×3, first 2 shown]
	v_fma_f64 v[15:16], v[2:3], v[15:16], s[0:1]
	v_fma_f64 v[12:13], v[2:3], v[15:16], v[12:13]
	v_mul_f64 v[15:16], v[12:13], s[10:11]
	v_cmp_nlt_f64_e32 vcc, s[30:31], v[12:13]
	v_cmp_ngt_f64_e64 s[0:1], s[34:35], v[12:13]
	v_rndne_f64_e32 v[15:16], v[15:16]
	v_fma_f64 v[17:18], v[15:16], s[6:7], v[12:13]
	v_mov_b32_e32 v12, v1
	v_mov_b32_e32 v1, s3
	v_fma_f64 v[17:18], v[15:16], s[8:9], v[17:18]
	v_fma_f64 v[9:10], v[17:18], s[12:13], v[10:11]
	v_cvt_i32_f64_e32 v11, v[15:16]
	v_fma_f64 v[9:10], v[17:18], v[9:10], s[14:15]
	v_fma_f64 v[9:10], v[17:18], v[9:10], s[16:17]
	;; [unrolled: 1-line block ×8, first 2 shown]
	v_fma_f64 v[9:10], v[17:18], v[9:10], 1.0
	v_fma_f64 v[9:10], v[17:18], v[9:10], 1.0
	v_ldexp_f64 v[9:10], v[9:10], v11
	v_add_u32_e32 v11, s33, v8
	v_lshlrev_b64 v[11:12], 3, v[11:12]
	v_mov_b32_e32 v8, 0x1fcd24e1
	v_cndmask_b32_e32 v10, v14, v10, vcc
	s_and_b64 vcc, s[0:1], vcc
	v_cndmask_b32_e32 v9, 0, v9, vcc
	v_add_co_u32_e32 v11, vcc, s2, v11
	v_cndmask_b32_e64 v10, 0, v10, s[0:1]
	v_addc_co_u32_e32 v12, vcc, v1, v12, vcc
	s_mov_b32 s0, 0x49ba5e35
	global_store_dwordx2 v[11:12], v[9:10], off
	v_mov_b32_e32 v9, 0x403522d3
	s_mov_b32 s1, 0xc0c4242c
	v_fma_f64 v[6:7], v[6:7], s[0:1], v[8:9]
	s_mov_b32 s0, 0x38d2af65
	s_mov_b32 s1, 0x3ff0c92f
                                        ; implicit-def: $vgpr12_vgpr13
                                        ; implicit-def: $vgpr8
	v_fma_f64 v[9:10], v[4:5], s[0:1], v[6:7]
	s_mov_b32 s0, 0x6bb0b46f
	v_mov_b32_e32 v4, 0x1c8d79b3
	v_mov_b32_e32 v5, 0xbe1c0db1
	s_mov_b32 s1, 0x3d607cc8
	v_fma_f64 v[14:15], v[2:3], s[0:1], v[4:5]
                                        ; implicit-def: $vgpr6_vgpr7
                                        ; implicit-def: $vgpr4_vgpr5
.LBB28_2:
	s_or_saveexec_b64 s[4:5], s[4:5]
	v_mov_b32_e32 v16, 0xa1c00c53
	v_mov_b32_e32 v17, 0x3f8aa218
	;; [unrolled: 1-line block ×5, first 2 shown]
	s_xor_b64 exec, exec, s[4:5]
	s_cbranch_execz .LBB28_4
; %bb.3:
	s_mov_b32 s0, 0x78e5c4eb
	v_mov_b32_e32 v9, 0x42daf0fd
	v_mov_b32_e32 v10, 0xc009a3e3
	s_mov_b32 s1, 0x408db145
	v_fma_f64 v[9:10], v[6:7], s[0:1], v[9:10]
	s_mov_b32 s0, 0x6fecf7e5
	s_mov_b32 s1, 0x400ab2bf
	v_mov_b32_e32 v14, 0x322506a6
	v_mov_b32_e32 v15, 0xbdb073f4
	s_mov_b32 s6, 0x652b82fe
	s_mov_b32 s7, 0x3ff71547
	;; [unrolled: 1-line block ×3, first 2 shown]
	v_fma_f64 v[9:10], v[4:5], s[0:1], v[9:10]
	s_mov_b32 s0, 0x18342be3
	s_mov_b32 s1, 0x3cd20993
	v_fma_f64 v[14:15], v[2:3], s[0:1], v[14:15]
	s_mov_b32 s0, 0xc265e095
	s_mov_b32 s1, 0x3e765866
	s_mov_b32 s9, 0xbfe62e42
	s_mov_b32 s10, 0x3b39803f
	s_mov_b32 s11, 0xbc7abc9e
	s_mov_b32 s12, 0x6a5dcb37
	s_mov_b32 s13, 0x3e5ade15
	v_fma_f64 v[14:15], v[2:3], v[14:15], s[0:1]
	s_mov_b32 s0, 0xc08fd91
	s_mov_b32 s1, 0xbef9e6b0
	s_mov_b32 s14, 0x623fde64
	s_mov_b32 s15, 0x3ec71dee
	s_mov_b32 s16, 0x7c89e6b0
	;; [unrolled: 8-line block ×4, first 2 shown]
	s_mov_b32 s35, 0x3fe00000
	s_mov_b32 s26, 0
	v_mul_f64 v[9:10], v[14:15], s[6:7]
	s_mov_b32 s30, 0
	s_mov_b32 s27, 0x40900000
	;; [unrolled: 1-line block ×3, first 2 shown]
	v_cmp_nlt_f64_e32 vcc, s[26:27], v[14:15]
	v_rndne_f64_e32 v[16:17], v[9:10]
	v_fma_f64 v[9:10], v[16:17], s[8:9], v[14:15]
	v_cvt_i32_f64_e32 v1, v[16:17]
	v_fma_f64 v[18:19], v[16:17], s[10:11], v[9:10]
	v_mov_b32_e32 v11, s1
	v_mov_b32_e32 v10, s0
	v_cmp_ngt_f64_e64 s[0:1], s[30:31], v[14:15]
	v_fma_f64 v[20:21], v[18:19], s[12:13], v[10:11]
	v_fma_f64 v[20:21], v[18:19], v[20:21], s[14:15]
	;; [unrolled: 1-line block ×9, first 2 shown]
	v_fma_f64 v[20:21], v[18:19], v[20:21], 1.0
	v_fma_f64 v[18:19], v[18:19], v[20:21], 1.0
	v_ldexp_f64 v[16:17], v[18:19], v1
	v_mov_b32_e32 v1, 0x7ff00000
	v_cndmask_b32_e32 v9, v1, v17, vcc
	s_and_b64 vcc, s[0:1], vcc
	v_cndmask_b32_e32 v14, 0, v16, vcc
	v_cndmask_b32_e64 v15, 0, v9, s[0:1]
	v_add_co_u32_e32 v12, vcc, s2, v12
	v_mov_b32_e32 v9, s3
	v_addc_co_u32_e32 v13, vcc, v9, v13, vcc
	s_mov_b32 s0, 0x3bcd35a8
	global_store_dwordx2 v[12:13], v[14:15], off
	v_mov_b32_e32 v12, 0xeed3f77d
	v_mov_b32_e32 v13, 0xbfdc9673
	s_mov_b32 s1, 0xc0d8e06a
	v_fma_f64 v[12:13], v[6:7], s[0:1], v[12:13]
	s_mov_b32 s0, 0x15798ee
	s_mov_b32 s1, 0x40040000
	v_mov_b32_e32 v14, 0x4fa461a7
	v_mov_b32_e32 v15, 0xbc1d1db5
	v_fma_f64 v[12:13], v[4:5], s[0:1], v[12:13]
	s_mov_b32 s0, 0xfebb003
	s_mov_b32 s1, 0x3b3e1d3b
	v_fma_f64 v[14:15], v[2:3], s[0:1], v[14:15]
	s_mov_b32 s0, 0x3d6bf46
	s_mov_b32 s1, 0x3ce840f1
	;; [unrolled: 3-line block ×3, first 2 shown]
	v_fma_f64 v[14:15], v[2:3], v[14:15], s[0:1]
	v_fma_f64 v[12:13], v[2:3], v[14:15], v[12:13]
	v_mul_f64 v[14:15], v[12:13], s[6:7]
	v_cmp_nlt_f64_e32 vcc, s[26:27], v[12:13]
	v_cmp_ngt_f64_e64 s[0:1], s[30:31], v[12:13]
	v_rndne_f64_e32 v[14:15], v[14:15]
	v_fma_f64 v[16:17], v[14:15], s[8:9], v[12:13]
	v_cvt_i32_f64_e32 v9, v[14:15]
	v_fma_f64 v[16:17], v[14:15], s[10:11], v[16:17]
	v_fma_f64 v[18:19], v[16:17], s[12:13], v[10:11]
	;; [unrolled: 1-line block ×10, first 2 shown]
	v_fma_f64 v[18:19], v[16:17], v[18:19], 1.0
	v_fma_f64 v[16:17], v[16:17], v[18:19], 1.0
	v_ldexp_f64 v[14:15], v[16:17], v9
	v_mov_b32_e32 v16, s3
	v_cndmask_b32_e32 v9, v1, v15, vcc
	s_and_b64 vcc, s[0:1], vcc
	v_cndmask_b32_e64 v13, 0, v9, s[0:1]
	v_mov_b32_e32 v9, 0
	v_cndmask_b32_e32 v12, 0, v14, vcc
	v_lshlrev_b64 v[14:15], 3, v[8:9]
	s_mov_b32 s0, 0xff97247
	v_add_co_u32_e32 v14, vcc, s2, v14
	v_addc_co_u32_e32 v15, vcc, v16, v15, vcc
	global_store_dwordx2 v[14:15], v[12:13], off
	v_mov_b32_e32 v12, 0xab1f280e
	v_mov_b32_e32 v13, 0x40132329
	s_mov_b32 s1, 0xc0dc8865
	v_fma_f64 v[12:13], v[6:7], s[0:1], v[12:13]
	s_mov_b32 s0, 0x7b5e1a3d
	s_mov_b32 s1, 0x40048e2c
	v_mov_b32_e32 v14, 0x5033c5c3
	v_mov_b32_e32 v15, 0xbd6d5f58
	v_add_u32_e32 v8, s33, v8
	v_fma_f64 v[12:13], v[4:5], s[0:1], v[12:13]
	s_mov_b32 s0, 0x69230ddc
	s_mov_b32 s1, 0x3c91b3c3
	v_fma_f64 v[14:15], v[2:3], s[0:1], v[14:15]
	s_mov_b32 s0, 0xea8ff5b3
	s_mov_b32 s1, 0x3e3e0722
	v_fma_f64 v[14:15], v[2:3], v[14:15], s[0:1]
	s_mov_b32 s0, 0x73e4c12
	s_mov_b32 s1, 0xbf0689a0
	v_fma_f64 v[14:15], v[2:3], v[14:15], s[0:1]
	v_fma_f64 v[12:13], v[2:3], v[14:15], v[12:13]
	v_mul_f64 v[14:15], v[12:13], s[6:7]
	v_cmp_nlt_f64_e32 vcc, s[26:27], v[12:13]
	v_cmp_ngt_f64_e64 s[0:1], s[30:31], v[12:13]
	v_rndne_f64_e32 v[14:15], v[14:15]
	v_fma_f64 v[16:17], v[14:15], s[8:9], v[12:13]
	v_fma_f64 v[16:17], v[14:15], s[10:11], v[16:17]
	v_cvt_i32_f64_e32 v14, v[14:15]
	v_fma_f64 v[18:19], v[16:17], s[12:13], v[10:11]
	v_fma_f64 v[18:19], v[16:17], v[18:19], s[14:15]
	v_fma_f64 v[18:19], v[16:17], v[18:19], s[16:17]
	v_fma_f64 v[18:19], v[16:17], v[18:19], s[18:19]
	v_fma_f64 v[18:19], v[16:17], v[18:19], s[20:21]
	v_fma_f64 v[18:19], v[16:17], v[18:19], s[22:23]
	v_fma_f64 v[18:19], v[16:17], v[18:19], s[24:25]
	v_fma_f64 v[18:19], v[16:17], v[18:19], s[28:29]
	v_fma_f64 v[18:19], v[16:17], v[18:19], s[34:35]
	v_fma_f64 v[18:19], v[16:17], v[18:19], 1.0
	v_fma_f64 v[16:17], v[16:17], v[18:19], 1.0
	v_ldexp_f64 v[14:15], v[16:17], v14
	v_mov_b32_e32 v16, s3
	v_cndmask_b32_e32 v15, v1, v15, vcc
	s_and_b64 vcc, s[0:1], vcc
	v_cndmask_b32_e32 v12, 0, v14, vcc
	v_cndmask_b32_e64 v13, 0, v15, s[0:1]
	v_lshlrev_b64 v[14:15], 3, v[8:9]
	s_mov_b32 s0, 0xb48d3ae7
	v_add_co_u32_e32 v14, vcc, s2, v14
	v_addc_co_u32_e32 v15, vcc, v16, v15, vcc
	global_store_dwordx2 v[14:15], v[12:13], off
	v_mov_b32_e32 v12, 0xdd004baa
	v_mov_b32_e32 v13, 0x4015d01b
	s_mov_b32 s1, 0x409101d4
	v_fma_f64 v[12:13], v[6:7], s[0:1], v[12:13]
	s_mov_b32 s0, 0x32f575b8
	s_mov_b32 s1, 0x400a42a3
	v_mov_b32_e32 v14, 0xaf900c49
	v_mov_b32_e32 v15, 0x3db33164
	v_add_u32_e32 v8, s33, v8
	v_fma_f64 v[12:13], v[4:5], s[0:1], v[12:13]
	s_mov_b32 s0, 0xeebb013
	s_mov_b32 s1, 0xbcd3852c
	v_fma_f64 v[14:15], v[2:3], s[0:1], v[14:15]
	s_mov_b32 s0, 0xe2f6b32b
	s_mov_b32 s1, 0xbe80f496
	v_fma_f64 v[14:15], v[2:3], v[14:15], s[0:1]
	s_mov_b32 s0, 0x1ecf574d
	s_mov_b32 s1, 0x3f484c85
	v_fma_f64 v[14:15], v[2:3], v[14:15], s[0:1]
	v_fma_f64 v[12:13], v[2:3], v[14:15], v[12:13]
	v_mul_f64 v[14:15], v[12:13], s[6:7]
	v_cmp_nlt_f64_e32 vcc, s[26:27], v[12:13]
	v_cmp_ngt_f64_e64 s[0:1], s[30:31], v[12:13]
	v_rndne_f64_e32 v[14:15], v[14:15]
	v_fma_f64 v[16:17], v[14:15], s[8:9], v[12:13]
	v_fma_f64 v[16:17], v[14:15], s[10:11], v[16:17]
	v_cvt_i32_f64_e32 v14, v[14:15]
	v_fma_f64 v[18:19], v[16:17], s[12:13], v[10:11]
	v_fma_f64 v[18:19], v[16:17], v[18:19], s[14:15]
	v_fma_f64 v[18:19], v[16:17], v[18:19], s[16:17]
	v_fma_f64 v[18:19], v[16:17], v[18:19], s[18:19]
	v_fma_f64 v[18:19], v[16:17], v[18:19], s[20:21]
	v_fma_f64 v[18:19], v[16:17], v[18:19], s[22:23]
	v_fma_f64 v[18:19], v[16:17], v[18:19], s[24:25]
	v_fma_f64 v[18:19], v[16:17], v[18:19], s[28:29]
	v_fma_f64 v[18:19], v[16:17], v[18:19], s[34:35]
	v_fma_f64 v[18:19], v[16:17], v[18:19], 1.0
	v_fma_f64 v[16:17], v[16:17], v[18:19], 1.0
	v_ldexp_f64 v[14:15], v[16:17], v14
	v_mov_b32_e32 v16, s3
	v_cndmask_b32_e32 v15, v1, v15, vcc
	s_and_b64 vcc, s[0:1], vcc
	v_cndmask_b32_e32 v12, 0, v14, vcc
	v_cndmask_b32_e64 v13, 0, v15, s[0:1]
	;; [unrolled: 49-line block ×26, first 2 shown]
	v_lshlrev_b64 v[14:15], 3, v[8:9]
	s_mov_b32 s0, 0xbc6a7efa
	v_add_co_u32_e32 v14, vcc, s2, v14
	v_addc_co_u32_e32 v15, vcc, v16, v15, vcc
	global_store_dwordx2 v[14:15], v[12:13], off
	v_mov_b32_e32 v12, 0xcb295ea
	v_mov_b32_e32 v13, 0xc0267c71
	s_mov_b32 s1, 0xc0d1129c
	v_fma_f64 v[12:13], v[6:7], s[0:1], v[12:13]
	s_mov_b32 s0, 0x7da6f4cc
	s_mov_b32 s1, 0x401a00ce
	v_mov_b32_e32 v14, 0xb537f4ca
	v_mov_b32_e32 v15, 0x3dd961d9
	v_add_u32_e32 v8, s33, v8
	v_fma_f64 v[12:13], v[4:5], s[0:1], v[12:13]
	s_mov_b32 s0, 0x98fc07ef
	s_mov_b32 s1, 0xbcf4591f
	v_fma_f64 v[14:15], v[2:3], s[0:1], v[14:15]
	s_mov_b32 s0, 0xd1f8dcba
	s_mov_b32 s1, 0xbeafc12c
	;; [unrolled: 3-line block ×3, first 2 shown]
	v_fma_f64 v[14:15], v[2:3], v[14:15], s[0:1]
	v_fma_f64 v[12:13], v[2:3], v[14:15], v[12:13]
	v_mul_f64 v[14:15], v[12:13], s[6:7]
	v_cmp_nlt_f64_e32 vcc, s[26:27], v[12:13]
	v_cmp_ngt_f64_e64 s[0:1], s[30:31], v[12:13]
	v_rndne_f64_e32 v[14:15], v[14:15]
	v_fma_f64 v[16:17], v[14:15], s[8:9], v[12:13]
	v_fma_f64 v[16:17], v[14:15], s[10:11], v[16:17]
	v_cvt_i32_f64_e32 v14, v[14:15]
	v_fma_f64 v[18:19], v[16:17], s[12:13], v[10:11]
	v_fma_f64 v[18:19], v[16:17], v[18:19], s[14:15]
	;; [unrolled: 1-line block ×9, first 2 shown]
	v_fma_f64 v[18:19], v[16:17], v[18:19], 1.0
	v_fma_f64 v[16:17], v[16:17], v[18:19], 1.0
	v_mov_b32_e32 v18, 0x27eb86be
	v_mov_b32_e32 v19, 0xbead7bb9
	v_ldexp_f64 v[14:15], v[16:17], v14
	v_mov_b32_e32 v16, s3
	v_cndmask_b32_e32 v15, v1, v15, vcc
	s_and_b64 vcc, s[0:1], vcc
	v_cndmask_b32_e32 v12, 0, v14, vcc
	v_cndmask_b32_e64 v13, 0, v15, s[0:1]
	v_lshlrev_b64 v[14:15], 3, v[8:9]
	s_mov_b32 s0, 0xf9724745
	v_add_co_u32_e32 v14, vcc, s2, v14
	v_addc_co_u32_e32 v15, vcc, v16, v15, vcc
	global_store_dwordx2 v[14:15], v[12:13], off
	v_mov_b32_e32 v12, 0x69446738
	v_mov_b32_e32 v13, 0xc02aa06f
	s_mov_b32 s1, 0x408cdc8f
	v_fma_f64 v[12:13], v[6:7], s[0:1], v[12:13]
	s_mov_b32 s0, 0xc76d117b
	s_mov_b32 s1, 0x401aedd4
	v_mov_b32_e32 v14, 0xa7078f7d
	v_mov_b32_e32 v15, 0x3dd0852c
	v_add_u32_e32 v8, s33, v8
	v_lshlrev_b64 v[8:9], 3, v[8:9]
	v_fma_f64 v[12:13], v[4:5], s[0:1], v[12:13]
	s_mov_b32 s0, 0x38989306
	s_mov_b32 s1, 0xbce0f623
	v_fma_f64 v[14:15], v[2:3], s[0:1], v[14:15]
	s_mov_b32 s0, 0x2b6f9ec6
	s_mov_b32 s1, 0xbeabae8d
	v_fma_f64 v[14:15], v[2:3], v[14:15], s[0:1]
	s_mov_b32 s0, 0x85e6b455
	s_mov_b32 s1, 0x3f7e8843
	v_fma_f64 v[14:15], v[2:3], v[14:15], s[0:1]
	v_fma_f64 v[12:13], v[2:3], v[14:15], v[12:13]
	v_mul_f64 v[14:15], v[12:13], s[6:7]
	v_cmp_nlt_f64_e32 vcc, s[26:27], v[12:13]
	v_cmp_ngt_f64_e64 s[0:1], s[30:31], v[12:13]
	v_rndne_f64_e32 v[14:15], v[14:15]
	v_fma_f64 v[16:17], v[14:15], s[8:9], v[12:13]
	v_fma_f64 v[16:17], v[14:15], s[10:11], v[16:17]
	v_cvt_i32_f64_e32 v14, v[14:15]
	v_fma_f64 v[10:11], v[16:17], s[12:13], v[10:11]
	v_fma_f64 v[10:11], v[16:17], v[10:11], s[14:15]
	;; [unrolled: 1-line block ×9, first 2 shown]
	v_fma_f64 v[10:11], v[16:17], v[10:11], 1.0
	v_fma_f64 v[10:11], v[16:17], v[10:11], 1.0
	v_mov_b32_e32 v16, 0xbf2010ed
	v_mov_b32_e32 v17, 0x3f806a8e
	v_ldexp_f64 v[10:11], v[10:11], v14
	v_cndmask_b32_e32 v1, v1, v11, vcc
	s_and_b64 vcc, s[0:1], vcc
	v_cndmask_b32_e32 v10, 0, v10, vcc
	v_cndmask_b32_e64 v11, 0, v1, s[0:1]
	v_add_co_u32_e32 v8, vcc, s2, v8
	v_mov_b32_e32 v1, s3
	v_addc_co_u32_e32 v9, vcc, v1, v9, vcc
	s_mov_b32 s0, 0x3dd97f63
	global_store_dwordx2 v[8:9], v[10:11], off
	v_mov_b32_e32 v8, 0x225742e
	v_mov_b32_e32 v9, 0xc02f07d5
	s_mov_b32 s1, 0xc0bf2839
	v_fma_f64 v[6:7], v[6:7], s[0:1], v[8:9]
	s_mov_b32 s0, 0x274b9e64
	s_mov_b32 s1, 0x401ed6c8
	v_mov_b32_e32 v1, s33
	v_fma_f64 v[9:10], v[4:5], s[0:1], v[6:7]
	s_mov_b32 s0, 0x29f3eae
	v_mov_b32_e32 v4, 0xd869b103
	v_mov_b32_e32 v5, 0x3dd16223
	s_mov_b32 s1, 0xbce18091
	v_fma_f64 v[14:15], v[2:3], s[0:1], v[4:5]
.LBB28_4:
	s_or_b64 exec, exec, s[4:5]
	v_fma_f64 v[4:5], v[2:3], v[14:15], v[18:19]
	s_mov_b32 s0, 0x652b82fe
	s_mov_b32 s1, 0x3ff71547
	v_mov_b32_e32 v8, 0xfca7ab0c
	s_mov_b32 s4, 0
	s_mov_b32 s5, 0xc090cc00
	v_fma_f64 v[4:5], v[2:3], v[4:5], v[16:17]
	v_fma_f64 v[2:3], v[2:3], v[4:5], v[9:10]
	v_mov_b32_e32 v9, 0x3e928af3
	v_mul_f64 v[4:5], v[2:3], s[0:1]
	s_mov_b32 s0, 0xfefa39ef
	s_mov_b32 s1, 0xbfe62e42
	v_rndne_f64_e32 v[4:5], v[4:5]
	v_fma_f64 v[6:7], v[4:5], s[0:1], v[2:3]
	s_mov_b32 s0, 0x3b39803f
	s_mov_b32 s1, 0xbc7abc9e
	v_fma_f64 v[6:7], v[4:5], s[0:1], v[6:7]
	s_mov_b32 s0, 0x6a5dcb37
	s_mov_b32 s1, 0x3e5ade15
	v_cvt_i32_f64_e32 v4, v[4:5]
	v_fma_f64 v[8:9], v[6:7], s[0:1], v[8:9]
	s_mov_b32 s0, 0x623fde64
	s_mov_b32 s1, 0x3ec71dee
	v_fma_f64 v[8:9], v[6:7], v[8:9], s[0:1]
	s_mov_b32 s0, 0x7c89e6b0
	s_mov_b32 s1, 0x3efa0199
	;; [unrolled: 3-line block ×9, first 2 shown]
	v_cmp_nlt_f64_e32 vcc, s[0:1], v[2:3]
	v_cmp_ngt_f64_e64 s[0:1], s[4:5], v[2:3]
	v_mad_u64_u32 v[0:1], s[4:5], v1, 30, v[0:1]
	v_mov_b32_e32 v1, 0
	v_fma_f64 v[8:9], v[6:7], v[8:9], 1.0
	v_lshlrev_b64 v[0:1], 3, v[0:1]
	v_fma_f64 v[6:7], v[6:7], v[8:9], 1.0
	v_ldexp_f64 v[4:5], v[6:7], v4
	v_mov_b32_e32 v6, 0x7ff00000
	v_cndmask_b32_e32 v5, v6, v5, vcc
	s_and_b64 vcc, s[0:1], vcc
	v_mov_b32_e32 v6, s3
	v_cndmask_b32_e32 v2, 0, v4, vcc
	v_add_co_u32_e32 v0, vcc, s2, v0
	v_cndmask_b32_e64 v3, 0, v5, s[0:1]
	v_addc_co_u32_e32 v1, vcc, v6, v1, vcc
	global_store_dwordx2 v[0:1], v[2:3], off
	s_endpgm
	.section	.rodata,"a",@progbits
	.p2align	6, 0x0
	.amdhsa_kernel _Z12rdsmh_kernelIdEvPKT_PS0_S0_
		.amdhsa_group_segment_fixed_size 0
		.amdhsa_private_segment_fixed_size 0
		.amdhsa_kernarg_size 280
		.amdhsa_user_sgpr_count 6
		.amdhsa_user_sgpr_private_segment_buffer 1
		.amdhsa_user_sgpr_dispatch_ptr 0
		.amdhsa_user_sgpr_queue_ptr 0
		.amdhsa_user_sgpr_kernarg_segment_ptr 1
		.amdhsa_user_sgpr_dispatch_id 0
		.amdhsa_user_sgpr_flat_scratch_init 0
		.amdhsa_user_sgpr_private_segment_size 0
		.amdhsa_uses_dynamic_stack 0
		.amdhsa_system_sgpr_private_segment_wavefront_offset 0
		.amdhsa_system_sgpr_workgroup_id_x 1
		.amdhsa_system_sgpr_workgroup_id_y 0
		.amdhsa_system_sgpr_workgroup_id_z 0
		.amdhsa_system_sgpr_workgroup_info 0
		.amdhsa_system_vgpr_workitem_id 0
		.amdhsa_next_free_vgpr 23
		.amdhsa_next_free_sgpr 38
		.amdhsa_reserve_vcc 1
		.amdhsa_reserve_flat_scratch 0
		.amdhsa_float_round_mode_32 0
		.amdhsa_float_round_mode_16_64 0
		.amdhsa_float_denorm_mode_32 3
		.amdhsa_float_denorm_mode_16_64 3
		.amdhsa_dx10_clamp 1
		.amdhsa_ieee_mode 1
		.amdhsa_fp16_overflow 0
		.amdhsa_exception_fp_ieee_invalid_op 0
		.amdhsa_exception_fp_denorm_src 0
		.amdhsa_exception_fp_ieee_div_zero 0
		.amdhsa_exception_fp_ieee_overflow 0
		.amdhsa_exception_fp_ieee_underflow 0
		.amdhsa_exception_fp_ieee_inexact 0
		.amdhsa_exception_int_div_zero 0
	.end_amdhsa_kernel
	.section	.text._Z12rdsmh_kernelIdEvPKT_PS0_S0_,"axG",@progbits,_Z12rdsmh_kernelIdEvPKT_PS0_S0_,comdat
.Lfunc_end28:
	.size	_Z12rdsmh_kernelIdEvPKT_PS0_S0_, .Lfunc_end28-_Z12rdsmh_kernelIdEvPKT_PS0_S0_
                                        ; -- End function
	.set _Z12rdsmh_kernelIdEvPKT_PS0_S0_.num_vgpr, 23
	.set _Z12rdsmh_kernelIdEvPKT_PS0_S0_.num_agpr, 0
	.set _Z12rdsmh_kernelIdEvPKT_PS0_S0_.numbered_sgpr, 38
	.set _Z12rdsmh_kernelIdEvPKT_PS0_S0_.num_named_barrier, 0
	.set _Z12rdsmh_kernelIdEvPKT_PS0_S0_.private_seg_size, 0
	.set _Z12rdsmh_kernelIdEvPKT_PS0_S0_.uses_vcc, 1
	.set _Z12rdsmh_kernelIdEvPKT_PS0_S0_.uses_flat_scratch, 0
	.set _Z12rdsmh_kernelIdEvPKT_PS0_S0_.has_dyn_sized_stack, 0
	.set _Z12rdsmh_kernelIdEvPKT_PS0_S0_.has_recursion, 0
	.set _Z12rdsmh_kernelIdEvPKT_PS0_S0_.has_indirect_call, 0
	.section	.AMDGPU.csdata,"",@progbits
; Kernel info:
; codeLenInByte = 23456
; TotalNumSgprs: 42
; NumVgprs: 23
; ScratchSize: 0
; MemoryBound: 0
; FloatMode: 240
; IeeeMode: 1
; LDSByteSize: 0 bytes/workgroup (compile time only)
; SGPRBlocks: 5
; VGPRBlocks: 5
; NumSGPRsForWavesPerEU: 42
; NumVGPRsForWavesPerEU: 23
; Occupancy: 10
; WaveLimiterHint : 0
; COMPUTE_PGM_RSRC2:SCRATCH_EN: 0
; COMPUTE_PGM_RSRC2:USER_SGPR: 6
; COMPUTE_PGM_RSRC2:TRAP_HANDLER: 0
; COMPUTE_PGM_RSRC2:TGID_X_EN: 1
; COMPUTE_PGM_RSRC2:TGID_Y_EN: 0
; COMPUTE_PGM_RSRC2:TGID_Z_EN: 0
; COMPUTE_PGM_RSRC2:TIDIG_COMP_CNT: 0
	.section	.text._Z7gr_baseIdEvPKT_S2_S2_PS0_S0_S0_,"axG",@progbits,_Z7gr_baseIdEvPKT_S2_S2_PS0_S0_S0_,comdat
	.protected	_Z7gr_baseIdEvPKT_S2_S2_PS0_S0_S0_ ; -- Begin function _Z7gr_baseIdEvPKT_S2_S2_PS0_S0_S0_
	.globl	_Z7gr_baseIdEvPKT_S2_S2_PS0_S0_S0_
	.p2align	8
	.type	_Z7gr_baseIdEvPKT_S2_S2_PS0_S0_S0_,@function
_Z7gr_baseIdEvPKT_S2_S2_PS0_S0_S0_:     ; @_Z7gr_baseIdEvPKT_S2_S2_PS0_S0_S0_
; %bb.0:
	s_load_dwordx8 s[8:15], s[4:5], 0x0
	s_load_dwordx4 s[0:3], s[4:5], 0x20
	s_load_dword s7, s[4:5], 0x30
	s_load_dword s16, s[4:5], 0x3c
	v_mov_b32_e32 v1, 0
	s_waitcnt lgkmcnt(0)
	v_mov_b32_e32 v5, s11
	v_mov_b32_e32 v9, s13
	;; [unrolled: 1-line block ×3, first 2 shown]
	s_and_b32 s4, s16, 0xffff
	s_mul_i32 s6, s6, s4
	v_add_u32_e32 v0, s6, v0
	v_lshlrev_b64 v[2:3], 3, v[0:1]
	v_mov_b32_e32 v13, s13
	v_add_co_u32_e32 v4, vcc, s10, v2
	v_addc_co_u32_e32 v5, vcc, v5, v3, vcc
	global_load_dwordx2 v[4:5], v[4:5], off
	v_mov_b32_e32 v16, s15
	v_mov_b32_e32 v18, s15
	;; [unrolled: 1-line block ×17, first 2 shown]
	s_waitcnt vmcnt(0)
	v_mul_f64 v[6:7], s[0:1], v[4:5]
	v_add_co_u32_e32 v4, vcc, s8, v2
	v_mov_b32_e32 v5, s9
	v_addc_co_u32_e32 v5, vcc, v5, v3, vcc
	v_add_co_u32_e32 v8, vcc, s12, v2
	v_addc_co_u32_e32 v9, vcc, v9, v3, vcc
	global_load_dwordx2 v[8:9], v[8:9], off
	s_mov_b32 s0, 0xe83f553c
	global_load_dwordx2 v[4:5], v[4:5], off
	s_mov_b32 s1, 0x3fdfbf39
	v_add_co_u32_e32 v2, vcc, s14, v2
	v_addc_co_u32_e32 v3, vcc, v12, v3, vcc
	s_waitcnt vmcnt(1)
	v_mul_f64 v[10:11], v[8:9], s[0:1]
	s_waitcnt vmcnt(0)
	v_mul_f64 v[4:5], s[2:3], v[4:5]
	s_mul_i32 s2, s7, s4
	v_add_u32_e32 v0, s2, v0
	s_mul_i32 s3, s2, 0xffffffed
	global_store_dwordx2 v[2:3], v[10:11], off
	v_fma_f64 v[10:11], v[8:9], s[0:1], 0
	v_lshlrev_b64 v[8:9], 3, v[0:1]
	s_mov_b32 s0, 0xe8c8c59b
	v_add_co_u32_e32 v12, vcc, s12, v8
	v_addc_co_u32_e32 v13, vcc, v13, v9, vcc
	global_load_dwordx2 v[12:13], v[12:13], off
	s_mov_b32 s1, 0x3fefbf39
	v_add_u32_e32 v0, s2, v0
	v_add_co_u32_e32 v8, vcc, s14, v8
	v_addc_co_u32_e32 v9, vcc, v16, v9, vcc
	s_waitcnt vmcnt(0)
	v_mul_f64 v[14:15], v[12:13], s[0:1]
	v_fma_f64 v[10:11], v[12:13], s[0:1], v[10:11]
	v_lshlrev_b64 v[12:13], 3, v[0:1]
	s_mov_b32 s0, 0x506598ed
	s_mov_b32 s1, 0x3fb00027
	v_add_u32_e32 v0, s2, v0
	global_store_dwordx2 v[8:9], v[14:15], off
	v_add_co_u32_e32 v14, vcc, s12, v12
	v_mov_b32_e32 v15, s13
	v_addc_co_u32_e32 v15, vcc, v15, v13, vcc
	global_load_dwordx2 v[14:15], v[14:15], off
	v_add_co_u32_e32 v12, vcc, s14, v12
	v_addc_co_u32_e32 v13, vcc, v18, v13, vcc
	s_waitcnt vmcnt(0)
	v_mul_f64 v[16:17], v[14:15], s[0:1]
	global_store_dwordx2 v[12:13], v[16:17], off
	v_fma_f64 v[12:13], v[14:15], s[0:1], v[10:11]
	v_lshlrev_b64 v[10:11], 3, v[0:1]
	v_mov_b32_e32 v15, s13
	v_add_co_u32_e32 v14, vcc, s12, v10
	v_addc_co_u32_e32 v15, vcc, v15, v11, vcc
	global_load_dwordx2 v[14:15], v[14:15], off
	s_mov_b32 s0, 0x4ff7a56e
	s_mov_b32 s1, 0x3fa00027
	v_add_u32_e32 v0, s2, v0
	v_add_co_u32_e32 v10, vcc, s14, v10
	v_addc_co_u32_e32 v11, vcc, v18, v11, vcc
	s_waitcnt vmcnt(0)
	v_mul_f64 v[16:17], v[14:15], s[0:1]
	v_fma_f64 v[12:13], v[14:15], s[0:1], v[12:13]
	v_lshlrev_b64 v[14:15], 3, v[0:1]
	s_mov_b32 s0, 0xc7228985
	s_mov_b32 s1, 0x3fae1ac6
	v_add_u32_e32 v0, s2, v0
	global_store_dwordx2 v[10:11], v[16:17], off
	v_add_co_u32_e32 v16, vcc, s12, v14
	v_mov_b32_e32 v17, s13
	v_addc_co_u32_e32 v17, vcc, v17, v15, vcc
	global_load_dwordx2 v[16:17], v[16:17], off
	v_add_co_u32_e32 v14, vcc, s14, v14
	v_addc_co_u32_e32 v15, vcc, v20, v15, vcc
	s_waitcnt vmcnt(0)
	v_mul_f64 v[18:19], v[16:17], s[0:1]
	global_store_dwordx2 v[14:15], v[18:19], off
	v_fma_f64 v[14:15], v[16:17], s[0:1], v[12:13]
	v_lshlrev_b64 v[12:13], 3, v[0:1]
	v_mov_b32_e32 v17, s13
	v_add_co_u32_e32 v16, vcc, s12, v12
	v_addc_co_u32_e32 v17, vcc, v17, v13, vcc
	global_load_dwordx2 v[16:17], v[16:17], off
	s_mov_b32 s0, 0xcbf5178c
	s_mov_b32 s1, 0x3fac6b93
	v_add_u32_e32 v0, s2, v0
	v_add_co_u32_e32 v12, vcc, s14, v12
	v_addc_co_u32_e32 v13, vcc, v20, v13, vcc
	s_waitcnt vmcnt(0)
	v_mul_f64 v[18:19], v[16:17], s[0:1]
	v_fma_f64 v[16:17], v[16:17], s[0:1], v[14:15]
	v_lshlrev_b64 v[14:15], 3, v[0:1]
	s_mov_b32 s0, 0xcf851840
	s_mov_b32 s1, 0x3f9f0620
	v_add_u32_e32 v0, s2, v0
	global_store_dwordx2 v[12:13], v[18:19], off
	v_add_co_u32_e32 v18, vcc, s12, v14
	v_mov_b32_e32 v19, s13
	v_addc_co_u32_e32 v19, vcc, v19, v15, vcc
	global_load_dwordx2 v[18:19], v[18:19], off
	v_add_co_u32_e32 v14, vcc, s14, v14
	v_addc_co_u32_e32 v15, vcc, v22, v15, vcc
	s_waitcnt vmcnt(0)
	v_mul_f64 v[20:21], v[18:19], s[0:1]
	v_fma_f64 v[18:19], v[18:19], s[0:1], v[16:17]
	v_lshlrev_b64 v[16:17], 3, v[0:1]
	s_mov_b32 s0, 0xc7fe7084
	s_mov_b32 s1, 0x3f9e1ac6
	v_add_u32_e32 v0, s2, v0
	global_store_dwordx2 v[14:15], v[20:21], off
	v_add_co_u32_e32 v20, vcc, s12, v16
	v_mov_b32_e32 v21, s13
	v_addc_co_u32_e32 v21, vcc, v21, v17, vcc
	global_load_dwordx2 v[20:21], v[20:21], off
	;; [unrolled: 14-line block ×3, first 2 shown]
	v_add_co_u32_e32 v20, vcc, s14, v20
	v_addc_co_u32_e32 v21, vcc, v26, v21, vcc
	s_waitcnt vmcnt(0)
	v_mul_f64 v[24:25], v[22:23], s[0:1]
	global_store_dwordx2 v[20:21], v[24:25], off
	v_fma_f64 v[20:21], v[22:23], s[0:1], v[18:19]
	v_lshlrev_b64 v[18:19], 3, v[0:1]
	v_mov_b32_e32 v23, s13
	v_add_co_u32_e32 v22, vcc, s12, v18
	v_addc_co_u32_e32 v23, vcc, v23, v19, vcc
	global_load_dwordx2 v[22:23], v[22:23], off
	s_mov_b32 s0, 0x10dda145
	s_mov_b32 s1, 0x3fafea07
	v_add_u32_e32 v0, s2, v0
	v_add_co_u32_e32 v18, vcc, s14, v18
	v_addc_co_u32_e32 v19, vcc, v26, v19, vcc
	s_waitcnt vmcnt(0)
	v_mul_f64 v[24:25], v[22:23], s[0:1]
	v_fma_f64 v[22:23], v[22:23], s[0:1], v[20:21]
	v_lshlrev_b64 v[20:21], 3, v[0:1]
	s_mov_b32 s0, 0x30a51704
	s_mov_b32 s1, 0x3fa24761
	v_add_u32_e32 v0, s2, v0
	global_store_dwordx2 v[18:19], v[24:25], off
	v_add_co_u32_e32 v24, vcc, s12, v20
	v_mov_b32_e32 v25, s13
	v_addc_co_u32_e32 v25, vcc, v25, v21, vcc
	global_load_dwordx2 v[24:25], v[24:25], off
	v_add_co_u32_e32 v20, vcc, s14, v20
	v_addc_co_u32_e32 v21, vcc, v28, v21, vcc
	s_waitcnt vmcnt(0)
	v_mul_f64 v[26:27], v[24:25], s[0:1]
	v_fma_f64 v[24:25], v[24:25], s[0:1], v[22:23]
	v_lshlrev_b64 v[22:23], 3, v[0:1]
	s_mov_b32 s0, 0x9b6b579c
	s_mov_b32 s1, 0x3f974478
	v_add_u32_e32 v0, s2, v0
	global_store_dwordx2 v[20:21], v[26:27], off
	v_add_co_u32_e32 v26, vcc, s12, v22
	v_mov_b32_e32 v27, s13
	v_addc_co_u32_e32 v27, vcc, v27, v23, vcc
	global_load_dwordx2 v[26:27], v[26:27], off
	;; [unrolled: 14-line block ×6, first 2 shown]
	v_add_co_u32_e32 v30, vcc, s14, v30
	v_addc_co_u32_e32 v31, vcc, v38, v31, vcc
	v_lshlrev_b64 v[38:39], 3, v[0:1]
	v_add_u32_e32 v0, s2, v0
	s_waitcnt vmcnt(0)
	v_mul_f64 v[36:37], v[34:35], s[0:1]
	v_fma_f64 v[32:33], v[34:35], s[0:1], v[32:33]
	v_add_co_u32_e32 v34, vcc, s12, v38
	v_mov_b32_e32 v35, s13
	v_addc_co_u32_e32 v35, vcc, v35, v39, vcc
	s_mov_b32 s0, 0xe6c0cffb
	global_store_dwordx2 v[30:31], v[36:37], off
	global_load_dwordx2 v[34:35], v[34:35], off
	s_mov_b32 s1, 0x3f98f521
	v_add_co_u32_e32 v38, vcc, s14, v38
	v_addc_co_u32_e32 v39, vcc, v40, v39, vcc
	s_waitcnt vmcnt(0)
	v_mul_f64 v[36:37], v[34:35], s[0:1]
	v_fma_f64 v[34:35], v[34:35], s[0:1], v[32:33]
	v_lshlrev_b64 v[32:33], 3, v[0:1]
	s_mov_b32 s0, 0x63267548
	s_mov_b32 s1, 0x3f985bef
	v_add_u32_e32 v0, s2, v0
	global_store_dwordx2 v[38:39], v[36:37], off
	v_add_co_u32_e32 v36, vcc, s12, v32
	v_mov_b32_e32 v37, s13
	v_addc_co_u32_e32 v37, vcc, v37, v33, vcc
	global_load_dwordx2 v[36:37], v[36:37], off
	v_add_co_u32_e32 v32, vcc, s14, v32
	v_addc_co_u32_e32 v33, vcc, v40, v33, vcc
	s_waitcnt vmcnt(0)
	v_mul_f64 v[38:39], v[36:37], s[0:1]
	v_fma_f64 v[36:37], v[36:37], s[0:1], v[34:35]
	v_lshlrev_b64 v[34:35], 3, v[0:1]
	s_mov_b32 s0, 0x68cc11ff
	s_mov_b32 s1, 0x3f973e92
	v_add_u32_e32 v0, s2, v0
	global_store_dwordx2 v[32:33], v[38:39], off
	v_add_co_u32_e32 v38, vcc, s12, v34
	v_mov_b32_e32 v39, s13
	v_addc_co_u32_e32 v39, vcc, v39, v35, vcc
	global_load_dwordx2 v[38:39], v[38:39], off
	;; [unrolled: 14-line block ×5, first 2 shown]
	v_add_co_u32_e32 v40, vcc, s14, v40
	v_addc_co_u32_e32 v41, vcc, v48, v41, vcc
	s_waitcnt vmcnt(0)
	v_fma_f64 v[42:43], v[44:45], s[0:1], v[42:43]
	v_mul_f64 v[46:47], v[44:45], s[0:1]
	s_brev_b32 s0, 12
	s_mov_b32 s1, 0x4193d2c6
	v_mul_f64 v[6:7], v[6:7], v[42:43]
	global_store_dwordx2 v[40:41], v[46:47], off
	v_mul_f64 v[6:7], v[6:7], s[0:1]
	v_div_scale_f64 v[42:43], s[0:1], v[6:7], v[6:7], 1.0
	s_mov_b32 s0, 0
	s_mov_b32 s1, 0x38100000
	v_rcp_f64_e32 v[44:45], v[42:43]
	v_fma_f64 v[46:47], -v[42:43], v[44:45], 1.0
	v_fma_f64 v[44:45], v[44:45], v[46:47], v[44:45]
	v_fma_f64 v[46:47], -v[42:43], v[44:45], 1.0
	v_fma_f64 v[44:45], v[44:45], v[46:47], v[44:45]
	v_div_scale_f64 v[46:47], vcc, 1.0, v[6:7], 1.0
	v_mul_f64 v[48:49], v[46:47], v[44:45]
	v_fma_f64 v[42:43], -v[42:43], v[48:49], v[46:47]
	s_nop 1
	v_div_fmas_f64 v[42:43], v[42:43], v[44:45], v[48:49]
	v_div_fixup_f64 v[6:7], v[42:43], v[6:7], 1.0
	v_mul_f64 v[4:5], v[4:5], v[6:7]
	global_load_dwordx2 v[6:7], v[2:3], off
	s_waitcnt vmcnt(0)
	v_max_f64 v[6:7], v[6:7], v[6:7]
	v_max_f64 v[6:7], v[6:7], s[0:1]
	v_mul_f64 v[6:7], v[4:5], v[6:7]
	global_store_dwordx2 v[2:3], v[6:7], off
	global_load_dwordx2 v[2:3], v[8:9], off
	v_mov_b32_e32 v6, s15
	s_waitcnt vmcnt(0)
	v_max_f64 v[2:3], v[2:3], v[2:3]
	v_max_f64 v[2:3], v[2:3], s[0:1]
	v_mul_f64 v[2:3], v[4:5], v[2:3]
	global_store_dwordx2 v[8:9], v[2:3], off
	v_lshlrev_b64 v[2:3], 3, v[0:1]
	v_lshl_add_u32 v0, s2, 1, v0
	v_add_co_u32_e32 v2, vcc, s14, v2
	v_addc_co_u32_e32 v3, vcc, v6, v3, vcc
	global_load_dwordx2 v[6:7], v[2:3], off
	s_waitcnt vmcnt(0)
	v_max_f64 v[6:7], v[6:7], v[6:7]
	v_max_f64 v[6:7], v[6:7], s[0:1]
	v_mul_f64 v[6:7], v[4:5], v[6:7]
	global_store_dwordx2 v[2:3], v[6:7], off
	global_load_dwordx2 v[2:3], v[10:11], off
	v_mov_b32_e32 v6, s15
	s_waitcnt vmcnt(0)
	v_max_f64 v[2:3], v[2:3], v[2:3]
	v_max_f64 v[2:3], v[2:3], s[0:1]
	v_mul_f64 v[2:3], v[4:5], v[2:3]
	global_store_dwordx2 v[10:11], v[2:3], off
	v_lshlrev_b64 v[2:3], 3, v[0:1]
	v_lshl_add_u32 v0, s2, 2, v0
	v_add_co_u32_e32 v2, vcc, s14, v2
	v_addc_co_u32_e32 v3, vcc, v6, v3, vcc
	global_load_dwordx2 v[6:7], v[2:3], off
	s_waitcnt vmcnt(0)
	v_max_f64 v[6:7], v[6:7], v[6:7]
	v_max_f64 v[6:7], v[6:7], s[0:1]
	v_mul_f64 v[6:7], v[4:5], v[6:7]
	global_store_dwordx2 v[2:3], v[6:7], off
	global_load_dwordx2 v[2:3], v[12:13], off
	v_mov_b32_e32 v6, s15
	s_waitcnt vmcnt(0)
	v_max_f64 v[2:3], v[2:3], v[2:3]
	v_max_f64 v[2:3], v[2:3], s[0:1]
	v_mul_f64 v[2:3], v[4:5], v[2:3]
	global_store_dwordx2 v[12:13], v[2:3], off
	global_load_dwordx2 v[2:3], v[14:15], off
	s_waitcnt vmcnt(0)
	v_max_f64 v[2:3], v[2:3], v[2:3]
	v_max_f64 v[2:3], v[2:3], s[0:1]
	v_mul_f64 v[2:3], v[4:5], v[2:3]
	global_store_dwordx2 v[14:15], v[2:3], off
	global_load_dwordx2 v[2:3], v[16:17], off
	s_waitcnt vmcnt(0)
	v_max_f64 v[2:3], v[2:3], v[2:3]
	v_max_f64 v[2:3], v[2:3], s[0:1]
	v_mul_f64 v[2:3], v[4:5], v[2:3]
	global_store_dwordx2 v[16:17], v[2:3], off
	v_lshlrev_b64 v[2:3], 3, v[0:1]
	v_lshl_add_u32 v0, s2, 3, v0
	v_add_co_u32_e32 v2, vcc, s14, v2
	v_addc_co_u32_e32 v3, vcc, v6, v3, vcc
	global_load_dwordx2 v[6:7], v[2:3], off
	v_lshlrev_b64 v[0:1], 3, v[0:1]
	v_add_co_u32_e32 v0, vcc, s14, v0
	s_waitcnt vmcnt(0)
	v_max_f64 v[6:7], v[6:7], v[6:7]
	v_max_f64 v[6:7], v[6:7], s[0:1]
	v_mul_f64 v[6:7], v[4:5], v[6:7]
	global_store_dwordx2 v[2:3], v[6:7], off
	global_load_dwordx2 v[2:3], v[18:19], off
	s_waitcnt vmcnt(0)
	v_max_f64 v[2:3], v[2:3], v[2:3]
	v_max_f64 v[2:3], v[2:3], s[0:1]
	v_mul_f64 v[2:3], v[4:5], v[2:3]
	global_store_dwordx2 v[18:19], v[2:3], off
	global_load_dwordx2 v[2:3], v[20:21], off
	;; [unrolled: 6-line block ×7, first 2 shown]
	s_waitcnt vmcnt(0)
	v_max_f64 v[2:3], v[2:3], v[2:3]
	v_max_f64 v[2:3], v[2:3], s[0:1]
	v_mul_f64 v[2:3], v[4:5], v[2:3]
	global_store_dwordx2 v[30:31], v[2:3], off
	v_mov_b32_e32 v2, s15
	v_addc_co_u32_e32 v1, vcc, v2, v1, vcc
	global_load_dwordx2 v[2:3], v[0:1], off
	s_waitcnt vmcnt(0)
	v_max_f64 v[2:3], v[2:3], v[2:3]
	v_max_f64 v[2:3], v[2:3], s[0:1]
	v_mul_f64 v[2:3], v[4:5], v[2:3]
	global_store_dwordx2 v[0:1], v[2:3], off
	global_load_dwordx2 v[0:1], v[32:33], off
	s_waitcnt vmcnt(0)
	v_max_f64 v[0:1], v[0:1], v[0:1]
	v_max_f64 v[0:1], v[0:1], s[0:1]
	v_mul_f64 v[0:1], v[4:5], v[0:1]
	global_store_dwordx2 v[32:33], v[0:1], off
	;; [unrolled: 6-line block ×6, first 2 shown]
	s_endpgm
	.section	.rodata,"a",@progbits
	.p2align	6, 0x0
	.amdhsa_kernel _Z7gr_baseIdEvPKT_S2_S2_PS0_S0_S0_
		.amdhsa_group_segment_fixed_size 0
		.amdhsa_private_segment_fixed_size 0
		.amdhsa_kernarg_size 304
		.amdhsa_user_sgpr_count 6
		.amdhsa_user_sgpr_private_segment_buffer 1
		.amdhsa_user_sgpr_dispatch_ptr 0
		.amdhsa_user_sgpr_queue_ptr 0
		.amdhsa_user_sgpr_kernarg_segment_ptr 1
		.amdhsa_user_sgpr_dispatch_id 0
		.amdhsa_user_sgpr_flat_scratch_init 0
		.amdhsa_user_sgpr_private_segment_size 0
		.amdhsa_uses_dynamic_stack 0
		.amdhsa_system_sgpr_private_segment_wavefront_offset 0
		.amdhsa_system_sgpr_workgroup_id_x 1
		.amdhsa_system_sgpr_workgroup_id_y 0
		.amdhsa_system_sgpr_workgroup_id_z 0
		.amdhsa_system_sgpr_workgroup_info 0
		.amdhsa_system_vgpr_workitem_id 0
		.amdhsa_next_free_vgpr 50
		.amdhsa_next_free_sgpr 17
		.amdhsa_reserve_vcc 1
		.amdhsa_reserve_flat_scratch 0
		.amdhsa_float_round_mode_32 0
		.amdhsa_float_round_mode_16_64 0
		.amdhsa_float_denorm_mode_32 3
		.amdhsa_float_denorm_mode_16_64 3
		.amdhsa_dx10_clamp 1
		.amdhsa_ieee_mode 1
		.amdhsa_fp16_overflow 0
		.amdhsa_exception_fp_ieee_invalid_op 0
		.amdhsa_exception_fp_denorm_src 0
		.amdhsa_exception_fp_ieee_div_zero 0
		.amdhsa_exception_fp_ieee_overflow 0
		.amdhsa_exception_fp_ieee_underflow 0
		.amdhsa_exception_fp_ieee_inexact 0
		.amdhsa_exception_int_div_zero 0
	.end_amdhsa_kernel
	.section	.text._Z7gr_baseIdEvPKT_S2_S2_PS0_S0_S0_,"axG",@progbits,_Z7gr_baseIdEvPKT_S2_S2_PS0_S0_S0_,comdat
.Lfunc_end29:
	.size	_Z7gr_baseIdEvPKT_S2_S2_PS0_S0_S0_, .Lfunc_end29-_Z7gr_baseIdEvPKT_S2_S2_PS0_S0_S0_
                                        ; -- End function
	.set _Z7gr_baseIdEvPKT_S2_S2_PS0_S0_S0_.num_vgpr, 50
	.set _Z7gr_baseIdEvPKT_S2_S2_PS0_S0_S0_.num_agpr, 0
	.set _Z7gr_baseIdEvPKT_S2_S2_PS0_S0_S0_.numbered_sgpr, 17
	.set _Z7gr_baseIdEvPKT_S2_S2_PS0_S0_S0_.num_named_barrier, 0
	.set _Z7gr_baseIdEvPKT_S2_S2_PS0_S0_S0_.private_seg_size, 0
	.set _Z7gr_baseIdEvPKT_S2_S2_PS0_S0_S0_.uses_vcc, 1
	.set _Z7gr_baseIdEvPKT_S2_S2_PS0_S0_S0_.uses_flat_scratch, 0
	.set _Z7gr_baseIdEvPKT_S2_S2_PS0_S0_S0_.has_dyn_sized_stack, 0
	.set _Z7gr_baseIdEvPKT_S2_S2_PS0_S0_S0_.has_recursion, 0
	.set _Z7gr_baseIdEvPKT_S2_S2_PS0_S0_S0_.has_indirect_call, 0
	.section	.AMDGPU.csdata,"",@progbits
; Kernel info:
; codeLenInByte = 3264
; TotalNumSgprs: 21
; NumVgprs: 50
; ScratchSize: 0
; MemoryBound: 1
; FloatMode: 240
; IeeeMode: 1
; LDSByteSize: 0 bytes/workgroup (compile time only)
; SGPRBlocks: 2
; VGPRBlocks: 12
; NumSGPRsForWavesPerEU: 21
; NumVGPRsForWavesPerEU: 50
; Occupancy: 4
; WaveLimiterHint : 1
; COMPUTE_PGM_RSRC2:SCRATCH_EN: 0
; COMPUTE_PGM_RSRC2:USER_SGPR: 6
; COMPUTE_PGM_RSRC2:TRAP_HANDLER: 0
; COMPUTE_PGM_RSRC2:TGID_X_EN: 1
; COMPUTE_PGM_RSRC2:TGID_Y_EN: 0
; COMPUTE_PGM_RSRC2:TGID_Z_EN: 0
; COMPUTE_PGM_RSRC2:TIDIG_COMP_CNT: 0
	.section	.text._Z12ratt2_kernelIdEvPKT_S2_PS0_S2_S0_,"axG",@progbits,_Z12ratt2_kernelIdEvPKT_S2_PS0_S2_S0_,comdat
	.protected	_Z12ratt2_kernelIdEvPKT_S2_PS0_S2_S0_ ; -- Begin function _Z12ratt2_kernelIdEvPKT_S2_PS0_S2_S0_
	.globl	_Z12ratt2_kernelIdEvPKT_S2_PS0_S2_S0_
	.p2align	8
	.type	_Z12ratt2_kernelIdEvPKT_S2_PS0_S2_S0_,@function
_Z12ratt2_kernelIdEvPKT_S2_PS0_S2_S0_:  ; @_Z12ratt2_kernelIdEvPKT_S2_PS0_S2_S0_
; %bb.0:
	s_load_dwordx8 s[8:15], s[4:5], 0x0
	s_load_dwordx2 s[0:1], s[4:5], 0x20
	s_load_dword s2, s[4:5], 0x28
	s_load_dword s3, s[4:5], 0x34
	v_mov_b32_e32 v1, 0
	s_waitcnt lgkmcnt(0)
	v_mov_b32_e32 v3, s9
	v_mov_b32_e32 v40, s15
	s_and_b32 s3, s3, 0xffff
	s_mul_i32 s6, s6, s3
	v_add_u32_e32 v0, s6, v0
	v_lshlrev_b64 v[4:5], 3, v[0:1]
	s_mul_i32 s2, s2, s3
	v_add_co_u32_e32 v2, vcc, s8, v4
	v_addc_co_u32_e32 v3, vcc, v3, v5, vcc
	global_load_dwordx2 v[2:3], v[2:3], off
	s_waitcnt vmcnt(0)
	v_mul_f64 v[2:3], s[0:1], v[2:3]
	s_brev_b32 s0, 12
	s_mov_b32 s1, 0x4193d2c6
	v_mul_f64 v[2:3], v[2:3], s[0:1]
	v_div_scale_f64 v[6:7], s[0:1], v[2:3], v[2:3], 1.0
	s_mov_b32 s0, 0
	s_mov_b32 s1, 0x412eec04
	v_rcp_f64_e32 v[8:9], v[6:7]
	v_fma_f64 v[10:11], -v[6:7], v[8:9], 1.0
	v_fma_f64 v[8:9], v[8:9], v[10:11], v[8:9]
	v_fma_f64 v[10:11], -v[6:7], v[8:9], 1.0
	v_fma_f64 v[8:9], v[8:9], v[10:11], v[8:9]
	v_div_scale_f64 v[10:11], vcc, 1.0, v[2:3], 1.0
	v_mul_f64 v[12:13], v[10:11], v[8:9]
	v_fma_f64 v[6:7], -v[6:7], v[12:13], v[10:11]
	s_nop 1
	v_div_fmas_f64 v[6:7], v[6:7], v[8:9], v[12:13]
	v_div_fixup_f64 v[2:3], v[6:7], v[2:3], 1.0
	v_mul_f64 v[14:15], v[2:3], s[0:1]
	v_add_u32_e32 v2, s2, v0
	v_mov_b32_e32 v3, v1
	v_lshlrev_b64 v[8:9], 3, v[2:3]
	s_lshl_b32 s0, s2, 1
	v_add_u32_e32 v2, s0, v2
	v_add_co_u32_e32 v16, vcc, s14, v8
	v_lshlrev_b64 v[28:29], 3, v[2:3]
	v_addc_co_u32_e32 v17, vcc, v40, v9, vcc
	v_add_u32_e32 v0, s0, v0
	v_add_co_u32_e32 v6, vcc, s14, v28
	v_lshlrev_b64 v[34:35], 3, v[0:1]
	v_addc_co_u32_e32 v7, vcc, v40, v29, vcc
	;; [unrolled: 4-line block ×3, first 2 shown]
	v_add_co_u32_e32 v12, vcc, s14, v30
	v_addc_co_u32_e32 v13, vcc, v40, v31, vcc
	global_load_dwordx2 v[20:21], v[6:7], off
	global_load_dwordx2 v[24:25], v[10:11], off
	;; [unrolled: 1-line block ×4, first 2 shown]
	v_add_u32_e32 v0, s2, v0
	global_load_dwordx2 v[10:11], v[10:11], off
	s_waitcnt vmcnt(2)
	v_mul_f64 v[22:23], v[24:25], v[26:27]
	s_waitcnt vmcnt(1)
	v_mul_f64 v[2:3], v[18:19], v[20:21]
	global_load_dwordx2 v[16:17], v[16:17], off
	v_div_scale_f64 v[32:33], s[0:1], v[22:23], v[22:23], 1.0
	s_mov_b32 s0, 0x4357691b
	s_mov_b32 s1, 0x479e17b8
	global_load_dwordx2 v[6:7], v[6:7], off
	v_rcp_f64_e32 v[36:37], v[32:33]
	global_load_dwordx2 v[12:13], v[12:13], off
	v_fma_f64 v[38:39], -v[32:33], v[36:37], 1.0
	v_fma_f64 v[36:37], v[36:37], v[38:39], v[36:37]
	v_fma_f64 v[38:39], -v[32:33], v[36:37], 1.0
	v_fma_f64 v[36:37], v[36:37], v[38:39], v[36:37]
	v_div_scale_f64 v[38:39], vcc, 1.0, v[22:23], 1.0
	v_mul_f64 v[41:42], v[38:39], v[36:37]
	v_fma_f64 v[32:33], -v[32:33], v[41:42], v[38:39]
	v_mov_b32_e32 v39, s11
	v_mov_b32_e32 v38, s13
	v_div_fmas_f64 v[32:33], v[32:33], v[36:37], v[41:42]
	v_div_fixup_f64 v[22:23], v[32:33], v[22:23], 1.0
	v_add_co_u32_e32 v32, vcc, s10, v4
	v_addc_co_u32_e32 v33, vcc, v39, v5, vcc
	global_load_dwordx2 v[32:33], v[32:33], off
	v_mul_f64 v[22:23], v[2:3], v[22:23]
	v_min_f64 v[22:23], v[22:23], s[0:1]
	s_waitcnt vmcnt(0)
	v_mul_f64 v[22:23], v[32:33], v[22:23]
	v_add_co_u32_e32 v32, vcc, s12, v4
	v_addc_co_u32_e32 v33, vcc, v38, v5, vcc
	v_add_co_u32_e32 v4, vcc, s14, v4
	v_addc_co_u32_e32 v5, vcc, v40, v5, vcc
	global_store_dwordx2 v[32:33], v[22:23], off
	v_mul_f64 v[32:33], v[18:19], v[26:27]
	global_load_dwordx2 v[22:23], v[4:5], off
	v_div_scale_f64 v[41:42], s[4:5], v[32:33], v[32:33], 1.0
	global_load_dwordx2 v[4:5], v[4:5], off
	v_rcp_f64_e32 v[43:44], v[41:42]
	v_fma_f64 v[45:46], -v[41:42], v[43:44], 1.0
	v_fma_f64 v[43:44], v[43:44], v[45:46], v[43:44]
	v_fma_f64 v[45:46], -v[41:42], v[43:44], 1.0
	v_fma_f64 v[43:44], v[43:44], v[45:46], v[43:44]
	v_div_scale_f64 v[45:46], vcc, 1.0, v[32:33], 1.0
	v_mul_f64 v[47:48], v[45:46], v[43:44]
	s_waitcnt vmcnt(1)
	v_mul_f64 v[36:37], v[24:25], v[22:23]
	v_fma_f64 v[41:42], -v[41:42], v[47:48], v[45:46]
	v_div_fmas_f64 v[41:42], v[41:42], v[43:44], v[47:48]
	v_div_fixup_f64 v[41:42], v[41:42], v[32:33], 1.0
	v_mul_f64 v[32:33], v[14:15], v[32:33]
	v_mul_f64 v[36:37], v[41:42], v[36:37]
	v_add_co_u32_e32 v41, vcc, s10, v8
	v_addc_co_u32_e32 v42, vcc, v39, v9, vcc
	global_load_dwordx2 v[41:42], v[41:42], off
	v_add_co_u32_e32 v8, vcc, s12, v8
	v_min_f64 v[36:37], v[36:37], s[0:1]
	v_addc_co_u32_e32 v9, vcc, v38, v9, vcc
	s_waitcnt vmcnt(0)
	v_mul_f64 v[36:37], v[41:42], v[36:37]
	v_lshlrev_b64 v[41:42], 3, v[0:1]
	v_add_u32_e32 v0, s2, v0
	global_store_dwordx2 v[8:9], v[36:37], off
	v_add_co_u32_e32 v8, vcc, s14, v41
	v_addc_co_u32_e32 v9, vcc, v40, v42, vcc
	global_load_dwordx2 v[43:44], v[8:9], off
	v_mul_f64 v[36:37], v[26:27], v[22:23]
	global_load_dwordx2 v[8:9], v[8:9], off
	s_waitcnt vmcnt(1)
	v_mul_f64 v[45:46], v[18:19], v[43:44]
	v_div_scale_f64 v[47:48], s[4:5], v[45:46], v[45:46], 1.0
	v_rcp_f64_e32 v[49:50], v[47:48]
	v_fma_f64 v[51:52], -v[47:48], v[49:50], 1.0
	v_fma_f64 v[49:50], v[49:50], v[51:52], v[49:50]
	v_fma_f64 v[51:52], -v[47:48], v[49:50], 1.0
	v_fma_f64 v[49:50], v[49:50], v[51:52], v[49:50]
	v_div_scale_f64 v[51:52], vcc, 1.0, v[45:46], 1.0
	v_mul_f64 v[53:54], v[51:52], v[49:50]
	v_fma_f64 v[47:48], -v[47:48], v[53:54], v[51:52]
	s_nop 1
	v_div_fmas_f64 v[47:48], v[47:48], v[49:50], v[53:54]
	v_div_fixup_f64 v[45:46], v[47:48], v[45:46], 1.0
	v_mul_f64 v[36:37], v[36:37], v[45:46]
	v_add_co_u32_e32 v45, vcc, s10, v34
	v_addc_co_u32_e32 v46, vcc, v39, v35, vcc
	global_load_dwordx2 v[45:46], v[45:46], off
	v_add_co_u32_e32 v34, vcc, s12, v34
	v_min_f64 v[36:37], v[36:37], s[0:1]
	v_addc_co_u32_e32 v35, vcc, v38, v35, vcc
	s_waitcnt vmcnt(0)
	v_mul_f64 v[36:37], v[45:46], v[36:37]
	global_store_dwordx2 v[34:35], v[36:37], off
	v_mul_f64 v[34:35], v[24:25], v[43:44]
	v_mul_f64 v[36:37], v[26:27], v[26:27]
	v_div_scale_f64 v[45:46], s[4:5], v[34:35], v[34:35], 1.0
	v_rcp_f64_e32 v[47:48], v[45:46]
	v_fma_f64 v[49:50], -v[45:46], v[47:48], 1.0
	v_fma_f64 v[47:48], v[47:48], v[49:50], v[47:48]
	v_fma_f64 v[49:50], -v[45:46], v[47:48], 1.0
	v_fma_f64 v[47:48], v[47:48], v[49:50], v[47:48]
	v_div_scale_f64 v[49:50], vcc, 1.0, v[34:35], 1.0
	v_mul_f64 v[51:52], v[49:50], v[47:48]
	v_fma_f64 v[45:46], -v[45:46], v[51:52], v[49:50]
	s_nop 1
	v_div_fmas_f64 v[45:46], v[45:46], v[47:48], v[51:52]
	v_add_co_u32_e32 v47, vcc, s10, v28
	v_addc_co_u32_e32 v48, vcc, v39, v29, vcc
	global_load_dwordx2 v[47:48], v[47:48], off
	v_add_co_u32_e32 v28, vcc, s12, v28
	v_addc_co_u32_e32 v29, vcc, v38, v29, vcc
	v_div_fixup_f64 v[34:35], v[45:46], v[34:35], 1.0
	v_mul_f64 v[45:46], v[36:37], v[34:35]
	v_min_f64 v[45:46], v[45:46], s[0:1]
	s_waitcnt vmcnt(0)
	v_mul_f64 v[45:46], v[47:48], v[45:46]
	global_store_dwordx2 v[28:29], v[45:46], off
	v_div_scale_f64 v[45:46], s[4:5], v[22:23], v[22:23], 1.0
	v_mul_f64 v[28:29], v[18:19], v[18:19]
	v_mul_f64 v[28:29], v[28:29], v[14:15]
	v_rcp_f64_e32 v[47:48], v[45:46]
	v_fma_f64 v[49:50], -v[45:46], v[47:48], 1.0
	v_fma_f64 v[47:48], v[47:48], v[49:50], v[47:48]
	v_fma_f64 v[49:50], -v[45:46], v[47:48], 1.0
	v_fma_f64 v[47:48], v[47:48], v[49:50], v[47:48]
	v_div_scale_f64 v[49:50], vcc, 1.0, v[22:23], 1.0
	v_mul_f64 v[51:52], v[49:50], v[47:48]
	v_fma_f64 v[45:46], -v[45:46], v[51:52], v[49:50]
	s_nop 1
	v_div_fmas_f64 v[45:46], v[45:46], v[47:48], v[51:52]
	v_div_fixup_f64 v[45:46], v[45:46], v[22:23], 1.0
	v_mul_f64 v[28:29], v[28:29], v[45:46]
	v_add_co_u32_e32 v45, vcc, s10, v30
	v_addc_co_u32_e32 v46, vcc, v39, v31, vcc
	global_load_dwordx2 v[45:46], v[45:46], off
	v_add_co_u32_e32 v30, vcc, s12, v30
	v_min_f64 v[47:48], v[28:29], s[0:1]
	v_addc_co_u32_e32 v31, vcc, v38, v31, vcc
	s_waitcnt vmcnt(0)
	v_mul_f64 v[28:29], v[47:48], v[45:46]
	global_store_dwordx2 v[30:31], v[28:29], off
	v_add_co_u32_e32 v28, vcc, s10, v41
	v_addc_co_u32_e32 v29, vcc, v39, v42, vcc
	global_load_dwordx2 v[28:29], v[28:29], off
	v_add_co_u32_e32 v30, vcc, s12, v41
	v_addc_co_u32_e32 v31, vcc, v38, v42, vcc
	s_waitcnt vmcnt(0)
	v_mul_f64 v[28:29], v[47:48], v[28:29]
	global_store_dwordx2 v[30:31], v[28:29], off
	v_lshlrev_b64 v[30:31], 3, v[0:1]
	v_add_u32_e32 v0, s2, v0
	v_add_co_u32_e32 v28, vcc, s10, v30
	v_addc_co_u32_e32 v29, vcc, v39, v31, vcc
	global_load_dwordx2 v[28:29], v[28:29], off
	v_add_co_u32_e32 v41, vcc, s12, v30
	v_addc_co_u32_e32 v42, vcc, v38, v31, vcc
	s_waitcnt vmcnt(0)
	v_mul_f64 v[28:29], v[47:48], v[28:29]
	global_store_dwordx2 v[41:42], v[28:29], off
	v_lshlrev_b64 v[28:29], 3, v[0:1]
	v_add_u32_e32 v0, s2, v0
	v_add_co_u32_e32 v41, vcc, s10, v28
	v_addc_co_u32_e32 v42, vcc, v39, v29, vcc
	global_load_dwordx2 v[41:42], v[41:42], off
	v_add_co_u32_e32 v45, vcc, s12, v28
	v_addc_co_u32_e32 v46, vcc, v38, v29, vcc
	s_waitcnt vmcnt(0)
	v_mul_f64 v[41:42], v[47:48], v[41:42]
	global_store_dwordx2 v[45:46], v[41:42], off
	v_div_scale_f64 v[41:42], s[4:5], v[43:44], v[43:44], 1.0
	v_rcp_f64_e32 v[45:46], v[41:42]
	v_fma_f64 v[47:48], -v[41:42], v[45:46], 1.0
	v_fma_f64 v[45:46], v[45:46], v[47:48], v[45:46]
	v_fma_f64 v[47:48], -v[41:42], v[45:46], 1.0
	v_fma_f64 v[45:46], v[45:46], v[47:48], v[45:46]
	v_div_scale_f64 v[47:48], vcc, 1.0, v[43:44], 1.0
	v_mul_f64 v[49:50], v[47:48], v[45:46]
	v_fma_f64 v[41:42], -v[41:42], v[49:50], v[47:48]
	s_nop 1
	v_div_fmas_f64 v[41:42], v[41:42], v[45:46], v[49:50]
	v_div_fixup_f64 v[41:42], v[41:42], v[43:44], 1.0
	v_mul_f64 v[32:33], v[32:33], v[41:42]
	v_lshlrev_b64 v[41:42], 3, v[0:1]
	v_add_u32_e32 v0, s2, v0
	v_add_co_u32_e32 v43, vcc, s10, v41
	v_addc_co_u32_e32 v44, vcc, v39, v42, vcc
	global_load_dwordx2 v[43:44], v[43:44], off
	v_min_f64 v[32:33], v[32:33], s[0:1]
	v_add_co_u32_e32 v41, vcc, s12, v41
	v_addc_co_u32_e32 v42, vcc, v38, v42, vcc
	s_waitcnt vmcnt(0)
	v_mul_f64 v[32:33], v[32:33], v[43:44]
	global_store_dwordx2 v[41:42], v[32:33], off
	v_div_scale_f64 v[41:42], s[4:5], v[26:27], v[26:27], 1.0
	v_mul_f64 v[32:33], v[18:19], v[24:25]
	v_mul_f64 v[24:25], v[24:25], v[24:25]
	;; [unrolled: 1-line block ×4, first 2 shown]
	v_rcp_f64_e32 v[43:44], v[41:42]
	v_fma_f64 v[45:46], -v[41:42], v[43:44], 1.0
	v_fma_f64 v[43:44], v[43:44], v[45:46], v[43:44]
	v_fma_f64 v[45:46], -v[41:42], v[43:44], 1.0
	v_fma_f64 v[43:44], v[43:44], v[45:46], v[43:44]
	v_div_scale_f64 v[45:46], vcc, 1.0, v[26:27], 1.0
	v_mul_f64 v[47:48], v[45:46], v[43:44]
	v_fma_f64 v[41:42], -v[41:42], v[47:48], v[45:46]
	s_nop 1
	v_div_fmas_f64 v[41:42], v[41:42], v[43:44], v[47:48]
	v_div_fixup_f64 v[26:27], v[41:42], v[26:27], 1.0
	v_mul_f64 v[26:27], v[32:33], v[26:27]
	v_lshlrev_b64 v[32:33], 3, v[0:1]
	v_add_u32_e32 v0, s2, v0
	v_add_co_u32_e32 v41, vcc, s10, v32
	v_addc_co_u32_e32 v42, vcc, v39, v33, vcc
	global_load_dwordx2 v[41:42], v[41:42], off
	v_min_f64 v[26:27], v[26:27], s[0:1]
	v_add_co_u32_e32 v32, vcc, s12, v32
	v_addc_co_u32_e32 v33, vcc, v38, v33, vcc
	s_waitcnt vmcnt(0)
	v_mul_f64 v[26:27], v[26:27], v[41:42]
	global_store_dwordx2 v[32:33], v[26:27], off
	v_div_scale_f64 v[26:27], s[4:5], v[20:21], v[20:21], 1.0
	v_rcp_f64_e32 v[32:33], v[26:27]
	v_fma_f64 v[41:42], -v[26:27], v[32:33], 1.0
	v_fma_f64 v[32:33], v[32:33], v[41:42], v[32:33]
	v_fma_f64 v[41:42], -v[26:27], v[32:33], 1.0
	v_fma_f64 v[32:33], v[32:33], v[41:42], v[32:33]
	v_div_scale_f64 v[41:42], vcc, 1.0, v[20:21], 1.0
	v_mul_f64 v[43:44], v[41:42], v[32:33]
	v_fma_f64 v[26:27], -v[26:27], v[43:44], v[41:42]
	s_nop 1
	v_div_fmas_f64 v[26:27], v[26:27], v[32:33], v[43:44]
	v_div_fixup_f64 v[26:27], v[26:27], v[20:21], 1.0
	v_mul_f64 v[20:21], v[20:21], v[22:23]
	v_mul_f64 v[24:25], v[26:27], v[24:25]
	v_lshlrev_b64 v[26:27], 3, v[0:1]
	v_add_u32_e32 v0, s2, v0
	v_add_co_u32_e32 v32, vcc, s10, v26
	v_addc_co_u32_e32 v33, vcc, v39, v27, vcc
	global_load_dwordx2 v[32:33], v[32:33], off
	v_min_f64 v[24:25], v[24:25], s[0:1]
	v_add_co_u32_e32 v26, vcc, s12, v26
	v_addc_co_u32_e32 v27, vcc, v38, v27, vcc
	v_div_scale_f64 v[22:23], s[4:5], v[20:21], v[20:21], 1.0
	s_waitcnt vmcnt(0)
	v_mul_f64 v[24:25], v[24:25], v[32:33]
	global_store_dwordx2 v[26:27], v[24:25], off
	v_mul_f64 v[24:25], v[2:3], v[14:15]
	v_add_co_u32_e32 v2, vcc, s14, v30
	v_addc_co_u32_e32 v3, vcc, v40, v31, vcc
	global_load_dwordx2 v[2:3], v[2:3], off
	s_waitcnt vmcnt(0)
	v_div_scale_f64 v[26:27], s[4:5], v[2:3], v[2:3], 1.0
	v_mul_f64 v[18:19], v[18:19], v[2:3]
	v_mul_f64 v[10:11], v[10:11], v[2:3]
	v_rcp_f64_e32 v[30:31], v[26:27]
	v_fma_f64 v[32:33], -v[26:27], v[30:31], 1.0
	v_fma_f64 v[30:31], v[30:31], v[32:33], v[30:31]
	v_fma_f64 v[32:33], -v[26:27], v[30:31], 1.0
	v_fma_f64 v[30:31], v[30:31], v[32:33], v[30:31]
	v_div_scale_f64 v[32:33], vcc, 1.0, v[2:3], 1.0
	v_mul_f64 v[41:42], v[32:33], v[30:31]
	v_fma_f64 v[26:27], -v[26:27], v[41:42], v[32:33]
	s_nop 1
	v_div_fmas_f64 v[26:27], v[26:27], v[30:31], v[41:42]
	v_div_fixup_f64 v[26:27], v[26:27], v[2:3], 1.0
	v_mul_f64 v[24:25], v[24:25], v[26:27]
	v_lshlrev_b64 v[26:27], 3, v[0:1]
	v_add_u32_e32 v0, s2, v0
	v_add_co_u32_e32 v30, vcc, s10, v26
	v_addc_co_u32_e32 v31, vcc, v39, v27, vcc
	global_load_dwordx2 v[30:31], v[30:31], off
	v_min_f64 v[24:25], v[24:25], s[0:1]
	v_add_co_u32_e32 v26, vcc, s12, v26
	v_addc_co_u32_e32 v27, vcc, v38, v27, vcc
	s_waitcnt vmcnt(0)
	v_mul_f64 v[30:31], v[30:31], v[24:25]
	global_store_dwordx2 v[26:27], v[30:31], off
	v_lshlrev_b64 v[26:27], 3, v[0:1]
	v_add_u32_e32 v0, s2, v0
	v_add_co_u32_e32 v30, vcc, s10, v26
	v_addc_co_u32_e32 v31, vcc, v39, v27, vcc
	global_load_dwordx2 v[30:31], v[30:31], off
	v_add_co_u32_e32 v26, vcc, s12, v26
	v_addc_co_u32_e32 v27, vcc, v38, v27, vcc
	s_waitcnt vmcnt(0)
	v_mul_f64 v[30:31], v[30:31], v[24:25]
	global_store_dwordx2 v[26:27], v[30:31], off
	v_lshlrev_b64 v[26:27], 3, v[0:1]
	v_add_u32_e32 v0, s2, v0
	v_add_co_u32_e32 v30, vcc, s10, v26
	v_addc_co_u32_e32 v31, vcc, v39, v27, vcc
	global_load_dwordx2 v[30:31], v[30:31], off
	;; [unrolled: 10-line block ×3, first 2 shown]
	v_add_co_u32_e32 v26, vcc, s12, v26
	v_addc_co_u32_e32 v27, vcc, v38, v27, vcc
	s_waitcnt vmcnt(0)
	v_mul_f64 v[24:25], v[24:25], v[30:31]
	global_store_dwordx2 v[26:27], v[24:25], off
	v_mul_f64 v[24:25], v[14:15], v[36:37]
	v_add_co_u32_e32 v14, vcc, s14, v28
	v_addc_co_u32_e32 v15, vcc, v40, v29, vcc
	global_load_dwordx2 v[14:15], v[14:15], off
	s_waitcnt vmcnt(0)
	v_div_scale_f64 v[26:27], s[4:5], v[14:15], v[14:15], 1.0
	v_rcp_f64_e32 v[28:29], v[26:27]
	v_fma_f64 v[30:31], -v[26:27], v[28:29], 1.0
	v_fma_f64 v[28:29], v[28:29], v[30:31], v[28:29]
	v_fma_f64 v[30:31], -v[26:27], v[28:29], 1.0
	v_fma_f64 v[28:29], v[28:29], v[30:31], v[28:29]
	v_div_scale_f64 v[30:31], vcc, 1.0, v[14:15], 1.0
	v_mul_f64 v[32:33], v[30:31], v[28:29]
	v_fma_f64 v[26:27], -v[26:27], v[32:33], v[30:31]
	s_nop 1
	v_div_fmas_f64 v[26:27], v[26:27], v[28:29], v[32:33]
	v_div_fixup_f64 v[26:27], v[26:27], v[14:15], 1.0
	v_mul_f64 v[24:25], v[24:25], v[26:27]
	v_lshlrev_b64 v[26:27], 3, v[0:1]
	v_add_u32_e32 v0, s2, v0
	v_add_co_u32_e32 v28, vcc, s10, v26
	v_addc_co_u32_e32 v29, vcc, v39, v27, vcc
	global_load_dwordx2 v[28:29], v[28:29], off
	v_min_f64 v[24:25], v[24:25], s[0:1]
	v_add_co_u32_e32 v26, vcc, s12, v26
	v_addc_co_u32_e32 v27, vcc, v38, v27, vcc
	s_waitcnt vmcnt(0)
	v_mul_f64 v[24:25], v[28:29], v[24:25]
	global_store_dwordx2 v[26:27], v[24:25], off
	v_lshlrev_b64 v[26:27], 3, v[0:1]
	v_mul_f64 v[24:25], v[34:35], v[18:19]
	v_add_co_u32_e32 v28, vcc, s10, v26
	v_addc_co_u32_e32 v29, vcc, v39, v27, vcc
	global_load_dwordx2 v[28:29], v[28:29], off
	v_add_co_u32_e32 v26, vcc, s12, v26
	v_min_f64 v[24:25], v[24:25], s[0:1]
	v_addc_co_u32_e32 v27, vcc, v38, v27, vcc
	v_add_u32_e32 v0, s2, v0
	s_waitcnt vmcnt(0)
	v_mul_f64 v[24:25], v[24:25], v[28:29]
	global_store_dwordx2 v[26:27], v[24:25], off
	v_rcp_f64_e32 v[24:25], v[22:23]
	v_fma_f64 v[26:27], -v[22:23], v[24:25], 1.0
	v_fma_f64 v[24:25], v[24:25], v[26:27], v[24:25]
	v_fma_f64 v[26:27], -v[22:23], v[24:25], 1.0
	v_fma_f64 v[24:25], v[24:25], v[26:27], v[24:25]
	v_div_scale_f64 v[26:27], vcc, 1.0, v[20:21], 1.0
	v_mul_f64 v[28:29], v[26:27], v[24:25]
	v_fma_f64 v[22:23], -v[22:23], v[28:29], v[26:27]
	s_nop 1
	v_div_fmas_f64 v[22:23], v[22:23], v[24:25], v[28:29]
	v_div_fixup_f64 v[20:21], v[22:23], v[20:21], 1.0
	v_mul_f64 v[18:19], v[20:21], v[18:19]
	v_lshlrev_b64 v[20:21], 3, v[0:1]
	v_add_u32_e32 v0, s2, v0
	v_add_co_u32_e32 v22, vcc, s10, v20
	v_addc_co_u32_e32 v23, vcc, v39, v21, vcc
	global_load_dwordx2 v[22:23], v[22:23], off
	v_min_f64 v[18:19], v[18:19], s[0:1]
	v_add_co_u32_e32 v20, vcc, s12, v20
	v_addc_co_u32_e32 v21, vcc, v38, v21, vcc
	s_waitcnt vmcnt(0)
	v_mul_f64 v[18:19], v[18:19], v[22:23]
	global_store_dwordx2 v[20:21], v[18:19], off
	v_mul_f64 v[20:21], v[12:13], v[12:13]
	v_mul_f64 v[18:19], v[16:17], v[2:3]
	v_div_scale_f64 v[22:23], s[4:5], v[20:21], v[20:21], 1.0
	v_rcp_f64_e32 v[24:25], v[22:23]
	v_fma_f64 v[26:27], -v[22:23], v[24:25], 1.0
	v_fma_f64 v[24:25], v[24:25], v[26:27], v[24:25]
	v_fma_f64 v[26:27], -v[22:23], v[24:25], 1.0
	v_fma_f64 v[24:25], v[24:25], v[26:27], v[24:25]
	v_div_scale_f64 v[26:27], vcc, 1.0, v[20:21], 1.0
	v_mul_f64 v[28:29], v[26:27], v[24:25]
	v_fma_f64 v[22:23], -v[22:23], v[28:29], v[26:27]
	s_nop 1
	v_div_fmas_f64 v[22:23], v[22:23], v[24:25], v[28:29]
	v_div_fixup_f64 v[20:21], v[22:23], v[20:21], 1.0
	v_mul_f64 v[18:19], v[18:19], v[20:21]
	v_lshlrev_b64 v[20:21], 3, v[0:1]
	v_add_u32_e32 v0, s2, v0
	v_add_co_u32_e32 v22, vcc, s10, v20
	v_addc_co_u32_e32 v23, vcc, v39, v21, vcc
	global_load_dwordx2 v[22:23], v[22:23], off
	v_min_f64 v[18:19], v[18:19], s[0:1]
	v_add_co_u32_e32 v20, vcc, s12, v20
	v_addc_co_u32_e32 v21, vcc, v38, v21, vcc
	s_waitcnt vmcnt(0)
	v_mul_f64 v[18:19], v[22:23], v[18:19]
	global_store_dwordx2 v[20:21], v[18:19], off
	v_mul_f64 v[18:19], v[6:7], v[12:13]
	v_div_scale_f64 v[20:21], s[4:5], v[18:19], v[18:19], 1.0
	v_rcp_f64_e32 v[22:23], v[20:21]
	v_fma_f64 v[24:25], -v[20:21], v[22:23], 1.0
	v_fma_f64 v[22:23], v[22:23], v[24:25], v[22:23]
	v_fma_f64 v[24:25], -v[20:21], v[22:23], 1.0
	v_fma_f64 v[22:23], v[22:23], v[24:25], v[22:23]
	v_div_scale_f64 v[24:25], vcc, 1.0, v[18:19], 1.0
	v_mul_f64 v[26:27], v[24:25], v[22:23]
	v_fma_f64 v[20:21], -v[20:21], v[26:27], v[24:25]
	s_nop 1
	v_div_fmas_f64 v[20:21], v[20:21], v[22:23], v[26:27]
	v_div_fixup_f64 v[18:19], v[20:21], v[18:19], 1.0
	v_mul_f64 v[10:11], v[10:11], v[18:19]
	v_lshlrev_b64 v[18:19], 3, v[0:1]
	v_add_u32_e32 v0, s2, v0
	v_add_co_u32_e32 v20, vcc, s10, v18
	v_addc_co_u32_e32 v21, vcc, v39, v19, vcc
	global_load_dwordx2 v[20:21], v[20:21], off
	v_min_f64 v[10:11], v[10:11], s[0:1]
	v_add_co_u32_e32 v18, vcc, s12, v18
	v_addc_co_u32_e32 v19, vcc, v38, v19, vcc
	s_waitcnt vmcnt(0)
	v_mul_f64 v[10:11], v[20:21], v[10:11]
	global_store_dwordx2 v[18:19], v[10:11], off
	v_mul_f64 v[18:19], v[6:7], v[8:9]
	v_mul_f64 v[10:11], v[12:13], v[2:3]
	v_mul_f64 v[6:7], v[6:7], v[14:15]
	v_div_scale_f64 v[20:21], s[4:5], v[18:19], v[18:19], 1.0
	v_rcp_f64_e32 v[22:23], v[20:21]
	v_fma_f64 v[24:25], -v[20:21], v[22:23], 1.0
	v_fma_f64 v[22:23], v[22:23], v[24:25], v[22:23]
	v_fma_f64 v[24:25], -v[20:21], v[22:23], 1.0
	v_fma_f64 v[22:23], v[22:23], v[24:25], v[22:23]
	v_div_scale_f64 v[24:25], vcc, 1.0, v[18:19], 1.0
	v_mul_f64 v[26:27], v[24:25], v[22:23]
	v_fma_f64 v[20:21], -v[20:21], v[26:27], v[24:25]
	s_nop 1
	v_div_fmas_f64 v[20:21], v[20:21], v[22:23], v[26:27]
	v_div_fixup_f64 v[18:19], v[20:21], v[18:19], 1.0
	v_mul_f64 v[10:11], v[10:11], v[18:19]
	v_lshlrev_b64 v[18:19], 3, v[0:1]
	v_add_u32_e32 v0, s2, v0
	v_add_co_u32_e32 v20, vcc, s10, v18
	v_addc_co_u32_e32 v21, vcc, v39, v19, vcc
	global_load_dwordx2 v[20:21], v[20:21], off
	v_min_f64 v[10:11], v[10:11], s[0:1]
	v_add_co_u32_e32 v18, vcc, s12, v18
	v_addc_co_u32_e32 v19, vcc, v38, v19, vcc
	s_waitcnt vmcnt(0)
	v_mul_f64 v[10:11], v[20:21], v[10:11]
	global_store_dwordx2 v[18:19], v[10:11], off
	v_div_scale_f64 v[18:19], s[4:5], v[6:7], v[6:7], 1.0
	v_mul_f64 v[10:11], v[2:3], v[2:3]
	v_mul_f64 v[2:3], v[4:5], v[2:3]
	v_div_scale_f64 v[4:5], s[4:5], v[2:3], v[2:3], 1.0
	v_rcp_f64_e32 v[20:21], v[18:19]
	v_fma_f64 v[22:23], -v[18:19], v[20:21], 1.0
	v_fma_f64 v[20:21], v[20:21], v[22:23], v[20:21]
	v_fma_f64 v[22:23], -v[18:19], v[20:21], 1.0
	v_fma_f64 v[20:21], v[20:21], v[22:23], v[20:21]
	v_div_scale_f64 v[22:23], vcc, 1.0, v[6:7], 1.0
	v_mul_f64 v[24:25], v[22:23], v[20:21]
	v_fma_f64 v[18:19], -v[18:19], v[24:25], v[22:23]
	s_nop 1
	v_div_fmas_f64 v[18:19], v[18:19], v[20:21], v[24:25]
	v_div_fixup_f64 v[6:7], v[18:19], v[6:7], 1.0
	v_mul_f64 v[6:7], v[10:11], v[6:7]
	v_lshlrev_b64 v[10:11], 3, v[0:1]
	v_add_u32_e32 v0, s2, v0
	v_add_co_u32_e32 v18, vcc, s10, v10
	v_addc_co_u32_e32 v19, vcc, v39, v11, vcc
	global_load_dwordx2 v[18:19], v[18:19], off
	v_min_f64 v[6:7], v[6:7], s[0:1]
	v_add_co_u32_e32 v10, vcc, s12, v10
	v_addc_co_u32_e32 v11, vcc, v38, v11, vcc
	s_waitcnt vmcnt(0)
	v_mul_f64 v[18:19], v[18:19], v[6:7]
	global_store_dwordx2 v[10:11], v[18:19], off
	v_lshlrev_b64 v[10:11], 3, v[0:1]
	v_add_u32_e32 v0, s2, v0
	v_add_co_u32_e32 v18, vcc, s10, v10
	v_addc_co_u32_e32 v19, vcc, v39, v11, vcc
	global_load_dwordx2 v[18:19], v[18:19], off
	v_add_co_u32_e32 v10, vcc, s12, v10
	v_addc_co_u32_e32 v11, vcc, v38, v11, vcc
	s_waitcnt vmcnt(0)
	v_mul_f64 v[6:7], v[18:19], v[6:7]
	global_store_dwordx2 v[10:11], v[6:7], off
	v_rcp_f64_e32 v[10:11], v[4:5]
	v_mul_f64 v[6:7], v[16:17], v[14:15]
	v_fma_f64 v[14:15], -v[4:5], v[10:11], 1.0
	v_fma_f64 v[10:11], v[10:11], v[14:15], v[10:11]
	v_fma_f64 v[14:15], -v[4:5], v[10:11], 1.0
	v_fma_f64 v[10:11], v[10:11], v[14:15], v[10:11]
	v_div_scale_f64 v[14:15], vcc, 1.0, v[2:3], 1.0
	v_mul_f64 v[16:17], v[14:15], v[10:11]
	v_fma_f64 v[4:5], -v[4:5], v[16:17], v[14:15]
	s_nop 1
	v_div_fmas_f64 v[4:5], v[4:5], v[10:11], v[16:17]
	v_div_fixup_f64 v[2:3], v[4:5], v[2:3], 1.0
	v_lshlrev_b64 v[4:5], 3, v[0:1]
	v_add_u32_e32 v0, s2, v0
	v_add_co_u32_e32 v10, vcc, s10, v4
	v_addc_co_u32_e32 v11, vcc, v39, v5, vcc
	global_load_dwordx2 v[10:11], v[10:11], off
	v_mul_f64 v[2:3], v[6:7], v[2:3]
	v_add_co_u32_e32 v4, vcc, s12, v4
	v_addc_co_u32_e32 v5, vcc, v38, v5, vcc
	v_lshlrev_b64 v[0:1], 3, v[0:1]
	v_min_f64 v[2:3], v[2:3], s[0:1]
	s_waitcnt vmcnt(0)
	v_mul_f64 v[2:3], v[10:11], v[2:3]
	global_store_dwordx2 v[4:5], v[2:3], off
	v_mul_f64 v[2:3], v[12:13], v[8:9]
	v_div_scale_f64 v[4:5], s[4:5], v[2:3], v[2:3], 1.0
	v_rcp_f64_e32 v[8:9], v[4:5]
	v_fma_f64 v[10:11], -v[4:5], v[8:9], 1.0
	v_fma_f64 v[8:9], v[8:9], v[10:11], v[8:9]
	v_fma_f64 v[10:11], -v[4:5], v[8:9], 1.0
	v_fma_f64 v[8:9], v[8:9], v[10:11], v[8:9]
	v_div_scale_f64 v[10:11], vcc, 1.0, v[2:3], 1.0
	v_mul_f64 v[12:13], v[10:11], v[8:9]
	v_fma_f64 v[4:5], -v[4:5], v[12:13], v[10:11]
	s_nop 1
	v_div_fmas_f64 v[4:5], v[4:5], v[8:9], v[12:13]
	v_div_fixup_f64 v[2:3], v[4:5], v[2:3], 1.0
	v_add_co_u32_e32 v4, vcc, s10, v0
	v_addc_co_u32_e32 v5, vcc, v39, v1, vcc
	global_load_dwordx2 v[4:5], v[4:5], off
	v_add_co_u32_e32 v0, vcc, s12, v0
	v_mul_f64 v[2:3], v[6:7], v[2:3]
	v_addc_co_u32_e32 v1, vcc, v38, v1, vcc
	v_min_f64 v[2:3], v[2:3], s[0:1]
	s_waitcnt vmcnt(0)
	v_mul_f64 v[2:3], v[4:5], v[2:3]
	global_store_dwordx2 v[0:1], v[2:3], off
	s_endpgm
	.section	.rodata,"a",@progbits
	.p2align	6, 0x0
	.amdhsa_kernel _Z12ratt2_kernelIdEvPKT_S2_PS0_S2_S0_
		.amdhsa_group_segment_fixed_size 0
		.amdhsa_private_segment_fixed_size 0
		.amdhsa_kernarg_size 296
		.amdhsa_user_sgpr_count 6
		.amdhsa_user_sgpr_private_segment_buffer 1
		.amdhsa_user_sgpr_dispatch_ptr 0
		.amdhsa_user_sgpr_queue_ptr 0
		.amdhsa_user_sgpr_kernarg_segment_ptr 1
		.amdhsa_user_sgpr_dispatch_id 0
		.amdhsa_user_sgpr_flat_scratch_init 0
		.amdhsa_user_sgpr_private_segment_size 0
		.amdhsa_uses_dynamic_stack 0
		.amdhsa_system_sgpr_private_segment_wavefront_offset 0
		.amdhsa_system_sgpr_workgroup_id_x 1
		.amdhsa_system_sgpr_workgroup_id_y 0
		.amdhsa_system_sgpr_workgroup_id_z 0
		.amdhsa_system_sgpr_workgroup_info 0
		.amdhsa_system_vgpr_workitem_id 0
		.amdhsa_next_free_vgpr 55
		.amdhsa_next_free_sgpr 16
		.amdhsa_reserve_vcc 1
		.amdhsa_reserve_flat_scratch 0
		.amdhsa_float_round_mode_32 0
		.amdhsa_float_round_mode_16_64 0
		.amdhsa_float_denorm_mode_32 3
		.amdhsa_float_denorm_mode_16_64 3
		.amdhsa_dx10_clamp 1
		.amdhsa_ieee_mode 1
		.amdhsa_fp16_overflow 0
		.amdhsa_exception_fp_ieee_invalid_op 0
		.amdhsa_exception_fp_denorm_src 0
		.amdhsa_exception_fp_ieee_div_zero 0
		.amdhsa_exception_fp_ieee_overflow 0
		.amdhsa_exception_fp_ieee_underflow 0
		.amdhsa_exception_fp_ieee_inexact 0
		.amdhsa_exception_int_div_zero 0
	.end_amdhsa_kernel
	.section	.text._Z12ratt2_kernelIdEvPKT_S2_PS0_S2_S0_,"axG",@progbits,_Z12ratt2_kernelIdEvPKT_S2_PS0_S2_S0_,comdat
.Lfunc_end30:
	.size	_Z12ratt2_kernelIdEvPKT_S2_PS0_S2_S0_, .Lfunc_end30-_Z12ratt2_kernelIdEvPKT_S2_PS0_S2_S0_
                                        ; -- End function
	.set _Z12ratt2_kernelIdEvPKT_S2_PS0_S2_S0_.num_vgpr, 55
	.set _Z12ratt2_kernelIdEvPKT_S2_PS0_S2_S0_.num_agpr, 0
	.set _Z12ratt2_kernelIdEvPKT_S2_PS0_S2_S0_.numbered_sgpr, 16
	.set _Z12ratt2_kernelIdEvPKT_S2_PS0_S2_S0_.num_named_barrier, 0
	.set _Z12ratt2_kernelIdEvPKT_S2_PS0_S2_S0_.private_seg_size, 0
	.set _Z12ratt2_kernelIdEvPKT_S2_PS0_S2_S0_.uses_vcc, 1
	.set _Z12ratt2_kernelIdEvPKT_S2_PS0_S2_S0_.uses_flat_scratch, 0
	.set _Z12ratt2_kernelIdEvPKT_S2_PS0_S2_S0_.has_dyn_sized_stack, 0
	.set _Z12ratt2_kernelIdEvPKT_S2_PS0_S2_S0_.has_recursion, 0
	.set _Z12ratt2_kernelIdEvPKT_S2_PS0_S2_S0_.has_indirect_call, 0
	.section	.AMDGPU.csdata,"",@progbits
; Kernel info:
; codeLenInByte = 3872
; TotalNumSgprs: 20
; NumVgprs: 55
; ScratchSize: 0
; MemoryBound: 0
; FloatMode: 240
; IeeeMode: 1
; LDSByteSize: 0 bytes/workgroup (compile time only)
; SGPRBlocks: 2
; VGPRBlocks: 13
; NumSGPRsForWavesPerEU: 20
; NumVGPRsForWavesPerEU: 55
; Occupancy: 4
; WaveLimiterHint : 0
; COMPUTE_PGM_RSRC2:SCRATCH_EN: 0
; COMPUTE_PGM_RSRC2:USER_SGPR: 6
; COMPUTE_PGM_RSRC2:TRAP_HANDLER: 0
; COMPUTE_PGM_RSRC2:TGID_X_EN: 1
; COMPUTE_PGM_RSRC2:TGID_Y_EN: 0
; COMPUTE_PGM_RSRC2:TGID_Z_EN: 0
; COMPUTE_PGM_RSRC2:TIDIG_COMP_CNT: 0
	.section	.text._Z12ratt3_kernelIdEvPKT_S2_PS0_S2_S0_,"axG",@progbits,_Z12ratt3_kernelIdEvPKT_S2_PS0_S2_S0_,comdat
	.protected	_Z12ratt3_kernelIdEvPKT_S2_PS0_S2_S0_ ; -- Begin function _Z12ratt3_kernelIdEvPKT_S2_PS0_S2_S0_
	.globl	_Z12ratt3_kernelIdEvPKT_S2_PS0_S2_S0_
	.p2align	8
	.type	_Z12ratt3_kernelIdEvPKT_S2_PS0_S2_S0_,@function
_Z12ratt3_kernelIdEvPKT_S2_PS0_S2_S0_:  ; @_Z12ratt3_kernelIdEvPKT_S2_PS0_S2_S0_
; %bb.0:
	s_mov_b64 s[18:19], s[2:3]
	s_mov_b64 s[16:17], s[0:1]
	s_load_dwordx8 s[8:15], s[4:5], 0x0
	s_load_dwordx2 s[0:1], s[4:5], 0x20
	s_load_dword s2, s[4:5], 0x28
	s_load_dword s3, s[4:5], 0x34
	s_add_u32 s16, s16, s7
	s_addc_u32 s17, s17, 0
	v_mov_b32_e32 v1, 0
	s_waitcnt lgkmcnt(0)
	v_mov_b32_e32 v3, s9
	s_and_b32 s3, s3, 0xffff
	s_mul_i32 s6, s6, s3
	v_add_u32_e32 v0, s6, v0
	v_lshlrev_b64 v[4:5], 3, v[0:1]
	s_mul_i32 s2, s2, s3
	v_add_co_u32_e32 v2, vcc, s8, v4
	v_addc_co_u32_e32 v3, vcc, v3, v5, vcc
	global_load_dwordx2 v[2:3], v[2:3], off
	s_lshl_b32 s3, s2, 1
	v_mov_b32_e32 v54, s15
	v_mov_b32_e32 v21, v1
	;; [unrolled: 1-line block ×3, first 2 shown]
	s_mul_i32 s4, s2, 0xffffffec
	s_mul_i32 s8, s2, 28
	s_waitcnt vmcnt(0)
	v_mul_f64 v[2:3], s[0:1], v[2:3]
	s_brev_b32 s0, 12
	s_mov_b32 s1, 0x4193d2c6
	v_mul_f64 v[2:3], v[2:3], s[0:1]
	v_div_scale_f64 v[6:7], s[0:1], v[2:3], v[2:3], 1.0
	s_mov_b32 s0, 0
	s_mov_b32 s1, 0x412eec04
	v_rcp_f64_e32 v[8:9], v[6:7]
	v_fma_f64 v[10:11], -v[6:7], v[8:9], 1.0
	v_fma_f64 v[8:9], v[8:9], v[10:11], v[8:9]
	v_fma_f64 v[10:11], -v[6:7], v[8:9], 1.0
	v_fma_f64 v[8:9], v[8:9], v[10:11], v[8:9]
	v_div_scale_f64 v[10:11], vcc, 1.0, v[2:3], 1.0
	v_mul_f64 v[12:13], v[10:11], v[8:9]
	v_fma_f64 v[6:7], -v[6:7], v[12:13], v[10:11]
	s_nop 1
	v_div_fmas_f64 v[6:7], v[6:7], v[8:9], v[12:13]
	v_div_fixup_f64 v[2:3], v[6:7], v[2:3], 1.0
	v_mul_f64 v[8:9], v[2:3], s[0:1]
	v_add_u32_e32 v2, s3, v0
	v_mov_b32_e32 v3, v1
	v_lshlrev_b64 v[6:7], 3, v[2:3]
	v_mad_u64_u32 v[2:3], s[0:1], s2, 5, v[2:3]
	v_add_co_u32_e32 v6, vcc, s14, v6
	v_addc_co_u32_e32 v7, vcc, v54, v7, vcc
	buffer_store_dword v6, off, s[16:19], 0 ; 4-byte Folded Spill
	s_nop 0
	buffer_store_dword v7, off, s[16:19], 0 offset:4 ; 4-byte Folded Spill
	v_mov_b32_e32 v3, v1
	v_lshlrev_b64 v[10:11], 3, v[2:3]
	v_add_u32_e32 v0, s2, v0
	v_add_co_u32_e32 v10, vcc, s14, v10
	v_addc_co_u32_e32 v11, vcc, v54, v11, vcc
	global_load_dwordx2 v[12:13], v[10:11], off
	v_mad_u64_u32 v[10:11], s[0:1], s2, -3, v[2:3]
	v_mov_b32_e32 v11, v1
	v_lshlrev_b64 v[2:3], 3, v[10:11]
	v_add_u32_e32 v20, s3, v10
	s_mul_i32 s3, s2, 19
	v_lshlrev_b64 v[10:11], 3, v[20:21]
	v_add_u32_e32 v20, s3, v20
	v_add_co_u32_e32 v2, vcc, s14, v2
	v_addc_co_u32_e32 v3, vcc, v54, v3, vcc
	v_add_co_u32_e32 v10, vcc, s14, v10
	global_load_dwordx2 v[14:15], v[2:3], off
	v_addc_co_u32_e32 v11, vcc, v54, v11, vcc
	global_load_dwordx2 v[28:29], v[10:11], off
	global_load_dwordx2 v[16:17], v[6:7], off
	v_mov_b32_e32 v6, s11
	s_waitcnt vmcnt(1)
	v_mul_f64 v[21:22], v[14:15], v[28:29]
	v_div_scale_f64 v[23:24], s[0:1], v[21:22], v[21:22], 1.0
	s_mov_b32 s0, 0x4357691b
	s_mov_b32 s1, 0x479e17b8
	v_rcp_f64_e32 v[25:26], v[23:24]
	v_fma_f64 v[30:31], -v[23:24], v[25:26], 1.0
	v_fma_f64 v[25:26], v[25:26], v[30:31], v[25:26]
	s_waitcnt vmcnt(0)
	v_mul_f64 v[18:19], v[16:17], v[12:13]
	v_mul_f64 v[12:13], v[12:13], v[14:15]
	v_fma_f64 v[30:31], -v[23:24], v[25:26], 1.0
	v_fma_f64 v[25:26], v[25:26], v[30:31], v[25:26]
	v_div_scale_f64 v[30:31], vcc, 1.0, v[21:22], 1.0
	v_mul_f64 v[32:33], v[30:31], v[25:26]
	v_fma_f64 v[23:24], -v[23:24], v[32:33], v[30:31]
	s_nop 1
	v_div_fmas_f64 v[23:24], v[23:24], v[25:26], v[32:33]
	v_div_fixup_f64 v[21:22], v[23:24], v[21:22], 1.0
	v_mul_f64 v[18:19], v[18:19], v[21:22]
	v_mov_b32_e32 v21, v1
	v_lshlrev_b64 v[21:22], 3, v[20:21]
	v_add_u32_e32 v20, s4, v20
	v_add_co_u32_e32 v23, vcc, s10, v21
	v_addc_co_u32_e32 v24, vcc, v6, v22, vcc
	global_load_dwordx2 v[23:24], v[23:24], off
	v_add_co_u32_e32 v21, vcc, s12, v21
	v_addc_co_u32_e32 v22, vcc, v63, v22, vcc
	v_min_f64 v[18:19], v[18:19], s[0:1]
	s_waitcnt vmcnt(0)
	v_mul_f64 v[18:19], v[23:24], v[18:19]
	global_store_dwordx2 v[21:22], v[18:19], off
	v_mov_b32_e32 v21, v1
	v_lshlrev_b64 v[18:19], 3, v[20:21]
	v_add_co_u32_e32 v18, vcc, s14, v18
	v_addc_co_u32_e32 v19, vcc, v54, v19, vcc
	global_load_dwordx2 v[24:25], v[18:19], off
	s_waitcnt vmcnt(0)
	v_mul_f64 v[21:22], v[28:29], v[24:25]
	v_div_scale_f64 v[26:27], s[4:5], v[21:22], v[21:22], 1.0
	v_rcp_f64_e32 v[30:31], v[26:27]
	v_fma_f64 v[32:33], -v[26:27], v[30:31], 1.0
	v_fma_f64 v[30:31], v[30:31], v[32:33], v[30:31]
	v_fma_f64 v[32:33], -v[26:27], v[30:31], 1.0
	v_fma_f64 v[30:31], v[30:31], v[32:33], v[30:31]
	v_div_scale_f64 v[32:33], vcc, 1.0, v[21:22], 1.0
	v_mul_f64 v[34:35], v[32:33], v[30:31]
	v_fma_f64 v[26:27], -v[26:27], v[34:35], v[32:33]
	s_nop 1
	v_div_fmas_f64 v[26:27], v[26:27], v[30:31], v[34:35]
	v_div_fixup_f64 v[21:22], v[26:27], v[21:22], 1.0
	v_mul_f64 v[12:13], v[12:13], v[21:22]
	v_mad_u64_u32 v[20:21], s[4:5], s2, 21, v[20:21]
	v_mov_b32_e32 v21, v1
	v_lshlrev_b64 v[21:22], 3, v[20:21]
	v_add_u32_e32 v20, s2, v20
	v_add_co_u32_e32 v26, vcc, s10, v21
	v_addc_co_u32_e32 v27, vcc, v6, v22, vcc
	global_load_dwordx2 v[26:27], v[26:27], off
	v_min_f64 v[12:13], v[12:13], s[0:1]
	v_add_co_u32_e32 v21, vcc, s12, v21
	v_addc_co_u32_e32 v22, vcc, v63, v22, vcc
	s_waitcnt vmcnt(0)
	v_mul_f64 v[26:27], v[26:27], v[12:13]
	global_store_dwordx2 v[21:22], v[26:27], off
	v_mov_b32_e32 v21, v1
	v_lshlrev_b64 v[22:23], 3, v[20:21]
	v_add_co_u32_e32 v26, vcc, s10, v22
	v_addc_co_u32_e32 v27, vcc, v6, v23, vcc
	global_load_dwordx2 v[26:27], v[26:27], off
	v_add_co_u32_e32 v22, vcc, s12, v22
	v_addc_co_u32_e32 v23, vcc, v63, v23, vcc
	s_waitcnt vmcnt(0)
	v_mul_f64 v[12:13], v[26:27], v[12:13]
	global_store_dwordx2 v[22:23], v[12:13], off
	v_mad_u64_u32 v[12:13], s[4:5], s2, -14, v[20:21]
	v_mov_b32_e32 v13, v1
	v_lshlrev_b64 v[20:21], 3, v[12:13]
	v_add_u32_e32 v12, s2, v12
	v_add_co_u32_e32 v22, vcc, s14, v20
	v_addc_co_u32_e32 v23, vcc, v54, v21, vcc
	global_load_dwordx2 v[32:33], v[22:23], off
	s_waitcnt vmcnt(0)
	v_mul_f64 v[20:21], v[16:17], v[32:33]
	v_mul_f64 v[26:27], v[8:9], v[20:21]
	v_lshlrev_b64 v[20:21], 3, v[12:13]
	v_add_co_u32_e32 v20, vcc, s14, v20
	v_addc_co_u32_e32 v21, vcc, v54, v21, vcc
	global_load_dwordx2 v[34:35], v[20:21], off
	s_waitcnt vmcnt(0)
	v_div_scale_f64 v[30:31], s[4:5], v[34:35], v[34:35], 1.0
	s_mul_i32 s4, s2, 14
	s_mul_i32 s5, s2, -13
	v_add_u32_e32 v12, s4, v12
	v_lshlrev_b64 v[12:13], 3, v[12:13]
	v_rcp_f64_e32 v[36:37], v[30:31]
	v_fma_f64 v[38:39], -v[30:31], v[36:37], 1.0
	v_fma_f64 v[36:37], v[36:37], v[38:39], v[36:37]
	v_fma_f64 v[38:39], -v[30:31], v[36:37], 1.0
	v_fma_f64 v[36:37], v[36:37], v[38:39], v[36:37]
	v_div_scale_f64 v[38:39], vcc, 1.0, v[34:35], 1.0
	v_mul_f64 v[40:41], v[38:39], v[36:37]
	v_fma_f64 v[30:31], -v[30:31], v[40:41], v[38:39]
	s_nop 1
	v_div_fmas_f64 v[30:31], v[30:31], v[36:37], v[40:41]
	v_div_fixup_f64 v[30:31], v[30:31], v[34:35], 1.0
	v_mul_f64 v[26:27], v[26:27], v[30:31]
	v_add_co_u32_e32 v30, vcc, s10, v12
	v_addc_co_u32_e32 v31, vcc, v6, v13, vcc
	global_load_dwordx2 v[30:31], v[30:31], off
	v_add_co_u32_e32 v12, vcc, s12, v12
	v_addc_co_u32_e32 v13, vcc, v63, v13, vcc
	v_min_f64 v[26:27], v[26:27], s[0:1]
	s_waitcnt vmcnt(0)
	v_mul_f64 v[26:27], v[30:31], v[26:27]
	global_store_dwordx2 v[12:13], v[26:27], off
	v_lshlrev_b64 v[26:27], 3, v[0:1]
	v_mul_f64 v[12:13], v[14:15], v[32:33]
	v_add_u32_e32 v0, s8, v0
	v_add_co_u32_e32 v30, vcc, s14, v26
	v_addc_co_u32_e32 v31, vcc, v54, v27, vcc
	global_load_dwordx2 v[40:41], v[30:31], off
	s_waitcnt vmcnt(0)
	v_mul_f64 v[26:27], v[34:35], v[40:41]
	v_div_scale_f64 v[36:37], s[6:7], v[26:27], v[26:27], 1.0
	v_rcp_f64_e32 v[38:39], v[36:37]
	v_fma_f64 v[42:43], -v[36:37], v[38:39], 1.0
	v_fma_f64 v[38:39], v[38:39], v[42:43], v[38:39]
	v_fma_f64 v[42:43], -v[36:37], v[38:39], 1.0
	v_fma_f64 v[38:39], v[38:39], v[42:43], v[38:39]
	v_div_scale_f64 v[42:43], vcc, 1.0, v[26:27], 1.0
	v_mul_f64 v[44:45], v[42:43], v[38:39]
	v_fma_f64 v[36:37], -v[36:37], v[44:45], v[42:43]
	s_nop 1
	v_div_fmas_f64 v[36:37], v[36:37], v[38:39], v[44:45]
	v_div_fixup_f64 v[26:27], v[36:37], v[26:27], 1.0
	v_mul_f64 v[12:13], v[12:13], v[26:27]
	v_lshlrev_b64 v[26:27], 3, v[0:1]
	v_add_u32_e32 v0, s5, v0
	v_add_co_u32_e32 v36, vcc, s10, v26
	v_addc_co_u32_e32 v37, vcc, v6, v27, vcc
	global_load_dwordx2 v[36:37], v[36:37], off
	v_add_co_u32_e32 v26, vcc, s12, v26
	v_addc_co_u32_e32 v27, vcc, v63, v27, vcc
	v_min_f64 v[12:13], v[12:13], s[0:1]
	s_waitcnt vmcnt(0)
	v_mul_f64 v[12:13], v[36:37], v[12:13]
	global_store_dwordx2 v[26:27], v[12:13], off
	v_add_co_u32_e32 v12, vcc, s14, v4
	v_lshlrev_b64 v[26:27], 3, v[0:1]
	v_add_u32_e32 v0, s4, v0
	v_addc_co_u32_e32 v13, vcc, v54, v5, vcc
	v_add_co_u32_e32 v26, vcc, s14, v26
	global_load_dwordx2 v[48:49], v[12:13], off
	v_addc_co_u32_e32 v27, vcc, v54, v27, vcc
	global_load_dwordx2 v[42:43], v[26:27], off
	s_waitcnt vmcnt(1)
	v_mul_f64 v[36:37], v[32:33], v[48:49]
	s_waitcnt vmcnt(0)
	v_div_scale_f64 v[26:27], s[6:7], v[42:43], v[42:43], 1.0
	s_mul_i32 s6, s2, 0xffffffe5
	v_mul_f64 v[4:5], v[8:9], v[36:37]
	v_rcp_f64_e32 v[38:39], v[26:27]
	v_fma_f64 v[44:45], -v[26:27], v[38:39], 1.0
	v_fma_f64 v[38:39], v[38:39], v[44:45], v[38:39]
	v_fma_f64 v[44:45], -v[26:27], v[38:39], 1.0
	v_fma_f64 v[38:39], v[38:39], v[44:45], v[38:39]
	v_div_scale_f64 v[44:45], vcc, 1.0, v[42:43], 1.0
	v_mul_f64 v[46:47], v[44:45], v[38:39]
	v_fma_f64 v[26:27], -v[26:27], v[46:47], v[44:45]
	s_nop 1
	v_div_fmas_f64 v[26:27], v[26:27], v[38:39], v[46:47]
	v_mul_f64 v[46:47], v[16:17], v[34:35]
	v_div_fixup_f64 v[38:39], v[26:27], v[42:43], 1.0
	v_lshlrev_b64 v[26:27], 3, v[0:1]
	v_add_u32_e32 v0, s6, v0
	v_div_scale_f64 v[50:51], s[6:7], v[46:47], v[46:47], 1.0
	v_add_co_u32_e32 v44, vcc, s10, v26
	v_addc_co_u32_e32 v45, vcc, v6, v27, vcc
	global_load_dwordx2 v[44:45], v[44:45], off
	v_add_co_u32_e32 v26, vcc, s12, v26
	v_addc_co_u32_e32 v27, vcc, v63, v27, vcc
	v_mul_f64 v[4:5], v[4:5], v[38:39]
	v_rcp_f64_e32 v[55:56], v[50:51]
	v_min_f64 v[4:5], v[4:5], s[0:1]
	v_fma_f64 v[57:58], -v[50:51], v[55:56], 1.0
	v_fma_f64 v[55:56], v[55:56], v[57:58], v[55:56]
	v_fma_f64 v[57:58], -v[50:51], v[55:56], 1.0
	v_fma_f64 v[55:56], v[55:56], v[57:58], v[55:56]
	s_waitcnt vmcnt(0)
	v_mul_f64 v[4:5], v[44:45], v[4:5]
	global_store_dwordx2 v[26:27], v[4:5], off
	v_lshlrev_b64 v[4:5], 3, v[0:1]
	v_add_u32_e32 v0, s8, v0
	v_add_co_u32_e32 v26, vcc, s14, v4
	v_addc_co_u32_e32 v27, vcc, v54, v5, vcc
	global_load_dwordx2 v[44:45], v[26:27], off
	v_div_scale_f64 v[57:58], vcc, 1.0, v[46:47], 1.0
	v_mul_f64 v[59:60], v[57:58], v[55:56]
	v_fma_f64 v[50:51], -v[50:51], v[59:60], v[57:58]
	s_nop 1
	v_div_fmas_f64 v[50:51], v[50:51], v[55:56], v[59:60]
	v_div_fixup_f64 v[46:47], v[50:51], v[46:47], 1.0
	s_waitcnt vmcnt(0)
	v_mul_f64 v[4:5], v[32:33], v[44:45]
	v_mul_f64 v[4:5], v[46:47], v[4:5]
	v_lshlrev_b64 v[46:47], 3, v[0:1]
	v_add_u32_e32 v0, s2, v0
	v_add_co_u32_e32 v50, vcc, s10, v46
	v_addc_co_u32_e32 v51, vcc, v6, v47, vcc
	global_load_dwordx2 v[50:51], v[50:51], off
	v_add_co_u32_e32 v46, vcc, s12, v46
	v_addc_co_u32_e32 v47, vcc, v63, v47, vcc
	v_min_f64 v[4:5], v[4:5], s[0:1]
	s_waitcnt vmcnt(0)
	v_mul_f64 v[4:5], v[50:51], v[4:5]
	global_store_dwordx2 v[46:47], v[4:5], off
	v_mul_f64 v[4:5], v[28:29], v[32:33]
	v_mul_f64 v[28:29], v[14:15], v[34:35]
	v_div_scale_f64 v[46:47], s[6:7], v[28:29], v[28:29], 1.0
	s_mul_i32 s6, s2, 0xffffffe8
	v_rcp_f64_e32 v[50:51], v[46:47]
	v_fma_f64 v[55:56], -v[46:47], v[50:51], 1.0
	v_fma_f64 v[50:51], v[50:51], v[55:56], v[50:51]
	v_fma_f64 v[55:56], -v[46:47], v[50:51], 1.0
	v_fma_f64 v[50:51], v[50:51], v[55:56], v[50:51]
	v_div_scale_f64 v[55:56], vcc, 1.0, v[28:29], 1.0
	v_mul_f64 v[57:58], v[55:56], v[50:51]
	v_fma_f64 v[46:47], -v[46:47], v[57:58], v[55:56]
	s_nop 1
	v_div_fmas_f64 v[46:47], v[46:47], v[50:51], v[57:58]
	v_div_fixup_f64 v[28:29], v[46:47], v[28:29], 1.0
	v_mul_f64 v[4:5], v[4:5], v[28:29]
	v_lshlrev_b64 v[28:29], 3, v[0:1]
	v_add_u32_e32 v0, s6, v0
	v_add_co_u32_e32 v46, vcc, s10, v28
	v_addc_co_u32_e32 v47, vcc, v6, v29, vcc
	global_load_dwordx2 v[46:47], v[46:47], off
	v_min_f64 v[4:5], v[4:5], s[0:1]
	v_add_co_u32_e32 v28, vcc, s12, v28
	v_addc_co_u32_e32 v29, vcc, v63, v29, vcc
	s_waitcnt vmcnt(0)
	v_mul_f64 v[4:5], v[4:5], v[46:47]
	global_store_dwordx2 v[28:29], v[4:5], off
	v_mul_f64 v[28:29], v[32:33], v[40:41]
	v_lshlrev_b64 v[4:5], 3, v[0:1]
	v_add_co_u32_e32 v4, vcc, s14, v4
	v_addc_co_u32_e32 v5, vcc, v54, v5, vcc
	global_load_dwordx2 v[46:47], v[4:5], off
	v_div_scale_f64 v[50:51], s[6:7], v[28:29], v[28:29], 1.0
	v_rcp_f64_e32 v[55:56], v[50:51]
	v_fma_f64 v[57:58], -v[50:51], v[55:56], 1.0
	v_fma_f64 v[55:56], v[55:56], v[57:58], v[55:56]
	v_fma_f64 v[57:58], -v[50:51], v[55:56], 1.0
	v_fma_f64 v[55:56], v[55:56], v[57:58], v[55:56]
	v_div_scale_f64 v[57:58], vcc, 1.0, v[28:29], 1.0
	v_mul_f64 v[59:60], v[57:58], v[55:56]
	s_waitcnt vmcnt(0)
	v_mul_f64 v[4:5], v[16:17], v[46:47]
	v_mul_f64 v[14:15], v[14:15], v[46:47]
	v_fma_f64 v[50:51], -v[50:51], v[59:60], v[57:58]
	v_mul_f64 v[48:49], v[48:49], v[46:47]
	v_mul_f64 v[24:25], v[24:25], v[46:47]
	v_div_fmas_f64 v[50:51], v[50:51], v[55:56], v[59:60]
	v_div_fixup_f64 v[28:29], v[50:51], v[28:29], 1.0
	v_mul_f64 v[4:5], v[28:29], v[4:5]
	v_mad_u64_u32 v[28:29], s[6:7], s2, 25, v[0:1]
	v_mov_b32_e32 v29, v1
	s_mul_i32 s6, s2, 0xffffffee
	v_lshlrev_b64 v[50:51], 3, v[28:29]
	v_add_u32_e32 v0, s6, v28
	v_add_co_u32_e32 v55, vcc, s10, v50
	v_addc_co_u32_e32 v56, vcc, v6, v51, vcc
	global_load_dwordx2 v[55:56], v[55:56], off
	v_min_f64 v[4:5], v[4:5], s[0:1]
	v_add_co_u32_e32 v50, vcc, s12, v50
	v_addc_co_u32_e32 v51, vcc, v63, v51, vcc
	s_waitcnt vmcnt(0)
	v_mul_f64 v[4:5], v[55:56], v[4:5]
	global_store_dwordx2 v[50:51], v[4:5], off
	v_lshlrev_b64 v[4:5], 3, v[0:1]
	v_add_u32_e32 v0, s3, v0
	v_add_co_u32_e32 v4, vcc, s14, v4
	v_addc_co_u32_e32 v5, vcc, v54, v5, vcc
	global_load_dwordx2 v[50:51], v[4:5], off
	s_mul_i32 s3, s2, 0xffffffe7
	s_waitcnt vmcnt(0)
	v_mul_f64 v[28:29], v[40:41], v[50:51]
	v_mul_f64 v[16:17], v[16:17], v[50:51]
	v_div_scale_f64 v[55:56], s[6:7], v[28:29], v[28:29], 1.0
	v_rcp_f64_e32 v[57:58], v[55:56]
	v_fma_f64 v[59:60], -v[55:56], v[57:58], 1.0
	v_fma_f64 v[57:58], v[57:58], v[59:60], v[57:58]
	v_fma_f64 v[59:60], -v[55:56], v[57:58], 1.0
	v_fma_f64 v[57:58], v[57:58], v[59:60], v[57:58]
	v_div_scale_f64 v[59:60], vcc, 1.0, v[28:29], 1.0
	v_mul_f64 v[61:62], v[59:60], v[57:58]
	v_fma_f64 v[55:56], -v[55:56], v[61:62], v[59:60]
	s_nop 1
	v_div_fmas_f64 v[55:56], v[55:56], v[57:58], v[61:62]
	v_div_fixup_f64 v[55:56], v[55:56], v[28:29], 1.0
	v_mul_f64 v[14:15], v[14:15], v[55:56]
	v_lshlrev_b64 v[55:56], 3, v[0:1]
	v_add_u32_e32 v0, s3, v0
	v_add_co_u32_e32 v57, vcc, s10, v55
	v_addc_co_u32_e32 v58, vcc, v6, v56, vcc
	global_load_dwordx2 v[57:58], v[57:58], off
	v_min_f64 v[14:15], v[14:15], s[0:1]
	v_add_co_u32_e32 v55, vcc, s12, v55
	v_addc_co_u32_e32 v56, vcc, v63, v56, vcc
	s_mul_i32 s3, s2, 0xffffffdd
	s_waitcnt vmcnt(0)
	v_mul_f64 v[14:15], v[57:58], v[14:15]
	global_store_dwordx2 v[55:56], v[14:15], off
	v_lshlrev_b64 v[14:15], 3, v[0:1]
	v_add_co_u32_e32 v14, vcc, s14, v14
	v_addc_co_u32_e32 v15, vcc, v54, v15, vcc
	global_load_dwordx2 v[55:56], v[14:15], off
	s_waitcnt vmcnt(0)
	v_mul_f64 v[55:56], v[40:41], v[55:56]
	v_mul_f64 v[40:41], v[40:41], v[42:43]
	v_div_scale_f64 v[57:58], s[6:7], v[55:56], v[55:56], 1.0
	v_div_scale_f64 v[42:43], s[6:7], v[40:41], v[40:41], 1.0
	v_rcp_f64_e32 v[59:60], v[57:58]
	v_fma_f64 v[61:62], -v[57:58], v[59:60], 1.0
	v_fma_f64 v[59:60], v[59:60], v[61:62], v[59:60]
	v_fma_f64 v[61:62], -v[57:58], v[59:60], 1.0
	v_fma_f64 v[59:60], v[59:60], v[61:62], v[59:60]
	v_div_scale_f64 v[61:62], vcc, 1.0, v[55:56], 1.0
	v_mul_f64 v[52:53], v[61:62], v[59:60]
	v_fma_f64 v[57:58], -v[57:58], v[52:53], v[61:62]
	s_nop 1
	v_div_fmas_f64 v[52:53], v[57:58], v[59:60], v[52:53]
	v_div_fixup_f64 v[52:53], v[52:53], v[55:56], 1.0
	v_mul_f64 v[48:49], v[48:49], v[52:53]
	v_mad_u64_u32 v[52:53], s[6:7], s2, 26, v[0:1]
	v_mov_b32_e32 v53, v1
	v_lshlrev_b64 v[55:56], 3, v[52:53]
	v_add_u32_e32 v0, s2, v52
	v_add_co_u32_e32 v57, vcc, s10, v55
	v_addc_co_u32_e32 v58, vcc, v6, v56, vcc
	global_load_dwordx2 v[57:58], v[57:58], off
	v_min_f64 v[48:49], v[48:49], s[0:1]
	v_add_co_u32_e32 v55, vcc, s12, v55
	v_addc_co_u32_e32 v56, vcc, v63, v56, vcc
	s_waitcnt vmcnt(0)
	v_mul_f64 v[48:49], v[57:58], v[48:49]
	global_store_dwordx2 v[55:56], v[48:49], off
	v_rcp_f64_e32 v[48:49], v[42:43]
	v_fma_f64 v[55:56], -v[42:43], v[48:49], 1.0
	v_fma_f64 v[48:49], v[48:49], v[55:56], v[48:49]
	v_fma_f64 v[55:56], -v[42:43], v[48:49], 1.0
	v_fma_f64 v[48:49], v[48:49], v[55:56], v[48:49]
	v_div_scale_f64 v[55:56], vcc, 1.0, v[40:41], 1.0
	v_mul_f64 v[57:58], v[55:56], v[48:49]
	v_fma_f64 v[42:43], -v[42:43], v[57:58], v[55:56]
	s_nop 1
	v_div_fmas_f64 v[42:43], v[42:43], v[48:49], v[57:58]
	v_div_fixup_f64 v[40:41], v[42:43], v[40:41], 1.0
	v_mul_f64 v[24:25], v[40:41], v[24:25]
	v_lshlrev_b64 v[40:41], 3, v[0:1]
	v_add_u32_e32 v0, s2, v0
	v_add_co_u32_e32 v42, vcc, s10, v40
	v_addc_co_u32_e32 v43, vcc, v6, v41, vcc
	global_load_dwordx2 v[42:43], v[42:43], off
	v_min_f64 v[24:25], v[24:25], s[0:1]
	v_add_co_u32_e32 v40, vcc, s12, v40
	v_addc_co_u32_e32 v41, vcc, v63, v41, vcc
	s_waitcnt vmcnt(0)
	v_mul_f64 v[24:25], v[24:25], v[42:43]
	global_store_dwordx2 v[40:41], v[24:25], off
	v_div_scale_f64 v[40:41], s[6:7], v[16:17], v[16:17], 1.0
	v_mul_f64 v[24:25], v[44:45], v[46:47]
	v_rcp_f64_e32 v[42:43], v[40:41]
	v_fma_f64 v[44:45], -v[40:41], v[42:43], 1.0
	v_fma_f64 v[42:43], v[42:43], v[44:45], v[42:43]
	v_fma_f64 v[44:45], -v[40:41], v[42:43], 1.0
	v_fma_f64 v[42:43], v[42:43], v[44:45], v[42:43]
	v_div_scale_f64 v[44:45], vcc, 1.0, v[16:17], 1.0
	v_mul_f64 v[48:49], v[44:45], v[42:43]
	v_fma_f64 v[40:41], -v[40:41], v[48:49], v[44:45]
	s_nop 1
	v_div_fmas_f64 v[40:41], v[40:41], v[42:43], v[48:49]
	v_div_fixup_f64 v[16:17], v[40:41], v[16:17], 1.0
	v_mul_f64 v[16:17], v[24:25], v[16:17]
	v_lshlrev_b64 v[24:25], 3, v[0:1]
	v_add_u32_e32 v0, s5, v0
	v_add_co_u32_e32 v40, vcc, s10, v24
	v_addc_co_u32_e32 v41, vcc, v6, v25, vcc
	global_load_dwordx2 v[40:41], v[40:41], off
	v_min_f64 v[16:17], v[16:17], s[0:1]
	v_add_co_u32_e32 v24, vcc, s12, v24
	v_addc_co_u32_e32 v25, vcc, v63, v25, vcc
	s_waitcnt vmcnt(0)
	v_mul_f64 v[16:17], v[16:17], v[40:41]
	global_store_dwordx2 v[24:25], v[16:17], off
	v_lshlrev_b64 v[24:25], 3, v[0:1]
	v_mul_f64 v[16:17], v[32:33], v[46:47]
	v_add_co_u32_e32 v24, vcc, s14, v24
	v_addc_co_u32_e32 v25, vcc, v54, v25, vcc
	global_load_dwordx2 v[24:25], v[24:25], off
	v_add_u32_e32 v0, s4, v0
	v_mul_f64 v[16:17], v[8:9], v[16:17]
	s_waitcnt vmcnt(0)
	v_div_scale_f64 v[40:41], s[6:7], v[24:25], v[24:25], 1.0
	v_rcp_f64_e32 v[42:43], v[40:41]
	v_fma_f64 v[44:45], -v[40:41], v[42:43], 1.0
	v_fma_f64 v[42:43], v[42:43], v[44:45], v[42:43]
	v_fma_f64 v[44:45], -v[40:41], v[42:43], 1.0
	v_fma_f64 v[42:43], v[42:43], v[44:45], v[42:43]
	v_div_scale_f64 v[44:45], vcc, 1.0, v[24:25], 1.0
	v_mul_f64 v[48:49], v[44:45], v[42:43]
	v_fma_f64 v[40:41], -v[40:41], v[48:49], v[44:45]
	s_nop 1
	v_div_fmas_f64 v[40:41], v[40:41], v[42:43], v[48:49]
	v_div_fixup_f64 v[24:25], v[40:41], v[24:25], 1.0
	v_mul_f64 v[16:17], v[16:17], v[24:25]
	v_lshlrev_b64 v[24:25], 3, v[0:1]
	v_add_u32_e32 v0, s2, v0
	v_add_co_u32_e32 v40, vcc, s10, v24
	v_addc_co_u32_e32 v41, vcc, v6, v25, vcc
	global_load_dwordx2 v[40:41], v[40:41], off
	v_min_f64 v[16:17], v[16:17], s[0:1]
	v_add_co_u32_e32 v24, vcc, s12, v24
	v_addc_co_u32_e32 v25, vcc, v63, v25, vcc
	s_waitcnt vmcnt(0)
	v_mul_f64 v[16:17], v[40:41], v[16:17]
	global_store_dwordx2 v[24:25], v[16:17], off
	v_mul_f64 v[24:25], v[32:33], v[50:51]
	v_mul_f64 v[16:17], v[34:35], v[46:47]
	v_div_scale_f64 v[32:33], s[4:5], v[24:25], v[24:25], 1.0
	v_rcp_f64_e32 v[34:35], v[32:33]
	v_fma_f64 v[40:41], -v[32:33], v[34:35], 1.0
	v_fma_f64 v[34:35], v[34:35], v[40:41], v[34:35]
	v_fma_f64 v[40:41], -v[32:33], v[34:35], 1.0
	v_fma_f64 v[34:35], v[34:35], v[40:41], v[34:35]
	v_div_scale_f64 v[40:41], vcc, 1.0, v[24:25], 1.0
	v_mul_f64 v[42:43], v[40:41], v[34:35]
	v_fma_f64 v[32:33], -v[32:33], v[42:43], v[40:41]
	s_nop 1
	v_div_fmas_f64 v[32:33], v[32:33], v[34:35], v[42:43]
	v_div_fixup_f64 v[24:25], v[32:33], v[24:25], 1.0
	v_mul_f64 v[16:17], v[16:17], v[24:25]
	v_lshlrev_b64 v[24:25], 3, v[0:1]
	v_add_u32_e32 v0, s2, v0
	v_add_co_u32_e32 v32, vcc, s10, v24
	v_addc_co_u32_e32 v33, vcc, v6, v25, vcc
	global_load_dwordx2 v[32:33], v[32:33], off
	v_min_f64 v[16:17], v[16:17], s[0:1]
	v_add_co_u32_e32 v24, vcc, s12, v24
	v_addc_co_u32_e32 v25, vcc, v63, v25, vcc
	s_waitcnt vmcnt(0)
	v_mul_f64 v[16:17], v[16:17], v[32:33]
	global_store_dwordx2 v[24:25], v[16:17], off
	v_lshlrev_b64 v[24:25], 3, v[0:1]
	v_mul_f64 v[16:17], v[8:9], v[28:29]
	v_add_co_u32_e32 v32, vcc, s10, v24
	v_addc_co_u32_e32 v33, vcc, v6, v25, vcc
	global_load_dwordx2 v[32:33], v[32:33], off
	v_add_co_u32_e32 v24, vcc, s12, v24
	v_mul_f64 v[16:17], v[38:39], v[16:17]
	v_addc_co_u32_e32 v25, vcc, v63, v25, vcc
	v_add_u32_e32 v0, s2, v0
	v_min_f64 v[16:17], v[16:17], s[0:1]
	s_waitcnt vmcnt(0)
	v_mul_f64 v[16:17], v[16:17], v[32:33]
	global_store_dwordx2 v[24:25], v[16:17], off
	v_div_scale_f64 v[16:17], s[4:5], v[36:37], v[36:37], 1.0
	v_rcp_f64_e32 v[24:25], v[16:17]
	v_fma_f64 v[32:33], -v[16:17], v[24:25], 1.0
	v_fma_f64 v[24:25], v[24:25], v[32:33], v[24:25]
	v_fma_f64 v[32:33], -v[16:17], v[24:25], 1.0
	v_fma_f64 v[24:25], v[24:25], v[32:33], v[24:25]
	v_div_scale_f64 v[32:33], vcc, 1.0, v[36:37], 1.0
	v_mul_f64 v[34:35], v[32:33], v[24:25]
	v_fma_f64 v[16:17], -v[16:17], v[34:35], v[32:33]
	s_nop 1
	v_div_fmas_f64 v[16:17], v[16:17], v[24:25], v[34:35]
	v_lshlrev_b64 v[24:25], 3, v[0:1]
	v_add_u32_e32 v0, s2, v0
	v_div_fixup_f64 v[16:17], v[16:17], v[36:37], 1.0
	v_mul_f64 v[16:17], v[16:17], v[28:29]
	v_add_co_u32_e32 v28, vcc, s10, v24
	v_addc_co_u32_e32 v29, vcc, v6, v25, vcc
	global_load_dwordx2 v[28:29], v[28:29], off
	v_add_co_u32_e32 v24, vcc, s12, v24
	v_min_f64 v[16:17], v[16:17], s[0:1]
	v_addc_co_u32_e32 v25, vcc, v63, v25, vcc
	s_waitcnt vmcnt(0)
	v_mul_f64 v[16:17], v[16:17], v[28:29]
	global_store_dwordx2 v[24:25], v[16:17], off
	buffer_load_dword v40, off, s[16:19], 0 ; 4-byte Folded Reload
	buffer_load_dword v41, off, s[16:19], 0 offset:4 ; 4-byte Folded Reload
	s_waitcnt vmcnt(0)
	global_load_dwordx2 v[16:17], v[40:41], off
	global_load_dwordx2 v[24:25], v[4:5], off
	s_waitcnt vmcnt(0)
	v_mul_f64 v[28:29], v[16:17], v[24:25]
	global_load_dwordx2 v[32:33], v[2:3], off
	global_load_dwordx2 v[16:17], v[22:23], off
	s_waitcnt vmcnt(0)
	v_mul_f64 v[2:3], v[32:33], v[16:17]
	v_div_scale_f64 v[22:23], s[4:5], v[2:3], v[2:3], 1.0
	v_rcp_f64_e32 v[34:35], v[22:23]
	v_fma_f64 v[36:37], -v[22:23], v[34:35], 1.0
	v_fma_f64 v[34:35], v[34:35], v[36:37], v[34:35]
	v_fma_f64 v[36:37], -v[22:23], v[34:35], 1.0
	v_fma_f64 v[34:35], v[34:35], v[36:37], v[34:35]
	v_div_scale_f64 v[36:37], vcc, 1.0, v[2:3], 1.0
	v_mul_f64 v[38:39], v[36:37], v[34:35]
	v_fma_f64 v[22:23], -v[22:23], v[38:39], v[36:37]
	s_nop 1
	v_div_fmas_f64 v[22:23], v[22:23], v[34:35], v[38:39]
	v_div_fixup_f64 v[2:3], v[22:23], v[2:3], 1.0
	v_lshlrev_b64 v[22:23], 3, v[0:1]
	v_add_u32_e32 v0, s2, v0
	v_add_co_u32_e32 v34, vcc, s10, v22
	v_addc_co_u32_e32 v35, vcc, v6, v23, vcc
	global_load_dwordx2 v[34:35], v[34:35], off
	v_mul_f64 v[2:3], v[28:29], v[2:3]
	v_add_co_u32_e32 v22, vcc, s12, v22
	v_addc_co_u32_e32 v23, vcc, v63, v23, vcc
	v_min_f64 v[2:3], v[2:3], s[0:1]
	s_waitcnt vmcnt(0)
	v_mul_f64 v[2:3], v[34:35], v[2:3]
	global_store_dwordx2 v[22:23], v[2:3], off
	global_load_dwordx2 v[2:3], v[30:31], off
	s_nop 0
	global_load_dwordx2 v[20:21], v[20:21], off
	s_waitcnt vmcnt(0)
	v_mul_f64 v[20:21], v[2:3], v[20:21]
	global_load_dwordx2 v[18:19], v[18:19], off
	v_div_scale_f64 v[22:23], s[4:5], v[20:21], v[20:21], 1.0
	global_load_dwordx2 v[10:11], v[10:11], off
	v_rcp_f64_e32 v[30:31], v[22:23]
	global_load_dwordx2 v[4:5], v[4:5], off
	v_fma_f64 v[34:35], -v[22:23], v[30:31], 1.0
	v_fma_f64 v[30:31], v[30:31], v[34:35], v[30:31]
	v_fma_f64 v[34:35], -v[22:23], v[30:31], 1.0
	v_fma_f64 v[30:31], v[30:31], v[34:35], v[30:31]
	v_div_scale_f64 v[34:35], vcc, 1.0, v[20:21], 1.0
	v_mul_f64 v[36:37], v[34:35], v[30:31]
	s_waitcnt vmcnt(2)
	v_mul_f64 v[18:19], v[18:19], v[16:17]
	v_fma_f64 v[22:23], -v[22:23], v[36:37], v[34:35]
	s_waitcnt vmcnt(1)
	v_mul_f64 v[10:11], v[10:11], v[16:17]
	v_div_fmas_f64 v[22:23], v[22:23], v[30:31], v[36:37]
	v_div_fixup_f64 v[20:21], v[22:23], v[20:21], 1.0
	v_lshlrev_b64 v[22:23], 3, v[0:1]
	v_add_u32_e32 v0, s2, v0
	v_mul_f64 v[20:21], v[28:29], v[20:21]
	v_add_co_u32_e32 v28, vcc, s10, v22
	v_addc_co_u32_e32 v29, vcc, v6, v23, vcc
	global_load_dwordx2 v[28:29], v[28:29], off
	v_add_co_u32_e32 v22, vcc, s12, v22
	v_min_f64 v[20:21], v[20:21], s[0:1]
	v_addc_co_u32_e32 v23, vcc, v63, v23, vcc
	s_waitcnt vmcnt(0)
	v_mul_f64 v[20:21], v[28:29], v[20:21]
	global_store_dwordx2 v[22:23], v[20:21], off
	v_div_scale_f64 v[22:23], s[4:5], v[18:19], v[18:19], 1.0
	v_mul_f64 v[20:21], v[32:33], v[24:25]
	v_rcp_f64_e32 v[28:29], v[22:23]
	v_fma_f64 v[30:31], -v[22:23], v[28:29], 1.0
	v_fma_f64 v[28:29], v[28:29], v[30:31], v[28:29]
	v_fma_f64 v[30:31], -v[22:23], v[28:29], 1.0
	v_fma_f64 v[28:29], v[28:29], v[30:31], v[28:29]
	v_div_scale_f64 v[30:31], vcc, 1.0, v[18:19], 1.0
	v_mul_f64 v[32:33], v[30:31], v[28:29]
	v_fma_f64 v[22:23], -v[22:23], v[32:33], v[30:31]
	s_nop 1
	v_div_fmas_f64 v[22:23], v[22:23], v[28:29], v[32:33]
	v_div_fixup_f64 v[18:19], v[22:23], v[18:19], 1.0
	v_mul_f64 v[18:19], v[20:21], v[18:19]
	v_lshlrev_b64 v[20:21], 3, v[0:1]
	v_add_u32_e32 v0, s2, v0
	v_add_co_u32_e32 v22, vcc, s10, v20
	v_addc_co_u32_e32 v23, vcc, v6, v21, vcc
	global_load_dwordx2 v[22:23], v[22:23], off
	v_min_f64 v[18:19], v[18:19], s[0:1]
	v_add_co_u32_e32 v20, vcc, s12, v20
	v_addc_co_u32_e32 v21, vcc, v63, v21, vcc
	s_waitcnt vmcnt(0)
	v_mul_f64 v[18:19], v[22:23], v[18:19]
	global_store_dwordx2 v[20:21], v[18:19], off
	v_mul_f64 v[20:21], v[2:3], v[16:17]
	v_mul_f64 v[18:19], v[8:9], v[24:25]
	v_div_scale_f64 v[16:17], s[4:5], v[10:11], v[10:11], 1.0
	v_div_scale_f64 v[22:23], s[4:5], v[20:21], v[20:21], 1.0
	v_rcp_f64_e32 v[28:29], v[22:23]
	v_fma_f64 v[30:31], -v[22:23], v[28:29], 1.0
	v_fma_f64 v[28:29], v[28:29], v[30:31], v[28:29]
	v_fma_f64 v[30:31], -v[22:23], v[28:29], 1.0
	v_fma_f64 v[28:29], v[28:29], v[30:31], v[28:29]
	v_div_scale_f64 v[30:31], vcc, 1.0, v[20:21], 1.0
	v_mul_f64 v[32:33], v[30:31], v[28:29]
	v_fma_f64 v[22:23], -v[22:23], v[32:33], v[30:31]
	s_nop 1
	v_div_fmas_f64 v[22:23], v[22:23], v[28:29], v[32:33]
	v_div_fixup_f64 v[20:21], v[22:23], v[20:21], 1.0
	v_mul_f64 v[18:19], v[18:19], v[20:21]
	v_lshlrev_b64 v[20:21], 3, v[0:1]
	v_add_u32_e32 v0, s2, v0
	v_add_co_u32_e32 v22, vcc, s10, v20
	v_addc_co_u32_e32 v23, vcc, v6, v21, vcc
	global_load_dwordx2 v[22:23], v[22:23], off
	v_min_f64 v[18:19], v[18:19], s[0:1]
	v_add_co_u32_e32 v20, vcc, s12, v20
	v_addc_co_u32_e32 v21, vcc, v63, v21, vcc
	s_waitcnt vmcnt(0)
	v_mul_f64 v[18:19], v[22:23], v[18:19]
	global_store_dwordx2 v[20:21], v[18:19], off
	global_load_dwordx2 v[18:19], v[26:27], off
	v_rcp_f64_e32 v[20:21], v[16:17]
	v_fma_f64 v[22:23], -v[16:17], v[20:21], 1.0
	v_fma_f64 v[20:21], v[20:21], v[22:23], v[20:21]
	v_fma_f64 v[22:23], -v[16:17], v[20:21], 1.0
	v_fma_f64 v[20:21], v[20:21], v[22:23], v[20:21]
	v_div_scale_f64 v[22:23], vcc, 1.0, v[10:11], 1.0
	s_waitcnt vmcnt(0)
	v_mul_f64 v[18:19], v[18:19], v[24:25]
	v_mul_f64 v[24:25], v[22:23], v[20:21]
	v_fma_f64 v[16:17], -v[16:17], v[24:25], v[22:23]
	v_div_fmas_f64 v[16:17], v[16:17], v[20:21], v[24:25]
	v_div_fixup_f64 v[10:11], v[16:17], v[10:11], 1.0
	v_lshlrev_b64 v[16:17], 3, v[0:1]
	v_add_u32_e32 v0, s3, v0
	v_mul_f64 v[10:11], v[18:19], v[10:11]
	v_add_co_u32_e32 v18, vcc, s10, v16
	v_addc_co_u32_e32 v19, vcc, v6, v17, vcc
	global_load_dwordx2 v[18:19], v[18:19], off
	v_add_co_u32_e32 v16, vcc, s12, v16
	v_min_f64 v[10:11], v[10:11], s[0:1]
	v_addc_co_u32_e32 v17, vcc, v63, v17, vcc
	s_waitcnt vmcnt(0)
	v_mul_f64 v[10:11], v[18:19], v[10:11]
	global_store_dwordx2 v[16:17], v[10:11], off
	global_load_dwordx2 v[10:11], v[14:15], off
	s_waitcnt vmcnt(0)
	v_mul_f64 v[14:15], v[2:3], v[10:11]
	v_mul_f64 v[7:8], v[8:9], v[14:15]
	v_lshlrev_b64 v[14:15], 3, v[0:1]
	v_add_co_u32_e32 v14, vcc, s14, v14
	v_addc_co_u32_e32 v15, vcc, v54, v15, vcc
	global_load_dwordx2 v[14:15], v[14:15], off
	s_waitcnt vmcnt(0)
	v_div_scale_f64 v[16:17], s[4:5], v[14:15], v[14:15], 1.0
	v_rcp_f64_e32 v[18:19], v[16:17]
	v_fma_f64 v[20:21], -v[16:17], v[18:19], 1.0
	v_fma_f64 v[18:19], v[18:19], v[20:21], v[18:19]
	v_fma_f64 v[20:21], -v[16:17], v[18:19], 1.0
	v_fma_f64 v[18:19], v[18:19], v[20:21], v[18:19]
	v_div_scale_f64 v[20:21], vcc, 1.0, v[14:15], 1.0
	v_mul_f64 v[22:23], v[20:21], v[18:19]
	v_fma_f64 v[16:17], -v[16:17], v[22:23], v[20:21]
	s_nop 1
	v_div_fmas_f64 v[16:17], v[16:17], v[18:19], v[22:23]
	v_div_fixup_f64 v[16:17], v[16:17], v[14:15], 1.0
	v_mul_f64 v[7:8], v[7:8], v[16:17]
	v_mad_u64_u32 v[16:17], s[4:5], s2, 36, v[0:1]
	v_mov_b32_e32 v17, v1
	v_lshlrev_b64 v[17:18], 3, v[16:17]
	v_add_u32_e32 v0, s2, v16
	v_add_co_u32_e32 v19, vcc, s10, v17
	v_addc_co_u32_e32 v20, vcc, v6, v18, vcc
	global_load_dwordx2 v[19:20], v[19:20], off
	v_min_f64 v[7:8], v[7:8], s[0:1]
	v_add_co_u32_e32 v17, vcc, s12, v17
	v_addc_co_u32_e32 v18, vcc, v63, v18, vcc
	s_waitcnt vmcnt(0)
	v_mul_f64 v[7:8], v[19:20], v[7:8]
	global_store_dwordx2 v[17:18], v[7:8], off
	global_load_dwordx2 v[7:8], v[12:13], off
	v_mul_f64 v[12:13], v[2:3], v[14:15]
	v_mul_f64 v[2:3], v[2:3], v[4:5]
	v_div_scale_f64 v[14:15], s[4:5], v[12:13], v[12:13], 1.0
	v_div_scale_f64 v[4:5], s[4:5], v[2:3], v[2:3], 1.0
	v_rcp_f64_e32 v[17:18], v[14:15]
	v_fma_f64 v[19:20], -v[14:15], v[17:18], 1.0
	v_fma_f64 v[17:18], v[17:18], v[19:20], v[17:18]
	v_fma_f64 v[19:20], -v[14:15], v[17:18], 1.0
	v_fma_f64 v[17:18], v[17:18], v[19:20], v[17:18]
	v_div_scale_f64 v[19:20], vcc, 1.0, v[12:13], 1.0
	s_waitcnt vmcnt(0)
	v_mul_f64 v[7:8], v[7:8], v[10:11]
	v_mul_f64 v[21:22], v[19:20], v[17:18]
	v_fma_f64 v[14:15], -v[14:15], v[21:22], v[19:20]
	v_div_fmas_f64 v[14:15], v[14:15], v[17:18], v[21:22]
	v_div_fixup_f64 v[12:13], v[14:15], v[12:13], 1.0
	v_mul_f64 v[7:8], v[7:8], v[12:13]
	v_lshlrev_b64 v[12:13], 3, v[0:1]
	v_add_u32_e32 v0, s2, v0
	v_add_co_u32_e32 v14, vcc, s10, v12
	v_addc_co_u32_e32 v15, vcc, v6, v13, vcc
	global_load_dwordx2 v[14:15], v[14:15], off
	v_min_f64 v[7:8], v[7:8], s[0:1]
	v_add_co_u32_e32 v12, vcc, s12, v12
	v_addc_co_u32_e32 v13, vcc, v63, v13, vcc
	v_lshlrev_b64 v[0:1], 3, v[0:1]
	s_waitcnt vmcnt(0)
	v_mul_f64 v[7:8], v[14:15], v[7:8]
	global_store_dwordx2 v[12:13], v[7:8], off
	global_load_dwordx2 v[7:8], v[40:41], off
	s_waitcnt vmcnt(0)
	v_mul_f64 v[7:8], v[7:8], v[10:11]
	v_rcp_f64_e32 v[9:10], v[4:5]
	v_fma_f64 v[11:12], -v[4:5], v[9:10], 1.0
	v_fma_f64 v[9:10], v[9:10], v[11:12], v[9:10]
	v_fma_f64 v[11:12], -v[4:5], v[9:10], 1.0
	v_fma_f64 v[9:10], v[9:10], v[11:12], v[9:10]
	v_div_scale_f64 v[11:12], vcc, 1.0, v[2:3], 1.0
	v_mul_f64 v[13:14], v[11:12], v[9:10]
	v_fma_f64 v[4:5], -v[4:5], v[13:14], v[11:12]
	s_nop 1
	v_div_fmas_f64 v[4:5], v[4:5], v[9:10], v[13:14]
	v_div_fixup_f64 v[2:3], v[4:5], v[2:3], 1.0
	v_add_co_u32_e32 v4, vcc, s10, v0
	v_addc_co_u32_e32 v5, vcc, v6, v1, vcc
	global_load_dwordx2 v[4:5], v[4:5], off
	v_add_co_u32_e32 v0, vcc, s12, v0
	v_mul_f64 v[2:3], v[7:8], v[2:3]
	v_addc_co_u32_e32 v1, vcc, v63, v1, vcc
	v_min_f64 v[2:3], v[2:3], s[0:1]
	s_waitcnt vmcnt(0)
	v_mul_f64 v[2:3], v[4:5], v[2:3]
	global_store_dwordx2 v[0:1], v[2:3], off
	s_endpgm
	.section	.rodata,"a",@progbits
	.p2align	6, 0x0
	.amdhsa_kernel _Z12ratt3_kernelIdEvPKT_S2_PS0_S2_S0_
		.amdhsa_group_segment_fixed_size 0
		.amdhsa_private_segment_fixed_size 12
		.amdhsa_kernarg_size 296
		.amdhsa_user_sgpr_count 6
		.amdhsa_user_sgpr_private_segment_buffer 1
		.amdhsa_user_sgpr_dispatch_ptr 0
		.amdhsa_user_sgpr_queue_ptr 0
		.amdhsa_user_sgpr_kernarg_segment_ptr 1
		.amdhsa_user_sgpr_dispatch_id 0
		.amdhsa_user_sgpr_flat_scratch_init 0
		.amdhsa_user_sgpr_private_segment_size 0
		.amdhsa_uses_dynamic_stack 0
		.amdhsa_system_sgpr_private_segment_wavefront_offset 1
		.amdhsa_system_sgpr_workgroup_id_x 1
		.amdhsa_system_sgpr_workgroup_id_y 0
		.amdhsa_system_sgpr_workgroup_id_z 0
		.amdhsa_system_sgpr_workgroup_info 0
		.amdhsa_system_vgpr_workitem_id 0
		.amdhsa_next_free_vgpr 64
		.amdhsa_next_free_sgpr 20
		.amdhsa_reserve_vcc 1
		.amdhsa_reserve_flat_scratch 0
		.amdhsa_float_round_mode_32 0
		.amdhsa_float_round_mode_16_64 0
		.amdhsa_float_denorm_mode_32 3
		.amdhsa_float_denorm_mode_16_64 3
		.amdhsa_dx10_clamp 1
		.amdhsa_ieee_mode 1
		.amdhsa_fp16_overflow 0
		.amdhsa_exception_fp_ieee_invalid_op 0
		.amdhsa_exception_fp_denorm_src 0
		.amdhsa_exception_fp_ieee_div_zero 0
		.amdhsa_exception_fp_ieee_overflow 0
		.amdhsa_exception_fp_ieee_underflow 0
		.amdhsa_exception_fp_ieee_inexact 0
		.amdhsa_exception_int_div_zero 0
	.end_amdhsa_kernel
	.section	.text._Z12ratt3_kernelIdEvPKT_S2_PS0_S2_S0_,"axG",@progbits,_Z12ratt3_kernelIdEvPKT_S2_PS0_S2_S0_,comdat
.Lfunc_end31:
	.size	_Z12ratt3_kernelIdEvPKT_S2_PS0_S2_S0_, .Lfunc_end31-_Z12ratt3_kernelIdEvPKT_S2_PS0_S2_S0_
                                        ; -- End function
	.set _Z12ratt3_kernelIdEvPKT_S2_PS0_S2_S0_.num_vgpr, 64
	.set _Z12ratt3_kernelIdEvPKT_S2_PS0_S2_S0_.num_agpr, 0
	.set _Z12ratt3_kernelIdEvPKT_S2_PS0_S2_S0_.numbered_sgpr, 20
	.set _Z12ratt3_kernelIdEvPKT_S2_PS0_S2_S0_.num_named_barrier, 0
	.set _Z12ratt3_kernelIdEvPKT_S2_PS0_S2_S0_.private_seg_size, 12
	.set _Z12ratt3_kernelIdEvPKT_S2_PS0_S2_S0_.uses_vcc, 1
	.set _Z12ratt3_kernelIdEvPKT_S2_PS0_S2_S0_.uses_flat_scratch, 0
	.set _Z12ratt3_kernelIdEvPKT_S2_PS0_S2_S0_.has_dyn_sized_stack, 0
	.set _Z12ratt3_kernelIdEvPKT_S2_PS0_S2_S0_.has_recursion, 0
	.set _Z12ratt3_kernelIdEvPKT_S2_PS0_S2_S0_.has_indirect_call, 0
	.section	.AMDGPU.csdata,"",@progbits
; Kernel info:
; codeLenInByte = 5240
; TotalNumSgprs: 24
; NumVgprs: 64
; ScratchSize: 12
; MemoryBound: 0
; FloatMode: 240
; IeeeMode: 1
; LDSByteSize: 0 bytes/workgroup (compile time only)
; SGPRBlocks: 2
; VGPRBlocks: 15
; NumSGPRsForWavesPerEU: 24
; NumVGPRsForWavesPerEU: 64
; Occupancy: 4
; WaveLimiterHint : 0
; COMPUTE_PGM_RSRC2:SCRATCH_EN: 1
; COMPUTE_PGM_RSRC2:USER_SGPR: 6
; COMPUTE_PGM_RSRC2:TRAP_HANDLER: 0
; COMPUTE_PGM_RSRC2:TGID_X_EN: 1
; COMPUTE_PGM_RSRC2:TGID_Y_EN: 0
; COMPUTE_PGM_RSRC2:TGID_Z_EN: 0
; COMPUTE_PGM_RSRC2:TIDIG_COMP_CNT: 0
	.section	.text._Z12ratt4_kernelIdEvPKT_S2_PS0_S2_S0_,"axG",@progbits,_Z12ratt4_kernelIdEvPKT_S2_PS0_S2_S0_,comdat
	.protected	_Z12ratt4_kernelIdEvPKT_S2_PS0_S2_S0_ ; -- Begin function _Z12ratt4_kernelIdEvPKT_S2_PS0_S2_S0_
	.globl	_Z12ratt4_kernelIdEvPKT_S2_PS0_S2_S0_
	.p2align	8
	.type	_Z12ratt4_kernelIdEvPKT_S2_PS0_S2_S0_,@function
_Z12ratt4_kernelIdEvPKT_S2_PS0_S2_S0_:  ; @_Z12ratt4_kernelIdEvPKT_S2_PS0_S2_S0_
; %bb.0:
	s_load_dwordx8 s[8:15], s[4:5], 0x0
	s_load_dwordx2 s[0:1], s[4:5], 0x20
	s_load_dword s2, s[4:5], 0x28
	s_load_dword s3, s[4:5], 0x34
	v_mov_b32_e32 v1, 0
	s_waitcnt lgkmcnt(0)
	v_mov_b32_e32 v3, s9
	v_mov_b32_e32 v52, s15
	;; [unrolled: 1-line block ×3, first 2 shown]
	s_and_b32 s3, s3, 0xffff
	s_mul_i32 s6, s6, s3
	v_add_u32_e32 v0, s6, v0
	v_lshlrev_b64 v[14:15], 3, v[0:1]
	s_mul_i32 s2, s2, s3
	v_add_co_u32_e32 v2, vcc, s8, v14
	v_addc_co_u32_e32 v3, vcc, v3, v15, vcc
	global_load_dwordx2 v[2:3], v[2:3], off
	s_mul_i32 s3, s2, 3
	v_mov_b32_e32 v50, s13
	s_mul_i32 s6, s2, 0xffffffd1
	s_waitcnt vmcnt(0)
	v_mul_f64 v[2:3], s[0:1], v[2:3]
	s_brev_b32 s0, 12
	s_mov_b32 s1, 0x4193d2c6
	v_mul_f64 v[2:3], v[2:3], s[0:1]
	v_div_scale_f64 v[4:5], s[0:1], v[2:3], v[2:3], 1.0
	s_mov_b32 s0, 0
	s_mov_b32 s1, 0x412eec04
	v_rcp_f64_e32 v[6:7], v[4:5]
	v_fma_f64 v[8:9], -v[4:5], v[6:7], 1.0
	v_fma_f64 v[6:7], v[6:7], v[8:9], v[6:7]
	v_fma_f64 v[8:9], -v[4:5], v[6:7], 1.0
	v_fma_f64 v[6:7], v[6:7], v[8:9], v[6:7]
	v_div_scale_f64 v[8:9], vcc, 1.0, v[2:3], 1.0
	v_mul_f64 v[10:11], v[8:9], v[6:7]
	v_fma_f64 v[4:5], -v[4:5], v[10:11], v[8:9]
	s_nop 1
	v_div_fmas_f64 v[4:5], v[4:5], v[6:7], v[10:11]
	v_div_fixup_f64 v[2:3], v[4:5], v[2:3], 1.0
	v_mul_f64 v[20:21], v[2:3], s[0:1]
	v_add_u32_e32 v2, s3, v0
	v_mov_b32_e32 v3, v1
	v_mad_u64_u32 v[6:7], s[0:1], s2, 6, v[2:3]
	v_mov_b32_e32 v7, v1
	v_lshlrev_b64 v[4:5], 3, v[2:3]
	v_mad_u64_u32 v[8:9], s[0:1], s2, -5, v[6:7]
	v_mov_b32_e32 v9, v1
	v_add_co_u32_e32 v4, vcc, s14, v4
	v_lshlrev_b64 v[2:3], 3, v[6:7]
	v_mad_u64_u32 v[10:11], s[0:1], s2, 11, v[8:9]
	v_addc_co_u32_e32 v5, vcc, v52, v5, vcc
	v_add_co_u32_e32 v12, vcc, s14, v2
	v_lshlrev_b64 v[6:7], 3, v[8:9]
	v_addc_co_u32_e32 v13, vcc, v52, v3, vcc
	v_mov_b32_e32 v11, v1
	v_add_co_u32_e32 v6, vcc, s14, v6
	v_lshlrev_b64 v[8:9], 3, v[10:11]
	v_addc_co_u32_e32 v7, vcc, v52, v7, vcc
	v_add_co_u32_e32 v8, vcc, s14, v8
	v_addc_co_u32_e32 v9, vcc, v52, v9, vcc
	global_load_dwordx2 v[18:19], v[4:5], off
	global_load_dwordx2 v[16:17], v[12:13], off
	;; [unrolled: 1-line block ×4, first 2 shown]
	v_mad_u64_u32 v[10:11], s[0:1], s2, 35, v[10:11]
	v_mov_b32_e32 v11, v1
	v_add_u32_e32 v0, s2, v0
	v_lshlrev_b64 v[10:11], 3, v[10:11]
	global_load_dwordx2 v[12:13], v[12:13], off
	s_waitcnt vmcnt(3)
	v_mul_f64 v[2:3], v[18:19], v[16:17]
	s_waitcnt vmcnt(1)
	v_mul_f64 v[24:25], v[22:23], v[28:29]
	v_div_scale_f64 v[26:27], s[0:1], v[24:25], v[24:25], 1.0
	s_mov_b32 s0, 0x4357691b
	s_mov_b32 s1, 0x479e17b8
	v_rcp_f64_e32 v[30:31], v[26:27]
	v_fma_f64 v[32:33], -v[26:27], v[30:31], 1.0
	v_fma_f64 v[30:31], v[30:31], v[32:33], v[30:31]
	v_fma_f64 v[32:33], -v[26:27], v[30:31], 1.0
	v_fma_f64 v[30:31], v[30:31], v[32:33], v[30:31]
	v_div_scale_f64 v[32:33], vcc, 1.0, v[24:25], 1.0
	v_mul_f64 v[34:35], v[32:33], v[30:31]
	v_fma_f64 v[26:27], -v[26:27], v[34:35], v[32:33]
	v_mad_u64_u32 v[32:33], s[4:5], s2, 13, v[0:1]
	v_mov_b32_e32 v33, v1
	v_div_fmas_f64 v[26:27], v[26:27], v[30:31], v[34:35]
	v_div_fixup_f64 v[24:25], v[26:27], v[24:25], 1.0
	v_add_co_u32_e32 v26, vcc, s10, v10
	v_addc_co_u32_e32 v27, vcc, v51, v11, vcc
	global_load_dwordx2 v[26:27], v[26:27], off
	v_add_co_u32_e32 v10, vcc, s12, v10
	v_mul_f64 v[24:25], v[2:3], v[24:25]
	v_addc_co_u32_e32 v11, vcc, v50, v11, vcc
	v_min_f64 v[24:25], v[24:25], s[0:1]
	s_waitcnt vmcnt(0)
	v_mul_f64 v[24:25], v[26:27], v[24:25]
	v_lshlrev_b64 v[26:27], 3, v[32:33]
	global_store_dwordx2 v[10:11], v[24:25], off
	v_lshlrev_b64 v[10:11], 3, v[0:1]
	v_add_co_u32_e32 v24, vcc, s14, v10
	v_addc_co_u32_e32 v25, vcc, v52, v11, vcc
	global_load_dwordx2 v[30:31], v[24:25], off
	v_add_co_u32_e32 v26, vcc, s14, v26
	v_addc_co_u32_e32 v27, vcc, v52, v27, vcc
	global_load_dwordx2 v[33:34], v[26:27], off
	s_waitcnt vmcnt(1)
	v_mul_f64 v[10:11], v[30:31], v[30:31]
	v_mul_f64 v[28:29], v[28:29], v[30:31]
	s_waitcnt vmcnt(0)
	v_mul_f64 v[10:11], v[10:11], v[33:34]
	v_mul_f64 v[10:11], v[20:21], v[10:11]
	v_div_scale_f64 v[33:34], s[4:5], v[10:11], v[10:11], 1.0
	v_rcp_f64_e32 v[35:36], v[33:34]
	v_fma_f64 v[37:38], -v[33:34], v[35:36], 1.0
	v_fma_f64 v[35:36], v[35:36], v[37:38], v[35:36]
	v_fma_f64 v[37:38], -v[33:34], v[35:36], 1.0
	v_fma_f64 v[35:36], v[35:36], v[37:38], v[35:36]
	v_div_scale_f64 v[37:38], vcc, 1.0, v[10:11], 1.0
	v_mul_f64 v[39:40], v[37:38], v[35:36]
	v_fma_f64 v[33:34], -v[33:34], v[39:40], v[37:38]
	s_nop 1
	v_div_fmas_f64 v[33:34], v[33:34], v[35:36], v[39:40]
	v_div_fixup_f64 v[10:11], v[33:34], v[10:11], 1.0
	v_mul_f64 v[2:3], v[2:3], v[10:11]
	v_mad_u64_u32 v[10:11], s[4:5], s2, 37, v[32:33]
	v_mov_b32_e32 v11, v1
	s_mul_i32 s4, s2, 0xffffffdd
	v_lshlrev_b64 v[32:33], 3, v[10:11]
	v_add_u32_e32 v0, s4, v10
	v_add_co_u32_e32 v34, vcc, s10, v32
	v_addc_co_u32_e32 v35, vcc, v51, v33, vcc
	global_load_dwordx2 v[34:35], v[34:35], off
	v_min_f64 v[2:3], v[2:3], s[0:1]
	v_add_co_u32_e32 v32, vcc, s12, v32
	v_lshlrev_b64 v[10:11], 3, v[0:1]
	v_addc_co_u32_e32 v33, vcc, v50, v33, vcc
	s_waitcnt vmcnt(0)
	v_mul_f64 v[2:3], v[34:35], v[2:3]
	global_store_dwordx2 v[32:33], v[2:3], off
	v_add_co_u32_e32 v32, vcc, s14, v10
	v_addc_co_u32_e32 v33, vcc, v52, v11, vcc
	global_load_dwordx2 v[34:35], v[32:33], off
	v_mul_f64 v[2:3], v[16:17], v[22:23]
	s_waitcnt vmcnt(0)
	v_mul_f64 v[10:11], v[30:31], v[34:35]
	v_mul_f64 v[34:35], v[22:23], v[34:35]
	v_div_scale_f64 v[36:37], s[4:5], v[10:11], v[10:11], 1.0
	v_rcp_f64_e32 v[38:39], v[36:37]
	v_fma_f64 v[40:41], -v[36:37], v[38:39], 1.0
	v_fma_f64 v[38:39], v[38:39], v[40:41], v[38:39]
	v_fma_f64 v[40:41], -v[36:37], v[38:39], 1.0
	v_fma_f64 v[38:39], v[38:39], v[40:41], v[38:39]
	v_div_scale_f64 v[40:41], vcc, 1.0, v[10:11], 1.0
	v_mul_f64 v[42:43], v[40:41], v[38:39]
	v_fma_f64 v[36:37], -v[36:37], v[42:43], v[40:41]
	s_nop 1
	v_div_fmas_f64 v[36:37], v[36:37], v[38:39], v[42:43]
	v_div_fixup_f64 v[38:39], v[36:37], v[10:11], 1.0
	v_mad_u64_u32 v[36:37], s[4:5], s2, 36, v[0:1]
	v_mov_b32_e32 v37, v1
	v_lshlrev_b64 v[40:41], 3, v[36:37]
	v_add_u32_e32 v0, s6, v36
	v_add_co_u32_e32 v42, vcc, s10, v40
	v_addc_co_u32_e32 v43, vcc, v51, v41, vcc
	global_load_dwordx2 v[42:43], v[42:43], off
	v_mul_f64 v[10:11], v[2:3], v[38:39]
	v_add_co_u32_e32 v40, vcc, s12, v40
	v_addc_co_u32_e32 v41, vcc, v50, v41, vcc
	v_min_f64 v[10:11], v[10:11], s[0:1]
	s_waitcnt vmcnt(0)
	v_mul_f64 v[10:11], v[42:43], v[10:11]
	global_store_dwordx2 v[40:41], v[10:11], off
	v_lshlrev_b64 v[10:11], 3, v[0:1]
	v_add_u32_e32 v0, s3, v0
	v_add_co_u32_e32 v10, vcc, s14, v10
	v_lshlrev_b64 v[40:41], 3, v[0:1]
	v_addc_co_u32_e32 v11, vcc, v52, v11, vcc
	v_add_co_u32_e32 v40, vcc, s14, v40
	v_addc_co_u32_e32 v41, vcc, v52, v41, vcc
	global_load_dwordx2 v[36:37], v[10:11], off
	global_load_dwordx2 v[46:47], v[40:41], off
	s_mul_i32 s3, s2, 48
	s_waitcnt vmcnt(0)
	v_mul_f64 v[40:41], v[36:37], v[46:47]
	v_div_scale_f64 v[42:43], s[4:5], v[40:41], v[40:41], 1.0
	v_rcp_f64_e32 v[44:45], v[42:43]
	v_fma_f64 v[48:49], -v[42:43], v[44:45], 1.0
	v_fma_f64 v[44:45], v[44:45], v[48:49], v[44:45]
	v_fma_f64 v[48:49], -v[42:43], v[44:45], 1.0
	v_fma_f64 v[44:45], v[44:45], v[48:49], v[44:45]
	v_div_scale_f64 v[48:49], vcc, 1.0, v[40:41], 1.0
	v_mul_f64 v[53:54], v[48:49], v[44:45]
	v_fma_f64 v[42:43], -v[42:43], v[53:54], v[48:49]
	s_nop 1
	v_div_fmas_f64 v[42:43], v[42:43], v[44:45], v[53:54]
	v_div_fixup_f64 v[40:41], v[42:43], v[40:41], 1.0
	v_mul_f64 v[2:3], v[2:3], v[40:41]
	v_mad_u64_u32 v[40:41], s[4:5], s2, 45, v[0:1]
	v_mov_b32_e32 v41, v1
	v_lshlrev_b64 v[41:42], 3, v[40:41]
	v_add_u32_e32 v0, s6, v40
	v_add_co_u32_e32 v43, vcc, s10, v41
	v_addc_co_u32_e32 v44, vcc, v51, v42, vcc
	global_load_dwordx2 v[43:44], v[43:44], off
	v_min_f64 v[2:3], v[2:3], s[0:1]
	v_add_co_u32_e32 v41, vcc, s12, v41
	v_addc_co_u32_e32 v42, vcc, v50, v42, vcc
	s_waitcnt vmcnt(0)
	v_mul_f64 v[2:3], v[43:44], v[2:3]
	global_store_dwordx2 v[41:42], v[2:3], off
	v_div_scale_f64 v[42:43], s[4:5], v[34:35], v[34:35], 1.0
	v_lshlrev_b64 v[2:3], 3, v[0:1]
	v_add_u32_e32 v0, s3, v0
	v_add_co_u32_e32 v2, vcc, s14, v2
	v_addc_co_u32_e32 v3, vcc, v52, v3, vcc
	global_load_dwordx2 v[40:41], v[2:3], off
	s_mul_i32 s4, s2, 0xffffffd7
	v_rcp_f64_e32 v[44:45], v[42:43]
	v_fma_f64 v[48:49], -v[42:43], v[44:45], 1.0
	v_fma_f64 v[44:45], v[44:45], v[48:49], v[44:45]
	v_fma_f64 v[48:49], -v[42:43], v[44:45], 1.0
	v_fma_f64 v[44:45], v[44:45], v[48:49], v[44:45]
	v_div_scale_f64 v[48:49], vcc, 1.0, v[34:35], 1.0
	v_mul_f64 v[53:54], v[48:49], v[44:45]
	v_fma_f64 v[42:43], -v[42:43], v[53:54], v[48:49]
	s_waitcnt vmcnt(0)
	v_mul_f64 v[40:41], v[16:17], v[40:41]
	v_div_fmas_f64 v[42:43], v[42:43], v[44:45], v[53:54]
	v_div_fixup_f64 v[34:35], v[42:43], v[34:35], 1.0
	v_mul_f64 v[34:35], v[34:35], v[40:41]
	v_lshlrev_b64 v[40:41], 3, v[0:1]
	v_add_u32_e32 v0, s4, v0
	v_add_co_u32_e32 v42, vcc, s10, v40
	v_addc_co_u32_e32 v43, vcc, v51, v41, vcc
	global_load_dwordx2 v[42:43], v[42:43], off
	v_min_f64 v[34:35], v[34:35], s[0:1]
	v_add_co_u32_e32 v40, vcc, s12, v40
	v_mad_u64_u32 v[44:45], s[4:5], s2, 12, v[0:1]
	v_addc_co_u32_e32 v41, vcc, v50, v41, vcc
	v_mov_b32_e32 v45, v1
	v_lshlrev_b64 v[48:49], 3, v[44:45]
	v_mad_u64_u32 v[44:45], s[4:5], s2, 30, v[44:45]
	v_mov_b32_e32 v45, v1
	s_waitcnt vmcnt(0)
	v_mul_f64 v[34:35], v[42:43], v[34:35]
	global_store_dwordx2 v[40:41], v[34:35], off
	v_lshlrev_b64 v[34:35], 3, v[0:1]
	v_add_co_u32_e32 v34, vcc, s14, v34
	v_addc_co_u32_e32 v35, vcc, v52, v35, vcc
	v_add_co_u32_e32 v48, vcc, s14, v48
	v_addc_co_u32_e32 v49, vcc, v52, v49, vcc
	global_load_dwordx2 v[40:41], v[34:35], off
	s_nop 0
	global_load_dwordx2 v[48:49], v[48:49], off
	s_waitcnt vmcnt(1)
	v_mul_f64 v[42:43], v[16:17], v[40:41]
	s_waitcnt vmcnt(0)
	v_div_scale_f64 v[53:54], s[4:5], v[48:49], v[48:49], 1.0
	s_mul_i32 s4, s2, 0xffffffdb
	v_add_u32_e32 v0, s4, v44
	v_mul_f64 v[42:43], v[20:21], v[42:43]
	v_rcp_f64_e32 v[55:56], v[53:54]
	v_fma_f64 v[57:58], -v[53:54], v[55:56], 1.0
	v_fma_f64 v[55:56], v[55:56], v[57:58], v[55:56]
	v_fma_f64 v[57:58], -v[53:54], v[55:56], 1.0
	v_fma_f64 v[55:56], v[55:56], v[57:58], v[55:56]
	v_div_scale_f64 v[57:58], vcc, 1.0, v[48:49], 1.0
	v_mul_f64 v[59:60], v[57:58], v[55:56]
	v_fma_f64 v[53:54], -v[53:54], v[59:60], v[57:58]
	s_nop 1
	v_div_fmas_f64 v[53:54], v[53:54], v[55:56], v[59:60]
	v_div_fixup_f64 v[48:49], v[53:54], v[48:49], 1.0
	v_mul_f64 v[42:43], v[42:43], v[48:49]
	v_lshlrev_b64 v[48:49], 3, v[44:45]
	v_lshlrev_b64 v[44:45], 3, v[0:1]
	v_add_co_u32_e32 v53, vcc, s10, v48
	v_addc_co_u32_e32 v54, vcc, v51, v49, vcc
	global_load_dwordx2 v[53:54], v[53:54], off
	v_add_co_u32_e32 v48, vcc, s12, v48
	v_addc_co_u32_e32 v49, vcc, v50, v49, vcc
	v_add_co_u32_e32 v44, vcc, s14, v44
	v_addc_co_u32_e32 v45, vcc, v52, v45, vcc
	global_load_dwordx2 v[44:45], v[44:45], off
	v_min_f64 v[42:43], v[42:43], s[0:1]
	s_waitcnt vmcnt(1)
	v_mul_f64 v[42:43], v[53:54], v[42:43]
	global_store_dwordx2 v[48:49], v[42:43], off
	s_waitcnt vmcnt(1)
	v_mul_f64 v[48:49], v[30:31], v[44:45]
	v_mul_f64 v[42:43], v[16:17], v[46:47]
	v_div_scale_f64 v[53:54], s[4:5], v[48:49], v[48:49], 1.0
	v_rcp_f64_e32 v[55:56], v[53:54]
	v_fma_f64 v[57:58], -v[53:54], v[55:56], 1.0
	v_fma_f64 v[55:56], v[55:56], v[57:58], v[55:56]
	v_fma_f64 v[57:58], -v[53:54], v[55:56], 1.0
	v_fma_f64 v[55:56], v[55:56], v[57:58], v[55:56]
	v_div_scale_f64 v[57:58], vcc, 1.0, v[48:49], 1.0
	v_mul_f64 v[59:60], v[57:58], v[55:56]
	v_fma_f64 v[53:54], -v[53:54], v[59:60], v[57:58]
	s_nop 1
	v_div_fmas_f64 v[53:54], v[53:54], v[55:56], v[59:60]
	v_div_fixup_f64 v[48:49], v[53:54], v[48:49], 1.0
	v_mad_u64_u32 v[53:54], s[4:5], s2, 38, v[0:1]
	v_mov_b32_e32 v54, v1
	v_add_u32_e32 v0, s2, v53
	v_mul_f64 v[42:43], v[42:43], v[48:49]
	v_lshlrev_b64 v[48:49], 3, v[53:54]
	v_add_co_u32_e32 v54, vcc, s10, v48
	v_addc_co_u32_e32 v55, vcc, v51, v49, vcc
	global_load_dwordx2 v[54:55], v[54:55], off
	v_min_f64 v[42:43], v[42:43], s[0:1]
	v_add_co_u32_e32 v48, vcc, s12, v48
	v_addc_co_u32_e32 v49, vcc, v50, v49, vcc
	v_add_co_u32_e32 v14, vcc, s14, v14
	v_addc_co_u32_e32 v15, vcc, v52, v15, vcc
	s_waitcnt vmcnt(0)
	v_mul_f64 v[42:43], v[54:55], v[42:43]
	global_store_dwordx2 v[48:49], v[42:43], off
	global_load_dwordx2 v[48:49], v[14:15], off
	v_mul_f64 v[42:43], v[16:17], v[16:17]
	s_waitcnt vmcnt(0)
	v_mul_f64 v[44:45], v[44:45], v[48:49]
	v_mul_f64 v[46:47], v[46:47], v[48:49]
	v_div_scale_f64 v[54:55], s[4:5], v[44:45], v[44:45], 1.0
	v_rcp_f64_e32 v[56:57], v[54:55]
	v_fma_f64 v[58:59], -v[54:55], v[56:57], 1.0
	v_fma_f64 v[56:57], v[56:57], v[58:59], v[56:57]
	v_fma_f64 v[58:59], -v[54:55], v[56:57], 1.0
	v_fma_f64 v[56:57], v[56:57], v[58:59], v[56:57]
	v_div_scale_f64 v[58:59], vcc, 1.0, v[44:45], 1.0
	v_mul_f64 v[60:61], v[58:59], v[56:57]
	v_fma_f64 v[54:55], -v[54:55], v[60:61], v[58:59]
	s_nop 1
	v_div_fmas_f64 v[54:55], v[54:55], v[56:57], v[60:61]
	v_div_fixup_f64 v[44:45], v[54:55], v[44:45], 1.0
	v_mul_f64 v[42:43], v[42:43], v[44:45]
	v_lshlrev_b64 v[44:45], 3, v[0:1]
	v_add_u32_e32 v0, s6, v0
	v_add_co_u32_e32 v53, vcc, s10, v44
	v_addc_co_u32_e32 v54, vcc, v51, v45, vcc
	global_load_dwordx2 v[53:54], v[53:54], off
	v_min_f64 v[42:43], v[42:43], s[0:1]
	v_add_co_u32_e32 v44, vcc, s12, v44
	v_addc_co_u32_e32 v45, vcc, v50, v45, vcc
	s_waitcnt vmcnt(0)
	v_mul_f64 v[42:43], v[53:54], v[42:43]
	v_div_scale_f64 v[53:54], s[4:5], v[16:17], v[16:17], 1.0
	global_store_dwordx2 v[44:45], v[42:43], off
	v_lshlrev_b64 v[42:43], 3, v[0:1]
	v_add_u32_e32 v0, s3, v0
	v_add_co_u32_e32 v42, vcc, s14, v42
	v_addc_co_u32_e32 v43, vcc, v52, v43, vcc
	global_load_dwordx2 v[44:45], v[42:43], off
	s_mul_i32 s3, s2, 0xffffffc7
	v_rcp_f64_e32 v[55:56], v[53:54]
	v_fma_f64 v[57:58], -v[53:54], v[55:56], 1.0
	v_fma_f64 v[55:56], v[55:56], v[57:58], v[55:56]
	v_fma_f64 v[57:58], -v[53:54], v[55:56], 1.0
	v_fma_f64 v[55:56], v[55:56], v[57:58], v[55:56]
	v_div_scale_f64 v[57:58], vcc, 1.0, v[16:17], 1.0
	v_mul_f64 v[59:60], v[57:58], v[55:56]
	v_fma_f64 v[53:54], -v[53:54], v[59:60], v[57:58]
	s_nop 1
	v_div_fmas_f64 v[53:54], v[53:54], v[55:56], v[59:60]
	s_waitcnt vmcnt(0)
	v_mul_f64 v[18:19], v[18:19], v[44:45]
	v_div_fixup_f64 v[16:17], v[53:54], v[16:17], 1.0
	v_lshlrev_b64 v[53:54], 3, v[0:1]
	v_add_u32_e32 v0, s2, v0
	v_add_co_u32_e32 v55, vcc, s10, v53
	v_addc_co_u32_e32 v56, vcc, v51, v54, vcc
	global_load_dwordx2 v[55:56], v[55:56], off
	v_mul_f64 v[16:17], v[16:17], v[44:45]
	v_add_co_u32_e32 v53, vcc, s12, v53
	v_addc_co_u32_e32 v54, vcc, v50, v54, vcc
	v_min_f64 v[16:17], v[16:17], s[0:1]
	s_waitcnt vmcnt(0)
	v_mul_f64 v[16:17], v[55:56], v[16:17]
	global_store_dwordx2 v[53:54], v[16:17], off
	v_div_scale_f64 v[53:54], s[4:5], v[46:47], v[46:47], 1.0
	v_mul_f64 v[16:17], v[30:31], v[44:45]
	v_rcp_f64_e32 v[55:56], v[53:54]
	v_fma_f64 v[57:58], -v[53:54], v[55:56], 1.0
	v_fma_f64 v[55:56], v[55:56], v[57:58], v[55:56]
	v_fma_f64 v[57:58], -v[53:54], v[55:56], 1.0
	v_fma_f64 v[55:56], v[55:56], v[57:58], v[55:56]
	v_div_scale_f64 v[57:58], vcc, 1.0, v[46:47], 1.0
	v_mul_f64 v[59:60], v[57:58], v[55:56]
	v_fma_f64 v[53:54], -v[53:54], v[59:60], v[57:58]
	s_nop 1
	v_div_fmas_f64 v[53:54], v[53:54], v[55:56], v[59:60]
	v_div_fixup_f64 v[46:47], v[53:54], v[46:47], 1.0
	v_mul_f64 v[16:17], v[46:47], v[16:17]
	v_lshlrev_b64 v[46:47], 3, v[0:1]
	v_add_u32_e32 v0, s3, v0
	v_add_co_u32_e32 v53, vcc, s10, v46
	v_addc_co_u32_e32 v54, vcc, v51, v47, vcc
	global_load_dwordx2 v[53:54], v[53:54], off
	v_min_f64 v[16:17], v[16:17], s[0:1]
	v_add_co_u32_e32 v46, vcc, s12, v46
	v_addc_co_u32_e32 v47, vcc, v50, v47, vcc
	s_mul_i32 s3, s2, 0xffffffcd
	s_waitcnt vmcnt(0)
	v_mul_f64 v[16:17], v[53:54], v[16:17]
	v_mul_f64 v[53:54], v[40:41], v[48:49]
	global_store_dwordx2 v[46:47], v[16:17], off
	v_div_scale_f64 v[55:56], s[4:5], v[53:54], v[53:54], 1.0
	v_lshlrev_b64 v[16:17], 3, v[0:1]
	v_add_co_u32_e32 v16, vcc, s14, v16
	v_addc_co_u32_e32 v17, vcc, v52, v17, vcc
	global_load_dwordx2 v[46:47], v[16:17], off
	v_rcp_f64_e32 v[57:58], v[55:56]
	v_fma_f64 v[59:60], -v[55:56], v[57:58], 1.0
	v_fma_f64 v[57:58], v[57:58], v[59:60], v[57:58]
	v_fma_f64 v[59:60], -v[55:56], v[57:58], 1.0
	v_fma_f64 v[57:58], v[57:58], v[59:60], v[57:58]
	v_div_scale_f64 v[59:60], vcc, 1.0, v[53:54], 1.0
	v_mul_f64 v[61:62], v[59:60], v[57:58]
	v_fma_f64 v[55:56], -v[55:56], v[61:62], v[59:60]
	s_waitcnt vmcnt(0)
	v_mul_f64 v[46:47], v[44:45], v[46:47]
	v_div_fmas_f64 v[55:56], v[55:56], v[57:58], v[61:62]
	v_div_fixup_f64 v[53:54], v[55:56], v[53:54], 1.0
	v_mad_u64_u32 v[55:56], s[4:5], s2, 58, v[0:1]
	v_mov_b32_e32 v56, v1
	v_lshlrev_b64 v[56:57], 3, v[55:56]
	v_add_u32_e32 v0, s2, v55
	v_add_co_u32_e32 v58, vcc, s10, v56
	v_addc_co_u32_e32 v59, vcc, v51, v57, vcc
	global_load_dwordx2 v[58:59], v[58:59], off
	v_mul_f64 v[53:54], v[53:54], v[46:47]
	v_add_co_u32_e32 v56, vcc, s12, v56
	v_addc_co_u32_e32 v57, vcc, v50, v57, vcc
	v_min_f64 v[53:54], v[53:54], s[0:1]
	s_waitcnt vmcnt(0)
	v_mul_f64 v[53:54], v[58:59], v[53:54]
	global_store_dwordx2 v[56:57], v[53:54], off
	v_div_scale_f64 v[53:54], s[4:5], v[28:29], v[28:29], 1.0
	v_rcp_f64_e32 v[56:57], v[53:54]
	v_fma_f64 v[58:59], -v[53:54], v[56:57], 1.0
	v_fma_f64 v[56:57], v[56:57], v[58:59], v[56:57]
	v_fma_f64 v[58:59], -v[53:54], v[56:57], 1.0
	v_fma_f64 v[56:57], v[56:57], v[58:59], v[56:57]
	v_div_scale_f64 v[58:59], vcc, 1.0, v[28:29], 1.0
	v_mul_f64 v[60:61], v[58:59], v[56:57]
	v_fma_f64 v[53:54], -v[53:54], v[60:61], v[58:59]
	s_nop 1
	v_div_fmas_f64 v[53:54], v[53:54], v[56:57], v[60:61]
	v_div_fixup_f64 v[28:29], v[53:54], v[28:29], 1.0
	v_mul_f64 v[28:29], v[28:29], v[46:47]
	v_lshlrev_b64 v[46:47], 3, v[0:1]
	v_add_u32_e32 v0, s2, v0
	v_add_co_u32_e32 v53, vcc, s10, v46
	v_addc_co_u32_e32 v54, vcc, v51, v47, vcc
	global_load_dwordx2 v[53:54], v[53:54], off
	v_min_f64 v[28:29], v[28:29], s[0:1]
	v_add_co_u32_e32 v46, vcc, s12, v46
	v_addc_co_u32_e32 v47, vcc, v50, v47, vcc
	s_waitcnt vmcnt(0)
	v_mul_f64 v[28:29], v[53:54], v[28:29]
	global_store_dwordx2 v[46:47], v[28:29], off
	v_mul_f64 v[28:29], v[22:23], v[44:45]
	v_mul_f64 v[22:23], v[22:23], v[30:31]
	;; [unrolled: 1-line block ×3, first 2 shown]
	v_lshlrev_b64 v[38:39], 3, v[0:1]
	v_add_u32_e32 v0, s3, v0
	v_add_co_u32_e32 v46, vcc, s10, v38
	v_addc_co_u32_e32 v47, vcc, v51, v39, vcc
	global_load_dwordx2 v[46:47], v[46:47], off
	v_min_f64 v[28:29], v[28:29], s[0:1]
	v_add_co_u32_e32 v38, vcc, s12, v38
	v_addc_co_u32_e32 v39, vcc, v50, v39, vcc
	v_mul_f64 v[22:23], v[22:23], v[40:41]
	s_mul_i32 s3, s2, 0xffffffcc
	v_mul_f64 v[22:23], v[20:21], v[22:23]
	s_waitcnt vmcnt(0)
	v_mul_f64 v[28:29], v[28:29], v[46:47]
	global_store_dwordx2 v[38:39], v[28:29], off
	v_lshlrev_b64 v[38:39], 3, v[0:1]
	v_mul_f64 v[28:29], v[48:49], v[44:45]
	v_add_co_u32_e32 v38, vcc, s14, v38
	v_addc_co_u32_e32 v39, vcc, v52, v39, vcc
	global_load_dwordx2 v[38:39], v[38:39], off
	s_waitcnt vmcnt(0)
	v_mul_f64 v[38:39], v[30:31], v[38:39]
	v_div_scale_f64 v[46:47], s[4:5], v[38:39], v[38:39], 1.0
	v_rcp_f64_e32 v[48:49], v[46:47]
	v_fma_f64 v[53:54], -v[46:47], v[48:49], 1.0
	v_fma_f64 v[48:49], v[48:49], v[53:54], v[48:49]
	v_fma_f64 v[53:54], -v[46:47], v[48:49], 1.0
	v_fma_f64 v[48:49], v[48:49], v[53:54], v[48:49]
	v_div_scale_f64 v[53:54], vcc, 1.0, v[38:39], 1.0
	v_mul_f64 v[55:56], v[53:54], v[48:49]
	v_fma_f64 v[46:47], -v[46:47], v[55:56], v[53:54]
	s_nop 1
	v_div_fmas_f64 v[46:47], v[46:47], v[48:49], v[55:56]
	v_div_fixup_f64 v[38:39], v[46:47], v[38:39], 1.0
	v_mul_f64 v[28:29], v[28:29], v[38:39]
	v_mad_u64_u32 v[38:39], s[4:5], s2, 52, v[0:1]
	v_mov_b32_e32 v39, v1
	v_lshlrev_b64 v[46:47], 3, v[38:39]
	v_add_u32_e32 v0, s2, v38
	v_add_co_u32_e32 v48, vcc, s10, v46
	v_addc_co_u32_e32 v49, vcc, v51, v47, vcc
	global_load_dwordx2 v[48:49], v[48:49], off
	v_min_f64 v[28:29], v[28:29], s[0:1]
	v_add_co_u32_e32 v46, vcc, s12, v46
	v_addc_co_u32_e32 v47, vcc, v50, v47, vcc
	s_waitcnt vmcnt(0)
	v_mul_f64 v[28:29], v[48:49], v[28:29]
	global_store_dwordx2 v[46:47], v[28:29], off
	v_div_scale_f64 v[28:29], s[4:5], v[22:23], v[22:23], 1.0
	v_rcp_f64_e32 v[30:31], v[28:29]
	v_fma_f64 v[46:47], -v[28:29], v[30:31], 1.0
	v_fma_f64 v[30:31], v[30:31], v[46:47], v[30:31]
	v_fma_f64 v[46:47], -v[28:29], v[30:31], 1.0
	v_fma_f64 v[30:31], v[30:31], v[46:47], v[30:31]
	v_div_scale_f64 v[46:47], vcc, 1.0, v[22:23], 1.0
	v_mul_f64 v[48:49], v[46:47], v[30:31]
	v_fma_f64 v[28:29], -v[28:29], v[48:49], v[46:47]
	s_nop 1
	v_div_fmas_f64 v[28:29], v[28:29], v[30:31], v[48:49]
	v_div_fixup_f64 v[22:23], v[28:29], v[22:23], 1.0
	v_lshlrev_b64 v[28:29], 3, v[0:1]
	v_add_u32_e32 v0, s2, v0
	v_add_co_u32_e32 v30, vcc, s10, v28
	v_addc_co_u32_e32 v31, vcc, v51, v29, vcc
	global_load_dwordx2 v[30:31], v[30:31], off
	v_mul_f64 v[22:23], v[22:23], v[18:19]
	v_add_co_u32_e32 v28, vcc, s12, v28
	v_addc_co_u32_e32 v29, vcc, v50, v29, vcc
	v_min_f64 v[22:23], v[22:23], s[0:1]
	s_waitcnt vmcnt(0)
	v_mul_f64 v[22:23], v[22:23], v[30:31]
	global_store_dwordx2 v[28:29], v[22:23], off
	v_mul_f64 v[22:23], v[36:37], v[40:41]
	v_div_scale_f64 v[28:29], s[4:5], v[22:23], v[22:23], 1.0
	v_rcp_f64_e32 v[30:31], v[28:29]
	v_fma_f64 v[36:37], -v[28:29], v[30:31], 1.0
	v_fma_f64 v[30:31], v[30:31], v[36:37], v[30:31]
	v_fma_f64 v[36:37], -v[28:29], v[30:31], 1.0
	v_fma_f64 v[30:31], v[30:31], v[36:37], v[30:31]
	v_div_scale_f64 v[36:37], vcc, 1.0, v[22:23], 1.0
	v_mul_f64 v[38:39], v[36:37], v[30:31]
	v_fma_f64 v[28:29], -v[28:29], v[38:39], v[36:37]
	s_nop 1
	v_div_fmas_f64 v[28:29], v[28:29], v[30:31], v[38:39]
	v_div_fixup_f64 v[22:23], v[28:29], v[22:23], 1.0
	v_mul_f64 v[18:19], v[22:23], v[18:19]
	v_lshlrev_b64 v[22:23], 3, v[0:1]
	v_add_u32_e32 v0, s2, v0
	v_add_co_u32_e32 v28, vcc, s10, v22
	v_addc_co_u32_e32 v29, vcc, v51, v23, vcc
	global_load_dwordx2 v[28:29], v[28:29], off
	v_min_f64 v[18:19], v[18:19], s[0:1]
	v_add_co_u32_e32 v22, vcc, s12, v22
	v_addc_co_u32_e32 v23, vcc, v50, v23, vcc
	s_waitcnt vmcnt(0)
	v_mul_f64 v[18:19], v[18:19], v[28:29]
	global_store_dwordx2 v[22:23], v[18:19], off
	v_div_scale_f64 v[18:19], s[4:5], v[12:13], v[12:13], 1.0
	v_rcp_f64_e32 v[22:23], v[18:19]
	v_fma_f64 v[28:29], -v[18:19], v[22:23], 1.0
	v_fma_f64 v[22:23], v[22:23], v[28:29], v[22:23]
	v_fma_f64 v[28:29], -v[18:19], v[22:23], 1.0
	v_fma_f64 v[22:23], v[22:23], v[28:29], v[22:23]
	v_div_scale_f64 v[28:29], vcc, 1.0, v[12:13], 1.0
	v_mul_f64 v[30:31], v[28:29], v[22:23]
	v_fma_f64 v[18:19], -v[18:19], v[30:31], v[28:29]
	s_nop 1
	v_div_fmas_f64 v[18:19], v[18:19], v[22:23], v[30:31]
	v_lshlrev_b64 v[22:23], 3, v[0:1]
	v_add_u32_e32 v0, s2, v0
	v_add_co_u32_e32 v28, vcc, s10, v22
	v_addc_co_u32_e32 v29, vcc, v51, v23, vcc
	global_load_dwordx2 v[28:29], v[28:29], off
	v_add_co_u32_e32 v22, vcc, s12, v22
	v_addc_co_u32_e32 v23, vcc, v50, v23, vcc
	v_div_fixup_f64 v[12:13], v[18:19], v[12:13], 1.0
	v_mul_f64 v[18:19], v[44:45], v[12:13]
	v_min_f64 v[18:19], v[18:19], s[0:1]
	s_waitcnt vmcnt(0)
	v_mul_f64 v[18:19], v[28:29], v[18:19]
	global_store_dwordx2 v[22:23], v[18:19], off
	global_load_dwordx2 v[18:19], v[42:43], off
	v_lshlrev_b64 v[22:23], 3, v[0:1]
	v_add_u32_e32 v0, s2, v0
	v_add_co_u32_e32 v28, vcc, s10, v22
	v_addc_co_u32_e32 v29, vcc, v51, v23, vcc
	global_load_dwordx2 v[28:29], v[28:29], off
	v_add_co_u32_e32 v22, vcc, s12, v22
	v_addc_co_u32_e32 v23, vcc, v50, v23, vcc
	s_waitcnt vmcnt(1)
	v_mul_f64 v[12:13], v[18:19], v[12:13]
	v_min_f64 v[12:13], v[12:13], s[0:1]
	s_waitcnt vmcnt(0)
	v_mul_f64 v[28:29], v[28:29], v[12:13]
	global_store_dwordx2 v[22:23], v[28:29], off
	v_lshlrev_b64 v[22:23], 3, v[0:1]
	v_add_u32_e32 v0, s2, v0
	v_add_co_u32_e32 v28, vcc, s10, v22
	v_addc_co_u32_e32 v29, vcc, v51, v23, vcc
	global_load_dwordx2 v[28:29], v[28:29], off
	v_add_co_u32_e32 v22, vcc, s12, v22
	v_addc_co_u32_e32 v23, vcc, v50, v23, vcc
	s_waitcnt vmcnt(0)
	v_mul_f64 v[12:13], v[28:29], v[12:13]
	global_store_dwordx2 v[22:23], v[12:13], off
	global_load_dwordx2 v[12:13], v[26:27], off
	s_waitcnt vmcnt(0)
	v_mul_f64 v[18:19], v[18:19], v[12:13]
	global_load_dwordx2 v[22:23], v[34:35], off
	global_load_dwordx2 v[12:13], v[32:33], off
	s_waitcnt vmcnt(0)
	v_mul_f64 v[22:23], v[22:23], v[12:13]
	v_div_scale_f64 v[26:27], s[4:5], v[22:23], v[22:23], 1.0
	v_rcp_f64_e32 v[28:29], v[26:27]
	v_fma_f64 v[30:31], -v[26:27], v[28:29], 1.0
	v_fma_f64 v[28:29], v[28:29], v[30:31], v[28:29]
	v_fma_f64 v[30:31], -v[26:27], v[28:29], 1.0
	v_fma_f64 v[28:29], v[28:29], v[30:31], v[28:29]
	v_div_scale_f64 v[30:31], vcc, 1.0, v[22:23], 1.0
	v_mul_f64 v[32:33], v[30:31], v[28:29]
	v_fma_f64 v[26:27], -v[26:27], v[32:33], v[30:31]
	s_nop 1
	v_div_fmas_f64 v[26:27], v[26:27], v[28:29], v[32:33]
	v_div_fixup_f64 v[22:23], v[26:27], v[22:23], 1.0
	v_mul_f64 v[18:19], v[18:19], v[22:23]
	v_lshlrev_b64 v[22:23], 3, v[0:1]
	v_add_u32_e32 v0, s3, v0
	v_add_co_u32_e32 v26, vcc, s10, v22
	v_addc_co_u32_e32 v27, vcc, v51, v23, vcc
	global_load_dwordx2 v[26:27], v[26:27], off
	v_min_f64 v[18:19], v[18:19], s[0:1]
	v_add_co_u32_e32 v22, vcc, s12, v22
	v_addc_co_u32_e32 v23, vcc, v50, v23, vcc
	s_waitcnt vmcnt(0)
	v_mul_f64 v[18:19], v[26:27], v[18:19]
	global_store_dwordx2 v[22:23], v[18:19], off
	v_lshlrev_b64 v[22:23], 3, v[0:1]
	global_load_dwordx2 v[18:19], v[24:25], off
	v_add_co_u32_e32 v22, vcc, s14, v22
	v_addc_co_u32_e32 v23, vcc, v52, v23, vcc
	global_load_dwordx2 v[22:23], v[22:23], off
	s_waitcnt vmcnt(1)
	v_mul_f64 v[18:19], v[18:19], v[12:13]
	s_waitcnt vmcnt(0)
	v_div_scale_f64 v[24:25], s[4:5], v[22:23], v[22:23], 1.0
	v_mul_f64 v[20:21], v[20:21], v[18:19]
	v_rcp_f64_e32 v[26:27], v[24:25]
	v_fma_f64 v[28:29], -v[24:25], v[26:27], 1.0
	v_fma_f64 v[26:27], v[26:27], v[28:29], v[26:27]
	v_fma_f64 v[28:29], -v[24:25], v[26:27], 1.0
	v_fma_f64 v[26:27], v[26:27], v[28:29], v[26:27]
	v_div_scale_f64 v[28:29], vcc, 1.0, v[22:23], 1.0
	v_mul_f64 v[30:31], v[28:29], v[26:27]
	v_fma_f64 v[24:25], -v[24:25], v[30:31], v[28:29]
	s_nop 1
	v_div_fmas_f64 v[24:25], v[24:25], v[26:27], v[30:31]
	v_div_fixup_f64 v[22:23], v[24:25], v[22:23], 1.0
	v_mul_f64 v[22:23], v[20:21], v[22:23]
	v_mad_u64_u32 v[20:21], s[4:5], s2, 53, v[0:1]
	v_mov_b32_e32 v21, v1
	v_lshlrev_b64 v[24:25], 3, v[20:21]
	v_add_u32_e32 v0, s2, v20
	v_add_co_u32_e32 v26, vcc, s10, v24
	v_addc_co_u32_e32 v27, vcc, v51, v25, vcc
	global_load_dwordx2 v[26:27], v[26:27], off
	v_min_f64 v[21:22], v[22:23], s[0:1]
	v_add_co_u32_e32 v23, vcc, s12, v24
	v_addc_co_u32_e32 v24, vcc, v50, v25, vcc
	s_waitcnt vmcnt(0)
	v_mul_f64 v[21:22], v[26:27], v[21:22]
	global_store_dwordx2 v[23:24], v[21:22], off
	global_load_dwordx2 v[21:22], v[14:15], off
	s_nop 0
	global_load_dwordx2 v[23:24], v[8:9], off
	s_waitcnt vmcnt(0)
	v_mul_f64 v[8:9], v[21:22], v[23:24]
	global_load_dwordx2 v[6:7], v[6:7], off
	v_div_scale_f64 v[14:15], s[4:5], v[8:9], v[8:9], 1.0
	global_load_dwordx2 v[4:5], v[4:5], off
	v_rcp_f64_e32 v[21:22], v[14:15]
	global_load_dwordx2 v[2:3], v[2:3], off
	v_fma_f64 v[25:26], -v[14:15], v[21:22], 1.0
	v_fma_f64 v[21:22], v[21:22], v[25:26], v[21:22]
	v_fma_f64 v[25:26], -v[14:15], v[21:22], 1.0
	v_fma_f64 v[21:22], v[21:22], v[25:26], v[21:22]
	v_div_scale_f64 v[25:26], vcc, 1.0, v[8:9], 1.0
	v_mul_f64 v[27:28], v[25:26], v[21:22]
	v_fma_f64 v[14:15], -v[14:15], v[27:28], v[25:26]
	s_waitcnt vmcnt(1)
	v_mul_f64 v[4:5], v[4:5], v[12:13]
	v_div_fmas_f64 v[14:15], v[14:15], v[21:22], v[27:28]
	s_waitcnt vmcnt(0)
	v_mul_f64 v[2:3], v[2:3], v[23:24]
	v_div_fixup_f64 v[8:9], v[14:15], v[8:9], 1.0
	v_lshlrev_b64 v[14:15], 3, v[0:1]
	v_add_u32_e32 v0, s2, v0
	v_mul_f64 v[8:9], v[18:19], v[8:9]
	v_add_co_u32_e32 v18, vcc, s10, v14
	v_addc_co_u32_e32 v19, vcc, v51, v15, vcc
	global_load_dwordx2 v[18:19], v[18:19], off
	v_add_co_u32_e32 v14, vcc, s12, v14
	v_min_f64 v[8:9], v[8:9], s[0:1]
	v_addc_co_u32_e32 v15, vcc, v50, v15, vcc
	s_waitcnt vmcnt(0)
	v_mul_f64 v[8:9], v[18:19], v[8:9]
	global_store_dwordx2 v[14:15], v[8:9], off
	global_load_dwordx2 v[8:9], v[16:17], off
	v_mul_f64 v[14:15], v[6:7], v[23:24]
	v_mul_f64 v[6:7], v[6:7], v[12:13]
	v_div_scale_f64 v[16:17], s[4:5], v[14:15], v[14:15], 1.0
	v_rcp_f64_e32 v[18:19], v[16:17]
	v_fma_f64 v[20:21], -v[16:17], v[18:19], 1.0
	v_fma_f64 v[18:19], v[18:19], v[20:21], v[18:19]
	v_fma_f64 v[20:21], -v[16:17], v[18:19], 1.0
	v_fma_f64 v[18:19], v[18:19], v[20:21], v[18:19]
	v_div_scale_f64 v[20:21], vcc, 1.0, v[14:15], 1.0
	s_waitcnt vmcnt(0)
	v_mul_f64 v[8:9], v[8:9], v[12:13]
	v_mul_f64 v[25:26], v[20:21], v[18:19]
	v_fma_f64 v[16:17], -v[16:17], v[25:26], v[20:21]
	v_div_fmas_f64 v[16:17], v[16:17], v[18:19], v[25:26]
	v_div_fixup_f64 v[14:15], v[16:17], v[14:15], 1.0
	v_mul_f64 v[8:9], v[8:9], v[14:15]
	v_lshlrev_b64 v[14:15], 3, v[0:1]
	v_add_u32_e32 v0, s2, v0
	v_add_co_u32_e32 v16, vcc, s10, v14
	v_addc_co_u32_e32 v17, vcc, v51, v15, vcc
	global_load_dwordx2 v[16:17], v[16:17], off
	v_min_f64 v[8:9], v[8:9], s[0:1]
	v_add_co_u32_e32 v14, vcc, s12, v14
	v_addc_co_u32_e32 v15, vcc, v50, v15, vcc
	s_waitcnt vmcnt(0)
	v_mul_f64 v[8:9], v[16:17], v[8:9]
	global_store_dwordx2 v[14:15], v[8:9], off
	global_load_dwordx2 v[8:9], v[10:11], off
	s_waitcnt vmcnt(0)
	v_mul_f64 v[8:9], v[8:9], v[23:24]
	v_div_scale_f64 v[10:11], s[4:5], v[8:9], v[8:9], 1.0
	v_rcp_f64_e32 v[14:15], v[10:11]
	v_fma_f64 v[16:17], -v[10:11], v[14:15], 1.0
	v_fma_f64 v[14:15], v[14:15], v[16:17], v[14:15]
	v_fma_f64 v[16:17], -v[10:11], v[14:15], 1.0
	v_fma_f64 v[14:15], v[14:15], v[16:17], v[14:15]
	v_div_scale_f64 v[16:17], vcc, 1.0, v[8:9], 1.0
	v_mul_f64 v[18:19], v[16:17], v[14:15]
	v_fma_f64 v[10:11], -v[10:11], v[18:19], v[16:17]
	s_nop 1
	v_div_fmas_f64 v[10:11], v[10:11], v[14:15], v[18:19]
	v_div_fixup_f64 v[8:9], v[10:11], v[8:9], 1.0
	v_mul_f64 v[6:7], v[6:7], v[8:9]
	v_lshlrev_b64 v[8:9], 3, v[0:1]
	v_add_u32_e32 v0, s2, v0
	v_add_co_u32_e32 v10, vcc, s10, v8
	v_addc_co_u32_e32 v11, vcc, v51, v9, vcc
	global_load_dwordx2 v[10:11], v[10:11], off
	v_min_f64 v[6:7], v[6:7], s[0:1]
	v_add_co_u32_e32 v8, vcc, s12, v8
	v_addc_co_u32_e32 v9, vcc, v50, v9, vcc
	v_lshlrev_b64 v[0:1], 3, v[0:1]
	s_waitcnt vmcnt(0)
	v_mul_f64 v[6:7], v[10:11], v[6:7]
	global_store_dwordx2 v[8:9], v[6:7], off
	v_div_scale_f64 v[6:7], s[4:5], v[2:3], v[2:3], 1.0
	v_rcp_f64_e32 v[8:9], v[6:7]
	v_fma_f64 v[10:11], -v[6:7], v[8:9], 1.0
	v_fma_f64 v[8:9], v[8:9], v[10:11], v[8:9]
	v_fma_f64 v[10:11], -v[6:7], v[8:9], 1.0
	v_fma_f64 v[8:9], v[8:9], v[10:11], v[8:9]
	v_div_scale_f64 v[10:11], vcc, 1.0, v[2:3], 1.0
	v_mul_f64 v[12:13], v[10:11], v[8:9]
	v_fma_f64 v[6:7], -v[6:7], v[12:13], v[10:11]
	s_nop 1
	v_div_fmas_f64 v[6:7], v[6:7], v[8:9], v[12:13]
	v_div_fixup_f64 v[2:3], v[6:7], v[2:3], 1.0
	v_mul_f64 v[2:3], v[4:5], v[2:3]
	v_add_co_u32_e32 v4, vcc, s10, v0
	v_addc_co_u32_e32 v5, vcc, v51, v1, vcc
	global_load_dwordx2 v[4:5], v[4:5], off
	v_add_co_u32_e32 v0, vcc, s12, v0
	v_min_f64 v[2:3], v[2:3], s[0:1]
	v_addc_co_u32_e32 v1, vcc, v50, v1, vcc
	s_waitcnt vmcnt(0)
	v_mul_f64 v[2:3], v[4:5], v[2:3]
	global_store_dwordx2 v[0:1], v[2:3], off
	s_endpgm
	.section	.rodata,"a",@progbits
	.p2align	6, 0x0
	.amdhsa_kernel _Z12ratt4_kernelIdEvPKT_S2_PS0_S2_S0_
		.amdhsa_group_segment_fixed_size 0
		.amdhsa_private_segment_fixed_size 0
		.amdhsa_kernarg_size 296
		.amdhsa_user_sgpr_count 6
		.amdhsa_user_sgpr_private_segment_buffer 1
		.amdhsa_user_sgpr_dispatch_ptr 0
		.amdhsa_user_sgpr_queue_ptr 0
		.amdhsa_user_sgpr_kernarg_segment_ptr 1
		.amdhsa_user_sgpr_dispatch_id 0
		.amdhsa_user_sgpr_flat_scratch_init 0
		.amdhsa_user_sgpr_private_segment_size 0
		.amdhsa_uses_dynamic_stack 0
		.amdhsa_system_sgpr_private_segment_wavefront_offset 0
		.amdhsa_system_sgpr_workgroup_id_x 1
		.amdhsa_system_sgpr_workgroup_id_y 0
		.amdhsa_system_sgpr_workgroup_id_z 0
		.amdhsa_system_sgpr_workgroup_info 0
		.amdhsa_system_vgpr_workitem_id 0
		.amdhsa_next_free_vgpr 63
		.amdhsa_next_free_sgpr 16
		.amdhsa_reserve_vcc 1
		.amdhsa_reserve_flat_scratch 0
		.amdhsa_float_round_mode_32 0
		.amdhsa_float_round_mode_16_64 0
		.amdhsa_float_denorm_mode_32 3
		.amdhsa_float_denorm_mode_16_64 3
		.amdhsa_dx10_clamp 1
		.amdhsa_ieee_mode 1
		.amdhsa_fp16_overflow 0
		.amdhsa_exception_fp_ieee_invalid_op 0
		.amdhsa_exception_fp_denorm_src 0
		.amdhsa_exception_fp_ieee_div_zero 0
		.amdhsa_exception_fp_ieee_overflow 0
		.amdhsa_exception_fp_ieee_underflow 0
		.amdhsa_exception_fp_ieee_inexact 0
		.amdhsa_exception_int_div_zero 0
	.end_amdhsa_kernel
	.section	.text._Z12ratt4_kernelIdEvPKT_S2_PS0_S2_S0_,"axG",@progbits,_Z12ratt4_kernelIdEvPKT_S2_PS0_S2_S0_,comdat
.Lfunc_end32:
	.size	_Z12ratt4_kernelIdEvPKT_S2_PS0_S2_S0_, .Lfunc_end32-_Z12ratt4_kernelIdEvPKT_S2_PS0_S2_S0_
                                        ; -- End function
	.set _Z12ratt4_kernelIdEvPKT_S2_PS0_S2_S0_.num_vgpr, 63
	.set _Z12ratt4_kernelIdEvPKT_S2_PS0_S2_S0_.num_agpr, 0
	.set _Z12ratt4_kernelIdEvPKT_S2_PS0_S2_S0_.numbered_sgpr, 16
	.set _Z12ratt4_kernelIdEvPKT_S2_PS0_S2_S0_.num_named_barrier, 0
	.set _Z12ratt4_kernelIdEvPKT_S2_PS0_S2_S0_.private_seg_size, 0
	.set _Z12ratt4_kernelIdEvPKT_S2_PS0_S2_S0_.uses_vcc, 1
	.set _Z12ratt4_kernelIdEvPKT_S2_PS0_S2_S0_.uses_flat_scratch, 0
	.set _Z12ratt4_kernelIdEvPKT_S2_PS0_S2_S0_.has_dyn_sized_stack, 0
	.set _Z12ratt4_kernelIdEvPKT_S2_PS0_S2_S0_.has_recursion, 0
	.set _Z12ratt4_kernelIdEvPKT_S2_PS0_S2_S0_.has_indirect_call, 0
	.section	.AMDGPU.csdata,"",@progbits
; Kernel info:
; codeLenInByte = 5160
; TotalNumSgprs: 20
; NumVgprs: 63
; ScratchSize: 0
; MemoryBound: 0
; FloatMode: 240
; IeeeMode: 1
; LDSByteSize: 0 bytes/workgroup (compile time only)
; SGPRBlocks: 2
; VGPRBlocks: 15
; NumSGPRsForWavesPerEU: 20
; NumVGPRsForWavesPerEU: 63
; Occupancy: 4
; WaveLimiterHint : 0
; COMPUTE_PGM_RSRC2:SCRATCH_EN: 0
; COMPUTE_PGM_RSRC2:USER_SGPR: 6
; COMPUTE_PGM_RSRC2:TRAP_HANDLER: 0
; COMPUTE_PGM_RSRC2:TGID_X_EN: 1
; COMPUTE_PGM_RSRC2:TGID_Y_EN: 0
; COMPUTE_PGM_RSRC2:TGID_Z_EN: 0
; COMPUTE_PGM_RSRC2:TIDIG_COMP_CNT: 0
	.section	.text._Z12ratt5_kernelIdEvPKT_S2_PS0_S2_S0_,"axG",@progbits,_Z12ratt5_kernelIdEvPKT_S2_PS0_S2_S0_,comdat
	.protected	_Z12ratt5_kernelIdEvPKT_S2_PS0_S2_S0_ ; -- Begin function _Z12ratt5_kernelIdEvPKT_S2_PS0_S2_S0_
	.globl	_Z12ratt5_kernelIdEvPKT_S2_PS0_S2_S0_
	.p2align	8
	.type	_Z12ratt5_kernelIdEvPKT_S2_PS0_S2_S0_,@function
_Z12ratt5_kernelIdEvPKT_S2_PS0_S2_S0_:  ; @_Z12ratt5_kernelIdEvPKT_S2_PS0_S2_S0_
; %bb.0:
	s_load_dwordx8 s[8:15], s[4:5], 0x0
	s_load_dwordx2 s[0:1], s[4:5], 0x20
	s_load_dword s2, s[4:5], 0x28
	s_load_dword s3, s[4:5], 0x34
	v_mov_b32_e32 v1, 0
	s_waitcnt lgkmcnt(0)
	v_mov_b32_e32 v3, s9
	v_mov_b32_e32 v46, s15
	;; [unrolled: 1-line block ×3, first 2 shown]
	s_and_b32 s3, s3, 0xffff
	s_mul_i32 s6, s6, s3
	v_add_u32_e32 v0, s6, v0
	v_lshlrev_b64 v[14:15], 3, v[0:1]
	s_mul_i32 s2, s2, s3
	v_add_co_u32_e32 v2, vcc, s8, v14
	v_addc_co_u32_e32 v3, vcc, v3, v15, vcc
	global_load_dwordx2 v[2:3], v[2:3], off
	v_mov_b32_e32 v44, s13
	s_mul_i32 s3, s2, 0xffffffbd
	s_waitcnt vmcnt(0)
	v_mul_f64 v[2:3], s[0:1], v[2:3]
	s_brev_b32 s0, 12
	s_mov_b32 s1, 0x4193d2c6
	v_mul_f64 v[2:3], v[2:3], s[0:1]
	v_div_scale_f64 v[4:5], s[0:1], v[2:3], v[2:3], 1.0
	s_mov_b32 s0, 0
	s_mov_b32 s1, 0x412eec04
	v_rcp_f64_e32 v[6:7], v[4:5]
	v_fma_f64 v[8:9], -v[4:5], v[6:7], 1.0
	v_fma_f64 v[6:7], v[6:7], v[8:9], v[6:7]
	v_fma_f64 v[8:9], -v[4:5], v[6:7], 1.0
	v_fma_f64 v[6:7], v[6:7], v[8:9], v[6:7]
	v_div_scale_f64 v[8:9], vcc, 1.0, v[2:3], 1.0
	v_mul_f64 v[10:11], v[8:9], v[6:7]
	v_fma_f64 v[4:5], -v[4:5], v[10:11], v[8:9]
	s_nop 1
	v_div_fmas_f64 v[4:5], v[4:5], v[6:7], v[10:11]
	v_div_fixup_f64 v[2:3], v[4:5], v[2:3], 1.0
	v_mul_f64 v[12:13], v[2:3], s[0:1]
	v_mad_u64_u32 v[2:3], s[0:1], s2, 6, v[0:1]
	v_mov_b32_e32 v3, v1
	v_add_u32_e32 v0, s2, v0
	v_mad_u64_u32 v[6:7], s[0:1], s2, 10, v[2:3]
	v_mov_b32_e32 v7, v1
	v_lshlrev_b64 v[4:5], 3, v[2:3]
	v_lshlrev_b64 v[2:3], 3, v[6:7]
	v_mad_u64_u32 v[6:7], s[0:1], s2, -9, v[6:7]
	v_add_co_u32_e32 v4, vcc, s14, v4
	v_addc_co_u32_e32 v5, vcc, v46, v5, vcc
	v_mov_b32_e32 v7, v1
	v_add_co_u32_e32 v2, vcc, s14, v2
	v_lshlrev_b64 v[7:8], 3, v[6:7]
	v_addc_co_u32_e32 v3, vcc, v46, v3, vcc
	v_add_co_u32_e32 v7, vcc, s14, v7
	v_addc_co_u32_e32 v8, vcc, v46, v8, vcc
	global_load_dwordx2 v[22:23], v[4:5], off
	global_load_dwordx2 v[26:27], v[7:8], off
	;; [unrolled: 1-line block ×3, first 2 shown]
	v_lshl_add_u32 v6, s2, 3, v6
	v_mov_b32_e32 v7, v1
	v_lshlrev_b64 v[7:8], 3, v[6:7]
	v_add_co_u32_e32 v7, vcc, s14, v7
	v_addc_co_u32_e32 v8, vcc, v46, v8, vcc
	global_load_dwordx2 v[28:29], v[7:8], off
	s_waitcnt vmcnt(1)
	v_mul_f64 v[4:5], v[22:23], v[24:25]
	s_waitcnt vmcnt(0)
	v_mul_f64 v[7:8], v[26:27], v[28:29]
	v_div_scale_f64 v[9:10], s[0:1], v[7:8], v[7:8], 1.0
	v_rcp_f64_e32 v[16:17], v[9:10]
	v_fma_f64 v[18:19], -v[9:10], v[16:17], 1.0
	v_fma_f64 v[16:17], v[16:17], v[18:19], v[16:17]
	v_fma_f64 v[18:19], -v[9:10], v[16:17], 1.0
	v_fma_f64 v[16:17], v[16:17], v[18:19], v[16:17]
	v_div_scale_f64 v[18:19], vcc, 1.0, v[7:8], 1.0
	v_mul_f64 v[20:21], v[18:19], v[16:17]
	v_fma_f64 v[9:10], -v[9:10], v[20:21], v[18:19]
	s_nop 1
	v_div_fmas_f64 v[9:10], v[9:10], v[16:17], v[20:21]
	v_div_fixup_f64 v[7:8], v[9:10], v[7:8], 1.0
	v_mul_f64 v[4:5], v[4:5], v[7:8]
	v_mad_u64_u32 v[6:7], s[0:1], s2, 60, v[6:7]
	v_mov_b32_e32 v7, v1
	s_mov_b32 s0, 0x4357691b
	v_lshlrev_b64 v[7:8], 3, v[6:7]
	s_mov_b32 s1, 0x479e17b8
	v_add_co_u32_e32 v9, vcc, s10, v7
	v_addc_co_u32_e32 v10, vcc, v45, v8, vcc
	global_load_dwordx2 v[9:10], v[9:10], off
	v_min_f64 v[4:5], v[4:5], s[0:1]
	v_add_co_u32_e32 v7, vcc, s12, v7
	v_addc_co_u32_e32 v8, vcc, v44, v8, vcc
	s_waitcnt vmcnt(0)
	v_mul_f64 v[4:5], v[9:10], v[4:5]
	global_store_dwordx2 v[7:8], v[4:5], off
	v_add_u32_e32 v4, s3, v6
	v_mov_b32_e32 v5, v1
	v_lshlrev_b64 v[4:5], 3, v[4:5]
	v_lshlrev_b64 v[6:7], 3, v[0:1]
	v_add_co_u32_e32 v4, vcc, s14, v4
	v_addc_co_u32_e32 v5, vcc, v46, v5, vcc
	v_add_co_u32_e32 v16, vcc, s14, v6
	v_addc_co_u32_e32 v17, vcc, v46, v7, vcc
	v_mad_u64_u32 v[6:7], s[4:5], s2, 24, v[0:1]
	v_mov_b32_e32 v7, v1
	global_load_dwordx2 v[32:33], v[4:5], off
	global_load_dwordx2 v[30:31], v[16:17], off
	v_lshlrev_b64 v[8:9], 3, v[6:7]
	s_mul_i32 s3, s2, 0x41
	v_add_co_u32_e32 v8, vcc, s14, v8
	v_addc_co_u32_e32 v9, vcc, v46, v9, vcc
	global_load_dwordx2 v[8:9], v[8:9], off
	s_waitcnt vmcnt(2)
	v_mul_f64 v[4:5], v[24:25], v[32:33]
	global_load_dwordx2 v[16:17], v[16:17], off
	s_waitcnt vmcnt(1)
	v_mul_f64 v[8:9], v[30:31], v[8:9]
	v_div_scale_f64 v[10:11], s[4:5], v[8:9], v[8:9], 1.0
	v_rcp_f64_e32 v[18:19], v[10:11]
	v_fma_f64 v[20:21], -v[10:11], v[18:19], 1.0
	v_fma_f64 v[18:19], v[18:19], v[20:21], v[18:19]
	v_fma_f64 v[20:21], -v[10:11], v[18:19], 1.0
	v_fma_f64 v[18:19], v[18:19], v[20:21], v[18:19]
	v_div_scale_f64 v[20:21], vcc, 1.0, v[8:9], 1.0
	v_mul_f64 v[34:35], v[20:21], v[18:19]
	v_fma_f64 v[10:11], -v[10:11], v[34:35], v[20:21]
	s_nop 1
	v_div_fmas_f64 v[10:11], v[10:11], v[18:19], v[34:35]
	v_div_fixup_f64 v[8:9], v[10:11], v[8:9], 1.0
	v_mul_f64 v[8:9], v[4:5], v[8:9]
	v_mad_u64_u32 v[4:5], s[4:5], s2, 51, v[6:7]
	v_mov_b32_e32 v5, v1
	s_mul_i32 s5, s2, 0xffffffbf
	v_lshlrev_b64 v[5:6], 3, v[4:5]
	v_add_u32_e32 v0, s5, v4
	v_add_co_u32_e32 v10, vcc, s10, v5
	v_addc_co_u32_e32 v11, vcc, v45, v6, vcc
	global_load_dwordx2 v[10:11], v[10:11], off
	v_min_f64 v[7:8], v[8:9], s[0:1]
	v_add_co_u32_e32 v5, vcc, s12, v5
	v_addc_co_u32_e32 v6, vcc, v44, v6, vcc
	s_mul_i32 s4, s2, 0xffffffbb
	s_waitcnt vmcnt(0)
	v_mul_f64 v[7:8], v[10:11], v[7:8]
	global_store_dwordx2 v[5:6], v[7:8], off
	v_lshlrev_b64 v[4:5], 3, v[0:1]
	v_add_u32_e32 v0, s2, v0
	v_add_co_u32_e32 v18, vcc, s14, v4
	v_lshlrev_b64 v[6:7], 3, v[0:1]
	v_addc_co_u32_e32 v19, vcc, v46, v5, vcc
	v_add_co_u32_e32 v6, vcc, s14, v6
	v_addc_co_u32_e32 v7, vcc, v46, v7, vcc
	global_load_dwordx2 v[34:35], v[18:19], off
	global_load_dwordx2 v[36:37], v[6:7], off
	v_add_u32_e32 v0, s3, v0
	s_mul_i32 s3, s2, 0xffffffb5
	global_load_dwordx2 v[18:19], v[18:19], off
	s_waitcnt vmcnt(2)
	v_mul_f64 v[4:5], v[30:31], v[34:35]
	s_waitcnt vmcnt(1)
	v_div_scale_f64 v[6:7], s[6:7], v[36:37], v[36:37], 1.0
	v_mul_f64 v[26:27], v[26:27], v[34:35]
	v_mul_f64 v[4:5], v[12:13], v[4:5]
	v_rcp_f64_e32 v[8:9], v[6:7]
	v_fma_f64 v[10:11], -v[6:7], v[8:9], 1.0
	v_fma_f64 v[8:9], v[8:9], v[10:11], v[8:9]
	v_fma_f64 v[10:11], -v[6:7], v[8:9], 1.0
	v_fma_f64 v[8:9], v[8:9], v[10:11], v[8:9]
	v_div_scale_f64 v[10:11], vcc, 1.0, v[36:37], 1.0
	v_mul_f64 v[20:21], v[10:11], v[8:9]
	v_fma_f64 v[6:7], -v[6:7], v[20:21], v[10:11]
	s_nop 1
	v_div_fmas_f64 v[6:7], v[6:7], v[8:9], v[20:21]
	v_div_fixup_f64 v[6:7], v[6:7], v[36:37], 1.0
	v_mul_f64 v[4:5], v[4:5], v[6:7]
	v_lshlrev_b64 v[6:7], 3, v[0:1]
	v_add_u32_e32 v0, s3, v0
	v_add_co_u32_e32 v8, vcc, s10, v6
	v_addc_co_u32_e32 v9, vcc, v45, v7, vcc
	global_load_dwordx2 v[8:9], v[8:9], off
	v_min_f64 v[4:5], v[4:5], s[0:1]
	v_add_co_u32_e32 v6, vcc, s12, v6
	v_addc_co_u32_e32 v7, vcc, v44, v7, vcc
	s_mul_i32 s3, s2, 0x4c
	s_waitcnt vmcnt(0)
	v_mul_f64 v[4:5], v[8:9], v[4:5]
	v_mul_f64 v[8:9], v[24:25], v[30:31]
	global_store_dwordx2 v[6:7], v[4:5], off
	v_div_scale_f64 v[10:11], s[6:7], v[8:9], v[8:9], 1.0
	v_lshlrev_b64 v[4:5], 3, v[0:1]
	v_add_u32_e32 v0, s3, v0
	v_add_co_u32_e32 v4, vcc, s14, v4
	v_addc_co_u32_e32 v5, vcc, v46, v5, vcc
	global_load_dwordx2 v[47:48], v[4:5], off
	s_mul_i32 s3, s2, 0xffffffb6
	v_rcp_f64_e32 v[20:21], v[10:11]
	v_fma_f64 v[38:39], -v[10:11], v[20:21], 1.0
	v_fma_f64 v[20:21], v[20:21], v[38:39], v[20:21]
	v_fma_f64 v[38:39], -v[10:11], v[20:21], 1.0
	v_fma_f64 v[20:21], v[20:21], v[38:39], v[20:21]
	v_div_scale_f64 v[38:39], vcc, 1.0, v[8:9], 1.0
	v_mul_f64 v[40:41], v[38:39], v[20:21]
	v_fma_f64 v[10:11], -v[10:11], v[40:41], v[38:39]
	s_waitcnt vmcnt(0)
	v_mul_f64 v[6:7], v[34:35], v[47:48]
	v_div_fmas_f64 v[10:11], v[10:11], v[20:21], v[40:41]
	v_div_fixup_f64 v[8:9], v[10:11], v[8:9], 1.0
	v_mul_f64 v[6:7], v[8:9], v[6:7]
	v_lshlrev_b64 v[8:9], 3, v[0:1]
	v_add_u32_e32 v0, s3, v0
	v_add_co_u32_e32 v10, vcc, s10, v8
	v_addc_co_u32_e32 v11, vcc, v45, v9, vcc
	global_load_dwordx2 v[10:11], v[10:11], off
	v_min_f64 v[6:7], v[6:7], s[0:1]
	v_add_co_u32_e32 v8, vcc, s12, v8
	v_addc_co_u32_e32 v9, vcc, v44, v9, vcc
	s_mul_i32 s3, s2, 0x46
	s_waitcnt vmcnt(0)
	v_mul_f64 v[6:7], v[10:11], v[6:7]
	global_store_dwordx2 v[8:9], v[6:7], off
	v_lshlrev_b64 v[6:7], 3, v[0:1]
	v_add_u32_e32 v0, s2, v0
	v_add_co_u32_e32 v10, vcc, s14, v6
	v_addc_co_u32_e32 v11, vcc, v46, v7, vcc
	v_lshlrev_b64 v[6:7], 3, v[0:1]
	v_lshl_add_u32 v0, s2, 2, v0
	v_add_co_u32_e32 v6, vcc, s14, v6
	v_lshlrev_b64 v[8:9], 3, v[0:1]
	v_addc_co_u32_e32 v7, vcc, v46, v7, vcc
	v_add_co_u32_e32 v8, vcc, s14, v8
	v_addc_co_u32_e32 v9, vcc, v46, v9, vcc
	global_load_dwordx2 v[42:43], v[10:11], off
	global_load_dwordx2 v[49:50], v[6:7], off
	;; [unrolled: 1-line block ×3, first 2 shown]
	v_add_u32_e32 v0, s3, v0
	s_waitcnt vmcnt(2)
	v_mul_f64 v[20:21], v[34:35], v[42:43]
	s_waitcnt vmcnt(0)
	v_mul_f64 v[8:9], v[49:50], v[40:41]
	v_div_scale_f64 v[38:39], s[6:7], v[8:9], v[8:9], 1.0
	v_rcp_f64_e32 v[51:52], v[38:39]
	v_fma_f64 v[53:54], -v[38:39], v[51:52], 1.0
	v_fma_f64 v[51:52], v[51:52], v[53:54], v[51:52]
	v_fma_f64 v[53:54], -v[38:39], v[51:52], 1.0
	v_fma_f64 v[51:52], v[51:52], v[53:54], v[51:52]
	v_div_scale_f64 v[53:54], vcc, 1.0, v[8:9], 1.0
	v_mul_f64 v[55:56], v[53:54], v[51:52]
	v_fma_f64 v[38:39], -v[38:39], v[55:56], v[53:54]
	s_nop 1
	v_div_fmas_f64 v[38:39], v[38:39], v[51:52], v[55:56]
	v_div_fixup_f64 v[8:9], v[38:39], v[8:9], 1.0
	v_lshlrev_b64 v[38:39], 3, v[0:1]
	v_add_u32_e32 v0, s4, v0
	v_add_co_u32_e32 v51, vcc, s10, v38
	v_addc_co_u32_e32 v52, vcc, v45, v39, vcc
	global_load_dwordx2 v[51:52], v[51:52], off
	v_mul_f64 v[8:9], v[20:21], v[8:9]
	v_add_co_u32_e32 v38, vcc, s12, v38
	v_addc_co_u32_e32 v39, vcc, v44, v39, vcc
	v_min_f64 v[8:9], v[8:9], s[0:1]
	s_waitcnt vmcnt(0)
	v_mul_f64 v[8:9], v[51:52], v[8:9]
	global_store_dwordx2 v[38:39], v[8:9], off
	v_lshlrev_b64 v[8:9], 3, v[0:1]
	v_add_u32_e32 v0, s3, v0
	v_add_co_u32_e32 v8, vcc, s14, v8
	v_addc_co_u32_e32 v9, vcc, v46, v9, vcc
	global_load_dwordx2 v[38:39], v[8:9], off
	s_waitcnt vmcnt(0)
	v_mul_f64 v[49:50], v[49:50], v[38:39]
	v_div_scale_f64 v[51:52], s[6:7], v[49:50], v[49:50], 1.0
	s_mul_i32 s6, s2, 0xffffffb3
	v_rcp_f64_e32 v[53:54], v[51:52]
	v_fma_f64 v[55:56], -v[51:52], v[53:54], 1.0
	v_fma_f64 v[53:54], v[53:54], v[55:56], v[53:54]
	v_fma_f64 v[55:56], -v[51:52], v[53:54], 1.0
	v_fma_f64 v[53:54], v[53:54], v[55:56], v[53:54]
	v_div_scale_f64 v[55:56], vcc, 1.0, v[49:50], 1.0
	v_mul_f64 v[57:58], v[55:56], v[53:54]
	v_fma_f64 v[51:52], -v[51:52], v[57:58], v[55:56]
	s_nop 1
	v_div_fmas_f64 v[51:52], v[51:52], v[53:54], v[57:58]
	v_div_fixup_f64 v[49:50], v[51:52], v[49:50], 1.0
	v_mul_f64 v[20:21], v[20:21], v[49:50]
	v_lshlrev_b64 v[49:50], 3, v[0:1]
	v_add_u32_e32 v0, s6, v0
	v_add_co_u32_e32 v51, vcc, s10, v49
	v_addc_co_u32_e32 v52, vcc, v45, v50, vcc
	global_load_dwordx2 v[51:52], v[51:52], off
	v_min_f64 v[20:21], v[20:21], s[0:1]
	v_add_co_u32_e32 v49, vcc, s12, v49
	v_addc_co_u32_e32 v50, vcc, v44, v50, vcc
	v_mad_u64_u32 v[53:54], s[6:7], s2, 14, v[0:1]
	v_mov_b32_e32 v54, v1
	s_waitcnt vmcnt(0)
	v_mul_f64 v[20:21], v[51:52], v[20:21]
	global_store_dwordx2 v[49:50], v[20:21], off
	v_lshlrev_b64 v[20:21], 3, v[0:1]
	v_lshl_add_u32 v0, s2, 6, v53
	v_add_co_u32_e32 v20, vcc, s14, v20
	v_addc_co_u32_e32 v21, vcc, v46, v21, vcc
	global_load_dwordx2 v[49:50], v[20:21], off
	v_lshlrev_b64 v[20:21], 3, v[53:54]
	v_add_co_u32_e32 v20, vcc, s14, v20
	v_addc_co_u32_e32 v21, vcc, v46, v21, vcc
	global_load_dwordx2 v[54:55], v[20:21], off
	s_waitcnt vmcnt(1)
	v_mul_f64 v[51:52], v[34:35], v[49:50]
	v_mul_f64 v[49:50], v[36:37], v[49:50]
	s_waitcnt vmcnt(0)
	v_mul_f64 v[47:48], v[47:48], v[54:55]
	v_div_scale_f64 v[56:57], s[6:7], v[47:48], v[47:48], 1.0
	v_rcp_f64_e32 v[58:59], v[56:57]
	v_fma_f64 v[60:61], -v[56:57], v[58:59], 1.0
	v_fma_f64 v[58:59], v[58:59], v[60:61], v[58:59]
	v_fma_f64 v[60:61], -v[56:57], v[58:59], 1.0
	v_fma_f64 v[58:59], v[58:59], v[60:61], v[58:59]
	v_div_scale_f64 v[60:61], vcc, 1.0, v[47:48], 1.0
	v_mul_f64 v[62:63], v[60:61], v[58:59]
	v_fma_f64 v[56:57], -v[56:57], v[62:63], v[60:61]
	s_nop 1
	v_div_fmas_f64 v[56:57], v[56:57], v[58:59], v[62:63]
	v_div_fixup_f64 v[47:48], v[56:57], v[47:48], 1.0
	v_lshlrev_b64 v[56:57], 3, v[0:1]
	v_add_u32_e32 v0, s2, v0
	v_add_co_u32_e32 v58, vcc, s10, v56
	v_addc_co_u32_e32 v59, vcc, v45, v57, vcc
	global_load_dwordx2 v[58:59], v[58:59], off
	v_mul_f64 v[47:48], v[51:52], v[47:48]
	v_add_co_u32_e32 v56, vcc, s12, v56
	v_addc_co_u32_e32 v57, vcc, v44, v57, vcc
	v_min_f64 v[47:48], v[47:48], s[0:1]
	s_waitcnt vmcnt(0)
	v_mul_f64 v[47:48], v[58:59], v[47:48]
	global_store_dwordx2 v[56:57], v[47:48], off
	v_mul_f64 v[47:48], v[24:25], v[42:43]
	v_mul_f64 v[42:43], v[42:43], v[54:55]
	;; [unrolled: 1-line block ×3, first 2 shown]
	v_div_scale_f64 v[56:57], s[6:7], v[47:48], v[47:48], 1.0
	v_rcp_f64_e32 v[58:59], v[56:57]
	v_fma_f64 v[60:61], -v[56:57], v[58:59], 1.0
	v_fma_f64 v[58:59], v[58:59], v[60:61], v[58:59]
	v_fma_f64 v[60:61], -v[56:57], v[58:59], 1.0
	v_fma_f64 v[58:59], v[58:59], v[60:61], v[58:59]
	v_div_scale_f64 v[60:61], vcc, 1.0, v[47:48], 1.0
	v_mul_f64 v[62:63], v[60:61], v[58:59]
	v_fma_f64 v[56:57], -v[56:57], v[62:63], v[60:61]
	s_nop 1
	v_div_fmas_f64 v[56:57], v[56:57], v[58:59], v[62:63]
	v_div_fixup_f64 v[47:48], v[56:57], v[47:48], 1.0
	v_mul_f64 v[47:48], v[47:48], v[51:52]
	v_lshlrev_b64 v[51:52], 3, v[0:1]
	v_add_u32_e32 v0, s2, v0
	v_add_co_u32_e32 v56, vcc, s10, v51
	v_addc_co_u32_e32 v57, vcc, v45, v52, vcc
	global_load_dwordx2 v[56:57], v[56:57], off
	v_min_f64 v[47:48], v[47:48], s[0:1]
	v_add_co_u32_e32 v51, vcc, s12, v51
	v_addc_co_u32_e32 v52, vcc, v44, v52, vcc
	s_waitcnt vmcnt(0)
	v_mul_f64 v[47:48], v[47:48], v[56:57]
	global_store_dwordx2 v[51:52], v[47:48], off
	v_div_scale_f64 v[51:52], s[6:7], v[49:50], v[49:50], 1.0
	v_mul_f64 v[47:48], v[22:23], v[34:35]
	v_mul_f64 v[22:23], v[22:23], v[36:37]
	v_rcp_f64_e32 v[56:57], v[51:52]
	v_fma_f64 v[58:59], -v[51:52], v[56:57], 1.0
	v_fma_f64 v[56:57], v[56:57], v[58:59], v[56:57]
	v_fma_f64 v[58:59], -v[51:52], v[56:57], 1.0
	v_fma_f64 v[56:57], v[56:57], v[58:59], v[56:57]
	v_div_scale_f64 v[58:59], vcc, 1.0, v[49:50], 1.0
	v_mul_f64 v[60:61], v[58:59], v[56:57]
	v_fma_f64 v[51:52], -v[51:52], v[60:61], v[58:59]
	s_nop 1
	v_div_fmas_f64 v[51:52], v[51:52], v[56:57], v[60:61]
	v_div_fixup_f64 v[49:50], v[51:52], v[49:50], 1.0
	v_lshlrev_b64 v[51:52], 3, v[0:1]
	v_add_u32_e32 v0, s2, v0
	v_add_co_u32_e32 v56, vcc, s10, v51
	v_addc_co_u32_e32 v57, vcc, v45, v52, vcc
	global_load_dwordx2 v[56:57], v[56:57], off
	v_mul_f64 v[49:50], v[47:48], v[49:50]
	v_add_co_u32_e32 v51, vcc, s12, v51
	v_addc_co_u32_e32 v52, vcc, v44, v52, vcc
	v_min_f64 v[49:50], v[49:50], s[0:1]
	s_waitcnt vmcnt(0)
	v_mul_f64 v[49:50], v[49:50], v[56:57]
	global_store_dwordx2 v[51:52], v[49:50], off
	v_div_scale_f64 v[49:50], s[6:7], v[42:43], v[42:43], 1.0
	v_rcp_f64_e32 v[51:52], v[49:50]
	v_fma_f64 v[53:54], -v[49:50], v[51:52], 1.0
	v_fma_f64 v[51:52], v[51:52], v[53:54], v[51:52]
	v_fma_f64 v[53:54], -v[49:50], v[51:52], 1.0
	v_fma_f64 v[51:52], v[51:52], v[53:54], v[51:52]
	v_div_scale_f64 v[53:54], vcc, 1.0, v[42:43], 1.0
	v_mul_f64 v[55:56], v[53:54], v[51:52]
	v_fma_f64 v[49:50], -v[49:50], v[55:56], v[53:54]
	s_nop 1
	v_div_fmas_f64 v[49:50], v[49:50], v[51:52], v[55:56]
	v_div_fixup_f64 v[42:43], v[49:50], v[42:43], 1.0
	v_mul_f64 v[42:43], v[47:48], v[42:43]
	v_lshlrev_b64 v[47:48], 3, v[0:1]
	v_add_u32_e32 v0, s2, v0
	v_add_co_u32_e32 v49, vcc, s10, v47
	v_addc_co_u32_e32 v50, vcc, v45, v48, vcc
	global_load_dwordx2 v[49:50], v[49:50], off
	v_min_f64 v[42:43], v[42:43], s[0:1]
	v_add_co_u32_e32 v47, vcc, s12, v47
	v_addc_co_u32_e32 v48, vcc, v44, v48, vcc
	s_waitcnt vmcnt(0)
	v_mul_f64 v[42:43], v[42:43], v[49:50]
	global_store_dwordx2 v[47:48], v[42:43], off
	v_div_scale_f64 v[42:43], s[6:7], v[22:23], v[22:23], 1.0
	v_rcp_f64_e32 v[47:48], v[42:43]
	v_fma_f64 v[49:50], -v[42:43], v[47:48], 1.0
	v_fma_f64 v[47:48], v[47:48], v[49:50], v[47:48]
	v_fma_f64 v[49:50], -v[42:43], v[47:48], 1.0
	v_fma_f64 v[47:48], v[47:48], v[49:50], v[47:48]
	v_div_scale_f64 v[49:50], vcc, 1.0, v[22:23], 1.0
	v_mul_f64 v[51:52], v[49:50], v[47:48]
	v_fma_f64 v[42:43], -v[42:43], v[51:52], v[49:50]
	s_nop 1
	v_div_fmas_f64 v[42:43], v[42:43], v[47:48], v[51:52]
	v_div_fixup_f64 v[22:23], v[42:43], v[22:23], 1.0
	v_mul_f64 v[22:23], v[26:27], v[22:23]
	v_lshlrev_b64 v[26:27], 3, v[0:1]
	v_add_u32_e32 v0, s5, v0
	v_add_co_u32_e32 v42, vcc, s10, v26
	v_addc_co_u32_e32 v43, vcc, v45, v27, vcc
	global_load_dwordx2 v[42:43], v[42:43], off
	v_min_f64 v[22:23], v[22:23], s[0:1]
	v_add_co_u32_e32 v26, vcc, s12, v26
	v_addc_co_u32_e32 v27, vcc, v44, v27, vcc
	s_mul_i32 s5, s2, 0x42
	s_waitcnt vmcnt(0)
	v_mul_f64 v[22:23], v[22:23], v[42:43]
	global_store_dwordx2 v[26:27], v[22:23], off
	v_lshlrev_b64 v[26:27], 3, v[0:1]
	v_mul_f64 v[22:23], v[32:33], v[34:35]
	v_add_co_u32_e32 v26, vcc, s14, v26
	v_addc_co_u32_e32 v27, vcc, v46, v27, vcc
	global_load_dwordx2 v[26:27], v[26:27], off
	v_add_u32_e32 v0, s5, v0
	s_mul_i32 s5, s2, 0xffffffb7
	s_waitcnt vmcnt(0)
	v_mul_f64 v[26:27], v[30:31], v[26:27]
	v_div_scale_f64 v[32:33], s[6:7], v[26:27], v[26:27], 1.0
	v_rcp_f64_e32 v[42:43], v[32:33]
	v_fma_f64 v[47:48], -v[32:33], v[42:43], 1.0
	v_fma_f64 v[42:43], v[42:43], v[47:48], v[42:43]
	v_fma_f64 v[47:48], -v[32:33], v[42:43], 1.0
	v_fma_f64 v[42:43], v[42:43], v[47:48], v[42:43]
	v_div_scale_f64 v[47:48], vcc, 1.0, v[26:27], 1.0
	v_mul_f64 v[49:50], v[47:48], v[42:43]
	v_fma_f64 v[32:33], -v[32:33], v[49:50], v[47:48]
	s_nop 1
	v_div_fmas_f64 v[32:33], v[32:33], v[42:43], v[49:50]
	v_div_fixup_f64 v[26:27], v[32:33], v[26:27], 1.0
	v_mul_f64 v[22:23], v[22:23], v[26:27]
	v_lshlrev_b64 v[26:27], 3, v[0:1]
	v_add_u32_e32 v0, s5, v0
	v_add_co_u32_e32 v32, vcc, s10, v26
	v_addc_co_u32_e32 v33, vcc, v45, v27, vcc
	global_load_dwordx2 v[32:33], v[32:33], off
	v_min_f64 v[22:23], v[22:23], s[0:1]
	v_add_co_u32_e32 v26, vcc, s12, v26
	v_addc_co_u32_e32 v27, vcc, v44, v27, vcc
	s_mul_i32 s5, s2, 0x4a
	s_waitcnt vmcnt(0)
	v_mul_f64 v[22:23], v[32:33], v[22:23]
	global_store_dwordx2 v[26:27], v[22:23], off
	v_lshlrev_b64 v[22:23], 3, v[0:1]
	v_add_u32_e32 v0, s5, v0
	v_add_co_u32_e32 v22, vcc, s14, v22
	v_addc_co_u32_e32 v23, vcc, v46, v23, vcc
	global_load_dwordx2 v[32:33], v[22:23], off
	v_mul_f64 v[26:27], v[28:29], v[34:35]
	s_mul_i32 s5, s2, 0xffffffc4
	global_load_dwordx2 v[22:23], v[22:23], off
	s_waitcnt vmcnt(1)
	v_mul_f64 v[32:33], v[36:37], v[32:33]
	v_div_scale_f64 v[42:43], s[6:7], v[32:33], v[32:33], 1.0
	v_rcp_f64_e32 v[47:48], v[42:43]
	v_fma_f64 v[49:50], -v[42:43], v[47:48], 1.0
	v_fma_f64 v[47:48], v[47:48], v[49:50], v[47:48]
	v_fma_f64 v[49:50], -v[42:43], v[47:48], 1.0
	v_fma_f64 v[47:48], v[47:48], v[49:50], v[47:48]
	v_div_scale_f64 v[49:50], vcc, 1.0, v[32:33], 1.0
	v_mul_f64 v[51:52], v[49:50], v[47:48]
	v_fma_f64 v[42:43], -v[42:43], v[51:52], v[49:50]
	s_nop 1
	v_div_fmas_f64 v[42:43], v[42:43], v[47:48], v[51:52]
	v_div_fixup_f64 v[32:33], v[42:43], v[32:33], 1.0
	v_lshlrev_b64 v[42:43], 3, v[0:1]
	v_add_u32_e32 v0, s5, v0
	v_add_co_u32_e32 v47, vcc, s10, v42
	v_addc_co_u32_e32 v48, vcc, v45, v43, vcc
	global_load_dwordx2 v[47:48], v[47:48], off
	v_mul_f64 v[32:33], v[26:27], v[32:33]
	v_add_co_u32_e32 v42, vcc, s12, v42
	v_addc_co_u32_e32 v43, vcc, v44, v43, vcc
	v_mul_f64 v[26:27], v[12:13], v[26:27]
	s_mul_i32 s5, s2, 0xffffffbc
	v_min_f64 v[32:33], v[32:33], s[0:1]
	s_waitcnt vmcnt(0)
	v_mul_f64 v[32:33], v[47:48], v[32:33]
	global_store_dwordx2 v[42:43], v[32:33], off
	v_lshlrev_b64 v[32:33], 3, v[0:1]
	v_add_co_u32_e32 v32, vcc, s14, v32
	v_addc_co_u32_e32 v33, vcc, v46, v33, vcc
	global_load_dwordx2 v[32:33], v[32:33], off
	s_waitcnt vmcnt(0)
	v_div_scale_f64 v[42:43], s[6:7], v[32:33], v[32:33], 1.0
	v_rcp_f64_e32 v[47:48], v[42:43]
	v_fma_f64 v[49:50], -v[42:43], v[47:48], 1.0
	v_fma_f64 v[47:48], v[47:48], v[49:50], v[47:48]
	v_fma_f64 v[49:50], -v[42:43], v[47:48], 1.0
	v_fma_f64 v[47:48], v[47:48], v[49:50], v[47:48]
	v_div_scale_f64 v[49:50], vcc, 1.0, v[32:33], 1.0
	v_mul_f64 v[51:52], v[49:50], v[47:48]
	v_fma_f64 v[42:43], -v[42:43], v[51:52], v[49:50]
	s_nop 1
	v_div_fmas_f64 v[42:43], v[42:43], v[47:48], v[51:52]
	v_div_fixup_f64 v[32:33], v[42:43], v[32:33], 1.0
	v_mul_f64 v[26:27], v[26:27], v[32:33]
	v_mad_u64_u32 v[32:33], s[6:7], s2, 61, v[0:1]
	v_mov_b32_e32 v33, v1
	v_lshlrev_b64 v[42:43], 3, v[32:33]
	v_add_u32_e32 v0, s2, v32
	v_add_co_u32_e32 v47, vcc, s10, v42
	v_addc_co_u32_e32 v48, vcc, v45, v43, vcc
	global_load_dwordx2 v[47:48], v[47:48], off
	v_min_f64 v[26:27], v[26:27], s[0:1]
	v_add_co_u32_e32 v42, vcc, s12, v42
	v_addc_co_u32_e32 v43, vcc, v44, v43, vcc
	s_waitcnt vmcnt(0)
	v_mul_f64 v[26:27], v[47:48], v[26:27]
	global_store_dwordx2 v[42:43], v[26:27], off
	v_mul_f64 v[26:27], v[28:29], v[36:37]
	v_div_scale_f64 v[28:29], s[6:7], v[26:27], v[26:27], 1.0
	v_rcp_f64_e32 v[36:37], v[28:29]
	v_fma_f64 v[42:43], -v[28:29], v[36:37], 1.0
	v_fma_f64 v[36:37], v[36:37], v[42:43], v[36:37]
	v_fma_f64 v[42:43], -v[28:29], v[36:37], 1.0
	v_fma_f64 v[36:37], v[36:37], v[42:43], v[36:37]
	v_div_scale_f64 v[42:43], vcc, 1.0, v[26:27], 1.0
	v_mul_f64 v[47:48], v[42:43], v[36:37]
	v_fma_f64 v[28:29], -v[28:29], v[47:48], v[42:43]
	s_nop 1
	v_div_fmas_f64 v[28:29], v[28:29], v[36:37], v[47:48]
	v_div_fixup_f64 v[26:27], v[28:29], v[26:27], 1.0
	v_mul_f64 v[24:25], v[24:25], v[26:27]
	v_lshlrev_b64 v[26:27], 3, v[0:1]
	v_add_u32_e32 v0, s5, v0
	v_add_co_u32_e32 v28, vcc, s10, v26
	v_addc_co_u32_e32 v29, vcc, v45, v27, vcc
	global_load_dwordx2 v[28:29], v[28:29], off
	v_min_f64 v[24:25], v[24:25], s[0:1]
	v_add_co_u32_e32 v26, vcc, s12, v26
	v_addc_co_u32_e32 v27, vcc, v44, v27, vcc
	s_waitcnt vmcnt(0)
	v_mul_f64 v[24:25], v[24:25], v[28:29]
	global_store_dwordx2 v[26:27], v[24:25], off
	v_lshlrev_b64 v[24:25], 3, v[0:1]
	v_mul_f64 v[26:27], v[34:35], v[40:41]
	v_add_co_u32_e32 v24, vcc, s14, v24
	v_addc_co_u32_e32 v25, vcc, v46, v25, vcc
	global_load_dwordx2 v[24:25], v[24:25], off
	s_waitcnt vmcnt(0)
	v_mul_f64 v[28:29], v[30:31], v[24:25]
	v_mul_f64 v[22:23], v[22:23], v[24:25]
	v_div_scale_f64 v[30:31], s[6:7], v[28:29], v[28:29], 1.0
	s_mul_i32 s6, s2, 0x45
	v_add_u32_e32 v0, s6, v0
	v_rcp_f64_e32 v[32:33], v[30:31]
	v_fma_f64 v[36:37], -v[30:31], v[32:33], 1.0
	v_fma_f64 v[32:33], v[32:33], v[36:37], v[32:33]
	v_fma_f64 v[36:37], -v[30:31], v[32:33], 1.0
	v_fma_f64 v[32:33], v[32:33], v[36:37], v[32:33]
	v_div_scale_f64 v[36:37], vcc, 1.0, v[28:29], 1.0
	v_mul_f64 v[40:41], v[36:37], v[32:33]
	v_fma_f64 v[30:31], -v[30:31], v[40:41], v[36:37]
	s_nop 1
	v_div_fmas_f64 v[30:31], v[30:31], v[32:33], v[40:41]
	v_div_fixup_f64 v[28:29], v[30:31], v[28:29], 1.0
	v_lshlrev_b64 v[30:31], 3, v[0:1]
	v_add_u32_e32 v0, s2, v0
	v_add_co_u32_e32 v32, vcc, s10, v30
	v_addc_co_u32_e32 v33, vcc, v45, v31, vcc
	global_load_dwordx2 v[32:33], v[32:33], off
	v_mul_f64 v[26:27], v[26:27], v[28:29]
	v_add_co_u32_e32 v30, vcc, s12, v30
	v_addc_co_u32_e32 v31, vcc, v44, v31, vcc
	v_min_f64 v[26:27], v[26:27], s[0:1]
	s_waitcnt vmcnt(0)
	v_mul_f64 v[26:27], v[32:33], v[26:27]
	global_store_dwordx2 v[30:31], v[26:27], off
	v_mul_f64 v[26:27], v[34:35], v[38:39]
	v_mul_f64 v[26:27], v[26:27], v[28:29]
	v_lshlrev_b64 v[28:29], 3, v[0:1]
	v_add_u32_e32 v0, s5, v0
	v_add_co_u32_e32 v30, vcc, s10, v28
	v_addc_co_u32_e32 v31, vcc, v45, v29, vcc
	global_load_dwordx2 v[30:31], v[30:31], off
	v_min_f64 v[26:27], v[26:27], s[0:1]
	v_add_co_u32_e32 v28, vcc, s12, v28
	v_addc_co_u32_e32 v29, vcc, v44, v29, vcc
	s_mul_i32 s5, s2, 0xffffffba
	s_waitcnt vmcnt(0)
	v_mul_f64 v[26:27], v[30:31], v[26:27]
	global_store_dwordx2 v[28:29], v[26:27], off
	v_lshlrev_b64 v[28:29], 3, v[0:1]
	v_mul_f64 v[26:27], v[18:19], v[18:19]
	v_add_co_u32_e32 v28, vcc, s14, v28
	v_addc_co_u32_e32 v29, vcc, v46, v29, vcc
	global_load_dwordx2 v[28:29], v[28:29], off
	v_add_u32_e32 v0, s6, v0
	v_mul_f64 v[12:13], v[12:13], v[26:27]
	s_waitcnt vmcnt(0)
	v_div_scale_f64 v[30:31], s[8:9], v[28:29], v[28:29], 1.0
	v_rcp_f64_e32 v[32:33], v[30:31]
	v_fma_f64 v[34:35], -v[30:31], v[32:33], 1.0
	v_fma_f64 v[32:33], v[32:33], v[34:35], v[32:33]
	v_fma_f64 v[34:35], -v[30:31], v[32:33], 1.0
	v_fma_f64 v[32:33], v[32:33], v[34:35], v[32:33]
	v_div_scale_f64 v[34:35], vcc, 1.0, v[28:29], 1.0
	v_mul_f64 v[36:37], v[34:35], v[32:33]
	v_fma_f64 v[30:31], -v[30:31], v[36:37], v[34:35]
	s_nop 1
	v_div_fmas_f64 v[30:31], v[30:31], v[32:33], v[36:37]
	v_div_fixup_f64 v[28:29], v[30:31], v[28:29], 1.0
	v_mul_f64 v[12:13], v[12:13], v[28:29]
	v_lshlrev_b64 v[28:29], 3, v[0:1]
	v_add_u32_e32 v0, s5, v0
	v_add_co_u32_e32 v30, vcc, s10, v28
	v_addc_co_u32_e32 v31, vcc, v45, v29, vcc
	global_load_dwordx2 v[30:31], v[30:31], off
	v_min_f64 v[12:13], v[12:13], s[0:1]
	v_add_co_u32_e32 v28, vcc, s12, v28
	v_addc_co_u32_e32 v29, vcc, v44, v29, vcc
	s_mul_i32 s5, s2, 0x47
	s_waitcnt vmcnt(0)
	v_mul_f64 v[12:13], v[30:31], v[12:13]
	global_store_dwordx2 v[28:29], v[12:13], off
	v_lshlrev_b64 v[12:13], 3, v[0:1]
	v_add_u32_e32 v0, s5, v0
	v_add_co_u32_e32 v12, vcc, s14, v12
	v_addc_co_u32_e32 v13, vcc, v46, v13, vcc
	global_load_dwordx2 v[12:13], v[12:13], off
	s_waitcnt vmcnt(0)
	v_mul_f64 v[12:13], v[16:17], v[12:13]
	v_div_scale_f64 v[28:29], s[6:7], v[12:13], v[12:13], 1.0
	v_rcp_f64_e32 v[30:31], v[28:29]
	v_fma_f64 v[32:33], -v[28:29], v[30:31], 1.0
	v_fma_f64 v[30:31], v[30:31], v[32:33], v[30:31]
	v_fma_f64 v[32:33], -v[28:29], v[30:31], 1.0
	v_fma_f64 v[30:31], v[30:31], v[32:33], v[30:31]
	v_div_scale_f64 v[32:33], vcc, 1.0, v[12:13], 1.0
	v_mul_f64 v[34:35], v[32:33], v[30:31]
	v_fma_f64 v[28:29], -v[28:29], v[34:35], v[32:33]
	s_nop 1
	v_div_fmas_f64 v[28:29], v[28:29], v[30:31], v[34:35]
	v_div_fixup_f64 v[12:13], v[28:29], v[12:13], 1.0
	v_mul_f64 v[12:13], v[26:27], v[12:13]
	v_lshlrev_b64 v[26:27], 3, v[0:1]
	v_add_u32_e32 v0, s4, v0
	v_add_co_u32_e32 v28, vcc, s10, v26
	v_addc_co_u32_e32 v29, vcc, v45, v27, vcc
	global_load_dwordx2 v[28:29], v[28:29], off
	v_min_f64 v[12:13], v[12:13], s[0:1]
	v_div_scale_f64 v[24:25], s[4:5], v[22:23], v[22:23], 1.0
	v_add_co_u32_e32 v26, vcc, s12, v26
	v_addc_co_u32_e32 v27, vcc, v44, v27, vcc
	s_waitcnt vmcnt(0)
	v_mul_f64 v[12:13], v[28:29], v[12:13]
	global_store_dwordx2 v[26:27], v[12:13], off
	v_rcp_f64_e32 v[26:27], v[24:25]
	v_lshlrev_b64 v[12:13], 3, v[0:1]
	v_add_u32_e32 v0, s3, v0
	v_add_co_u32_e32 v12, vcc, s14, v12
	v_addc_co_u32_e32 v13, vcc, v46, v13, vcc
	global_load_dwordx2 v[12:13], v[12:13], off
	v_fma_f64 v[28:29], -v[24:25], v[26:27], 1.0
	v_fma_f64 v[26:27], v[26:27], v[28:29], v[26:27]
	v_fma_f64 v[28:29], -v[24:25], v[26:27], 1.0
	v_fma_f64 v[26:27], v[26:27], v[28:29], v[26:27]
	v_div_scale_f64 v[28:29], vcc, 1.0, v[22:23], 1.0
	v_mul_f64 v[30:31], v[28:29], v[26:27]
	v_fma_f64 v[24:25], -v[24:25], v[30:31], v[28:29]
	s_nop 1
	v_div_fmas_f64 v[24:25], v[24:25], v[26:27], v[30:31]
	s_waitcnt vmcnt(0)
	v_mul_f64 v[12:13], v[18:19], v[12:13]
	v_div_fixup_f64 v[22:23], v[24:25], v[22:23], 1.0
	v_mul_f64 v[12:13], v[12:13], v[22:23]
	v_lshlrev_b64 v[22:23], 3, v[0:1]
	v_add_u32_e32 v0, s2, v0
	v_add_co_u32_e32 v24, vcc, s10, v22
	v_addc_co_u32_e32 v25, vcc, v45, v23, vcc
	global_load_dwordx2 v[24:25], v[24:25], off
	v_min_f64 v[12:13], v[12:13], s[0:1]
	v_add_co_u32_e32 v22, vcc, s12, v22
	v_addc_co_u32_e32 v23, vcc, v44, v23, vcc
	s_waitcnt vmcnt(0)
	v_mul_f64 v[12:13], v[24:25], v[12:13]
	global_store_dwordx2 v[22:23], v[12:13], off
	global_load_dwordx2 v[12:13], v[20:21], off
	v_add_co_u32_e32 v20, vcc, s14, v14
	v_addc_co_u32_e32 v21, vcc, v46, v15, vcc
	global_load_dwordx2 v[22:23], v[20:21], off
	global_load_dwordx2 v[14:15], v[2:3], off
	s_waitcnt vmcnt(2)
	v_mul_f64 v[16:17], v[16:17], v[12:13]
	global_load_dwordx2 v[10:11], v[10:11], off
	s_waitcnt vmcnt(1)
	v_mul_f64 v[2:3], v[22:23], v[14:15]
	v_div_scale_f64 v[20:21], s[4:5], v[2:3], v[2:3], 1.0
	v_rcp_f64_e32 v[22:23], v[20:21]
	v_fma_f64 v[24:25], -v[20:21], v[22:23], 1.0
	v_fma_f64 v[22:23], v[22:23], v[24:25], v[22:23]
	v_fma_f64 v[24:25], -v[20:21], v[22:23], 1.0
	v_fma_f64 v[22:23], v[22:23], v[24:25], v[22:23]
	v_div_scale_f64 v[24:25], vcc, 1.0, v[2:3], 1.0
	v_mul_f64 v[26:27], v[24:25], v[22:23]
	v_fma_f64 v[20:21], -v[20:21], v[26:27], v[24:25]
	s_nop 1
	v_div_fmas_f64 v[20:21], v[20:21], v[22:23], v[26:27]
	v_div_fixup_f64 v[2:3], v[20:21], v[2:3], 1.0
	v_lshlrev_b64 v[20:21], 3, v[0:1]
	v_add_u32_e32 v0, s2, v0
	v_add_co_u32_e32 v22, vcc, s10, v20
	v_addc_co_u32_e32 v23, vcc, v45, v21, vcc
	global_load_dwordx2 v[22:23], v[22:23], off
	v_mul_f64 v[2:3], v[16:17], v[2:3]
	v_add_co_u32_e32 v20, vcc, s12, v20
	v_addc_co_u32_e32 v21, vcc, v44, v21, vcc
	v_min_f64 v[2:3], v[2:3], s[0:1]
	s_waitcnt vmcnt(0)
	v_mul_f64 v[2:3], v[22:23], v[2:3]
	global_store_dwordx2 v[20:21], v[2:3], off
	v_mul_f64 v[2:3], v[10:11], v[18:19]
	v_div_scale_f64 v[18:19], s[4:5], v[2:3], v[2:3], 1.0
	v_rcp_f64_e32 v[20:21], v[18:19]
	v_fma_f64 v[22:23], -v[18:19], v[20:21], 1.0
	v_fma_f64 v[20:21], v[20:21], v[22:23], v[20:21]
	v_fma_f64 v[22:23], -v[18:19], v[20:21], 1.0
	v_fma_f64 v[20:21], v[20:21], v[22:23], v[20:21]
	v_div_scale_f64 v[22:23], vcc, 1.0, v[2:3], 1.0
	v_mul_f64 v[24:25], v[22:23], v[20:21]
	v_fma_f64 v[18:19], -v[18:19], v[24:25], v[22:23]
	s_nop 1
	v_div_fmas_f64 v[18:19], v[18:19], v[20:21], v[24:25]
	v_div_fixup_f64 v[2:3], v[18:19], v[2:3], 1.0
	v_lshlrev_b64 v[18:19], 3, v[0:1]
	v_add_u32_e32 v0, s2, v0
	v_add_co_u32_e32 v20, vcc, s10, v18
	v_addc_co_u32_e32 v21, vcc, v45, v19, vcc
	global_load_dwordx2 v[20:21], v[20:21], off
	v_mul_f64 v[2:3], v[16:17], v[2:3]
	v_add_co_u32_e32 v18, vcc, s12, v18
	v_addc_co_u32_e32 v19, vcc, v44, v19, vcc
	v_min_f64 v[2:3], v[2:3], s[0:1]
	s_waitcnt vmcnt(0)
	v_mul_f64 v[2:3], v[20:21], v[2:3]
	global_store_dwordx2 v[18:19], v[2:3], off
	global_load_dwordx2 v[2:3], v[6:7], off
	s_nop 0
	global_load_dwordx2 v[18:19], v[8:9], off
	s_waitcnt vmcnt(0)
	v_mul_f64 v[6:7], v[2:3], v[18:19]
	global_load_dwordx2 v[4:5], v[4:5], off
	v_mul_f64 v[2:3], v[2:3], v[14:15]
	v_div_scale_f64 v[8:9], s[4:5], v[6:7], v[6:7], 1.0
	v_rcp_f64_e32 v[18:19], v[8:9]
	v_fma_f64 v[20:21], -v[8:9], v[18:19], 1.0
	v_fma_f64 v[18:19], v[18:19], v[20:21], v[18:19]
	v_fma_f64 v[20:21], -v[8:9], v[18:19], 1.0
	v_fma_f64 v[18:19], v[18:19], v[20:21], v[18:19]
	v_div_scale_f64 v[20:21], vcc, 1.0, v[6:7], 1.0
	v_mul_f64 v[22:23], v[20:21], v[18:19]
	s_waitcnt vmcnt(0)
	v_mul_f64 v[4:5], v[4:5], v[12:13]
	v_fma_f64 v[8:9], -v[8:9], v[22:23], v[20:21]
	v_div_fmas_f64 v[8:9], v[8:9], v[18:19], v[22:23]
	v_div_fixup_f64 v[6:7], v[8:9], v[6:7], 1.0
	v_lshlrev_b64 v[8:9], 3, v[0:1]
	v_add_u32_e32 v0, s2, v0
	v_mul_f64 v[6:7], v[16:17], v[6:7]
	v_add_co_u32_e32 v16, vcc, s10, v8
	v_addc_co_u32_e32 v17, vcc, v45, v9, vcc
	global_load_dwordx2 v[16:17], v[16:17], off
	v_add_co_u32_e32 v8, vcc, s12, v8
	v_min_f64 v[6:7], v[6:7], s[0:1]
	v_addc_co_u32_e32 v9, vcc, v44, v9, vcc
	s_waitcnt vmcnt(0)
	v_mul_f64 v[6:7], v[16:17], v[6:7]
	global_store_dwordx2 v[8:9], v[6:7], off
	v_mul_f64 v[6:7], v[10:11], v[14:15]
	v_div_scale_f64 v[8:9], s[4:5], v[6:7], v[6:7], 1.0
	v_rcp_f64_e32 v[16:17], v[8:9]
	v_fma_f64 v[18:19], -v[8:9], v[16:17], 1.0
	v_fma_f64 v[16:17], v[16:17], v[18:19], v[16:17]
	v_fma_f64 v[18:19], -v[8:9], v[16:17], 1.0
	v_fma_f64 v[16:17], v[16:17], v[18:19], v[16:17]
	v_div_scale_f64 v[18:19], vcc, 1.0, v[6:7], 1.0
	v_mul_f64 v[20:21], v[18:19], v[16:17]
	v_fma_f64 v[8:9], -v[8:9], v[20:21], v[18:19]
	s_nop 1
	v_div_fmas_f64 v[8:9], v[8:9], v[16:17], v[20:21]
	v_div_fixup_f64 v[6:7], v[8:9], v[6:7], 1.0
	v_mul_f64 v[4:5], v[4:5], v[6:7]
	v_lshlrev_b64 v[6:7], 3, v[0:1]
	v_add_u32_e32 v0, s2, v0
	v_add_co_u32_e32 v8, vcc, s10, v6
	v_addc_co_u32_e32 v9, vcc, v45, v7, vcc
	global_load_dwordx2 v[8:9], v[8:9], off
	v_min_f64 v[4:5], v[4:5], s[0:1]
	v_add_co_u32_e32 v6, vcc, s12, v6
	v_addc_co_u32_e32 v7, vcc, v44, v7, vcc
	v_lshlrev_b64 v[0:1], 3, v[0:1]
	s_waitcnt vmcnt(0)
	v_mul_f64 v[4:5], v[8:9], v[4:5]
	global_store_dwordx2 v[6:7], v[4:5], off
	v_div_scale_f64 v[6:7], s[4:5], v[2:3], v[2:3], 1.0
	v_mul_f64 v[4:5], v[10:11], v[12:13]
	v_rcp_f64_e32 v[8:9], v[6:7]
	v_fma_f64 v[10:11], -v[6:7], v[8:9], 1.0
	v_fma_f64 v[8:9], v[8:9], v[10:11], v[8:9]
	v_fma_f64 v[10:11], -v[6:7], v[8:9], 1.0
	v_fma_f64 v[8:9], v[8:9], v[10:11], v[8:9]
	v_div_scale_f64 v[10:11], vcc, 1.0, v[2:3], 1.0
	v_mul_f64 v[12:13], v[10:11], v[8:9]
	v_fma_f64 v[6:7], -v[6:7], v[12:13], v[10:11]
	s_nop 1
	v_div_fmas_f64 v[6:7], v[6:7], v[8:9], v[12:13]
	v_div_fixup_f64 v[2:3], v[6:7], v[2:3], 1.0
	v_mul_f64 v[2:3], v[4:5], v[2:3]
	v_add_co_u32_e32 v4, vcc, s10, v0
	v_addc_co_u32_e32 v5, vcc, v45, v1, vcc
	global_load_dwordx2 v[4:5], v[4:5], off
	v_add_co_u32_e32 v0, vcc, s12, v0
	v_min_f64 v[2:3], v[2:3], s[0:1]
	v_addc_co_u32_e32 v1, vcc, v44, v1, vcc
	s_waitcnt vmcnt(0)
	v_mul_f64 v[2:3], v[4:5], v[2:3]
	global_store_dwordx2 v[0:1], v[2:3], off
	s_endpgm
	.section	.rodata,"a",@progbits
	.p2align	6, 0x0
	.amdhsa_kernel _Z12ratt5_kernelIdEvPKT_S2_PS0_S2_S0_
		.amdhsa_group_segment_fixed_size 0
		.amdhsa_private_segment_fixed_size 0
		.amdhsa_kernarg_size 296
		.amdhsa_user_sgpr_count 6
		.amdhsa_user_sgpr_private_segment_buffer 1
		.amdhsa_user_sgpr_dispatch_ptr 0
		.amdhsa_user_sgpr_queue_ptr 0
		.amdhsa_user_sgpr_kernarg_segment_ptr 1
		.amdhsa_user_sgpr_dispatch_id 0
		.amdhsa_user_sgpr_flat_scratch_init 0
		.amdhsa_user_sgpr_private_segment_size 0
		.amdhsa_uses_dynamic_stack 0
		.amdhsa_system_sgpr_private_segment_wavefront_offset 0
		.amdhsa_system_sgpr_workgroup_id_x 1
		.amdhsa_system_sgpr_workgroup_id_y 0
		.amdhsa_system_sgpr_workgroup_id_z 0
		.amdhsa_system_sgpr_workgroup_info 0
		.amdhsa_system_vgpr_workitem_id 0
		.amdhsa_next_free_vgpr 64
		.amdhsa_next_free_sgpr 16
		.amdhsa_reserve_vcc 1
		.amdhsa_reserve_flat_scratch 0
		.amdhsa_float_round_mode_32 0
		.amdhsa_float_round_mode_16_64 0
		.amdhsa_float_denorm_mode_32 3
		.amdhsa_float_denorm_mode_16_64 3
		.amdhsa_dx10_clamp 1
		.amdhsa_ieee_mode 1
		.amdhsa_fp16_overflow 0
		.amdhsa_exception_fp_ieee_invalid_op 0
		.amdhsa_exception_fp_denorm_src 0
		.amdhsa_exception_fp_ieee_div_zero 0
		.amdhsa_exception_fp_ieee_overflow 0
		.amdhsa_exception_fp_ieee_underflow 0
		.amdhsa_exception_fp_ieee_inexact 0
		.amdhsa_exception_int_div_zero 0
	.end_amdhsa_kernel
	.section	.text._Z12ratt5_kernelIdEvPKT_S2_PS0_S2_S0_,"axG",@progbits,_Z12ratt5_kernelIdEvPKT_S2_PS0_S2_S0_,comdat
.Lfunc_end33:
	.size	_Z12ratt5_kernelIdEvPKT_S2_PS0_S2_S0_, .Lfunc_end33-_Z12ratt5_kernelIdEvPKT_S2_PS0_S2_S0_
                                        ; -- End function
	.set _Z12ratt5_kernelIdEvPKT_S2_PS0_S2_S0_.num_vgpr, 64
	.set _Z12ratt5_kernelIdEvPKT_S2_PS0_S2_S0_.num_agpr, 0
	.set _Z12ratt5_kernelIdEvPKT_S2_PS0_S2_S0_.numbered_sgpr, 16
	.set _Z12ratt5_kernelIdEvPKT_S2_PS0_S2_S0_.num_named_barrier, 0
	.set _Z12ratt5_kernelIdEvPKT_S2_PS0_S2_S0_.private_seg_size, 0
	.set _Z12ratt5_kernelIdEvPKT_S2_PS0_S2_S0_.uses_vcc, 1
	.set _Z12ratt5_kernelIdEvPKT_S2_PS0_S2_S0_.uses_flat_scratch, 0
	.set _Z12ratt5_kernelIdEvPKT_S2_PS0_S2_S0_.has_dyn_sized_stack, 0
	.set _Z12ratt5_kernelIdEvPKT_S2_PS0_S2_S0_.has_recursion, 0
	.set _Z12ratt5_kernelIdEvPKT_S2_PS0_S2_S0_.has_indirect_call, 0
	.section	.AMDGPU.csdata,"",@progbits
; Kernel info:
; codeLenInByte = 5548
; TotalNumSgprs: 20
; NumVgprs: 64
; ScratchSize: 0
; MemoryBound: 0
; FloatMode: 240
; IeeeMode: 1
; LDSByteSize: 0 bytes/workgroup (compile time only)
; SGPRBlocks: 2
; VGPRBlocks: 15
; NumSGPRsForWavesPerEU: 20
; NumVGPRsForWavesPerEU: 64
; Occupancy: 4
; WaveLimiterHint : 0
; COMPUTE_PGM_RSRC2:SCRATCH_EN: 0
; COMPUTE_PGM_RSRC2:USER_SGPR: 6
; COMPUTE_PGM_RSRC2:TRAP_HANDLER: 0
; COMPUTE_PGM_RSRC2:TGID_X_EN: 1
; COMPUTE_PGM_RSRC2:TGID_Y_EN: 0
; COMPUTE_PGM_RSRC2:TGID_Z_EN: 0
; COMPUTE_PGM_RSRC2:TIDIG_COMP_CNT: 0
	.section	.text._Z12ratt6_kernelIdEvPKT_S2_PS0_S2_S0_,"axG",@progbits,_Z12ratt6_kernelIdEvPKT_S2_PS0_S2_S0_,comdat
	.protected	_Z12ratt6_kernelIdEvPKT_S2_PS0_S2_S0_ ; -- Begin function _Z12ratt6_kernelIdEvPKT_S2_PS0_S2_S0_
	.globl	_Z12ratt6_kernelIdEvPKT_S2_PS0_S2_S0_
	.p2align	8
	.type	_Z12ratt6_kernelIdEvPKT_S2_PS0_S2_S0_,@function
_Z12ratt6_kernelIdEvPKT_S2_PS0_S2_S0_:  ; @_Z12ratt6_kernelIdEvPKT_S2_PS0_S2_S0_
; %bb.0:
	s_load_dword s0, s[4:5], 0x34
	s_load_dwordx8 s[8:15], s[4:5], 0x0
	v_mov_b32_e32 v1, 0
	s_waitcnt lgkmcnt(0)
	s_and_b32 s0, s0, 0xffff
	s_mul_i32 s6, s6, s0
	v_add_u32_e32 v0, s6, v0
	v_lshlrev_b64 v[2:3], 3, v[0:1]
	v_mov_b32_e32 v5, s9
	v_add_co_u32_e32 v4, vcc, s8, v2
	v_addc_co_u32_e32 v5, vcc, v5, v3, vcc
	global_load_dwordx2 v[8:9], v[4:5], off
	s_load_dword s6, s[4:5], 0x28
	v_mov_b32_e32 v5, v1
	v_mov_b32_e32 v42, s15
	s_waitcnt lgkmcnt(0)
	s_mul_i32 s6, s6, s0
	v_mad_u64_u32 v[6:7], s[0:1], s6, 3, v[0:1]
	v_mov_b32_e32 v7, v1
	s_mul_i32 s7, s6, -11
	v_mad_u64_u32 v[19:20], s[0:1], s6, 14, v[6:7]
	s_mul_i32 s8, s6, 11
	v_add_u32_e32 v16, s6, v0
	v_add_u32_e32 v4, s7, v19
	v_mad_u64_u32 v[17:18], s[0:1], s6, 10, v[4:5]
	v_lshlrev_b64 v[10:11], 3, v[4:5]
	v_mov_b32_e32 v18, v1
	v_add_co_u32_e32 v4, vcc, s14, v10
	v_lshlrev_b64 v[12:13], 3, v[17:18]
	v_addc_co_u32_e32 v5, vcc, v42, v11, vcc
	global_load_dwordx2 v[10:11], v[4:5], off
	v_add_co_u32_e32 v4, vcc, s14, v12
	v_addc_co_u32_e32 v5, vcc, v42, v13, vcc
	global_load_dwordx2 v[12:13], v[4:5], off
	v_add_u32_e32 v0, s8, v0
	v_lshlrev_b64 v[4:5], 3, v[0:1]
	v_add_co_u32_e32 v20, vcc, s14, v2
	v_addc_co_u32_e32 v21, vcc, v42, v3, vcc
	v_add_co_u32_e32 v2, vcc, s14, v4
	v_addc_co_u32_e32 v3, vcc, v42, v5, vcc
	global_load_dwordx2 v[14:15], v[20:21], off
	global_load_dwordx2 v[4:5], v[2:3], off
	s_load_dwordx2 s[0:1], s[4:5], 0x20
	s_mul_i32 s4, s6, 0x5a
	s_mul_i32 s5, s6, 0xffffff9d
	v_add_u32_e32 v0, s4, v0
	v_lshlrev_b64 v[6:7], 3, v[6:7]
	v_mov_b32_e32 v20, v1
	v_lshlrev_b64 v[18:19], 3, v[19:20]
	s_mul_i32 s4, s6, 0xffffffa1
	s_waitcnt vmcnt(4) lgkmcnt(0)
	v_mul_f64 v[8:9], s[0:1], v[8:9]
	s_brev_b32 s0, 12
	s_mov_b32 s1, 0x4193d2c6
	v_mul_f64 v[8:9], v[8:9], s[0:1]
	v_div_scale_f64 v[23:24], s[0:1], v[8:9], v[8:9], 1.0
	v_div_scale_f64 v[27:28], vcc, 1.0, v[8:9], 1.0
	s_waitcnt vmcnt(2)
	v_mul_f64 v[21:22], v[10:11], v[12:13]
	v_rcp_f64_e32 v[10:11], v[23:24]
	v_div_scale_f64 v[31:32], s[0:1], v[21:22], v[21:22], 1.0
	v_div_scale_f64 v[35:36], s[2:3], 1.0, v[21:22], 1.0
	s_waitcnt vmcnt(0)
	v_mul_f64 v[14:15], v[14:15], v[4:5]
	v_fma_f64 v[12:13], -v[23:24], v[10:11], 1.0
	v_rcp_f64_e32 v[25:26], v[31:32]
	v_fma_f64 v[12:13], v[10:11], v[12:13], v[10:11]
	v_div_scale_f64 v[10:11], s[0:1], v[14:15], v[14:15], 1.0
	v_fma_f64 v[29:30], -v[23:24], v[12:13], 1.0
	v_fma_f64 v[33:34], -v[31:32], v[25:26], 1.0
	v_fma_f64 v[12:13], v[12:13], v[29:30], v[12:13]
	v_rcp_f64_e32 v[29:30], v[10:11]
	v_fma_f64 v[25:26], v[25:26], v[33:34], v[25:26]
	v_mul_f64 v[33:34], v[27:28], v[12:13]
	v_fma_f64 v[23:24], -v[23:24], v[33:34], v[27:28]
	v_fma_f64 v[27:28], -v[10:11], v[29:30], 1.0
	v_div_fmas_f64 v[12:13], v[23:24], v[12:13], v[33:34]
	v_fma_f64 v[29:30], v[29:30], v[27:28], v[29:30]
	v_fma_f64 v[23:24], -v[31:32], v[25:26], 1.0
	s_mov_b64 vcc, s[2:3]
	v_fma_f64 v[33:34], -v[10:11], v[29:30], 1.0
	v_fma_f64 v[27:28], v[25:26], v[23:24], v[25:26]
	v_div_scale_f64 v[25:26], s[0:1], 1.0, v[14:15], 1.0
	v_div_fixup_f64 v[8:9], v[12:13], v[8:9], 1.0
	v_fma_f64 v[23:24], v[29:30], v[33:34], v[29:30]
	v_mul_f64 v[29:30], v[35:36], v[27:28]
	v_fma_f64 v[31:32], -v[31:32], v[29:30], v[35:36]
	v_mul_f64 v[33:34], v[25:26], v[23:24]
	v_div_fmas_f64 v[43:44], v[31:32], v[27:28], v[29:30]
	v_fma_f64 v[25:26], -v[10:11], v[33:34], v[25:26]
	v_lshlrev_b64 v[30:31], 3, v[0:1]
	v_add_u32_e32 v0, s5, v0
	v_lshlrev_b64 v[28:29], 3, v[0:1]
	v_lshl_add_u32 v0, s6, 1, v0
	v_lshlrev_b64 v[10:11], 3, v[0:1]
	s_mul_i32 s5, s6, 0xffffffa5
	v_add_co_u32_e32 v10, vcc, s14, v10
	v_addc_co_u32_e32 v11, vcc, v42, v11, vcc
	s_mov_b64 vcc, s[0:1]
	v_div_fixup_f64 v[20:21], v[43:44], v[21:22], 1.0
	s_nop 1
	v_div_fmas_f64 v[36:37], v[25:26], v[23:24], v[33:34]
	global_load_dwordx2 v[26:27], v[10:11], off
	v_div_fixup_f64 v[14:15], v[36:37], v[14:15], 1.0
	s_waitcnt vmcnt(0)
	v_mul_f64 v[23:24], v[4:5], v[26:27]
	v_div_scale_f64 v[32:33], s[0:1], v[23:24], v[23:24], 1.0
	s_mul_i32 s0, s6, 0x62
	s_mul_i32 s1, s6, 0xffffff9f
	v_add_u32_e32 v0, s0, v0
	v_rcp_f64_e32 v[34:35], v[32:33]
	v_fma_f64 v[38:39], -v[32:33], v[34:35], 1.0
	v_fma_f64 v[34:35], v[34:35], v[38:39], v[34:35]
	v_fma_f64 v[38:39], -v[32:33], v[34:35], 1.0
	v_fma_f64 v[34:35], v[34:35], v[38:39], v[34:35]
	v_div_scale_f64 v[38:39], vcc, 1.0, v[23:24], 1.0
	v_mul_f64 v[40:41], v[38:39], v[34:35]
	v_fma_f64 v[32:33], -v[32:33], v[40:41], v[38:39]
	s_nop 1
	v_div_fmas_f64 v[38:39], v[32:33], v[34:35], v[40:41]
	v_lshlrev_b64 v[32:33], 3, v[0:1]
	v_add_u32_e32 v0, s1, v0
	v_lshlrev_b64 v[34:35], 3, v[0:1]
	s_mul_i32 s1, s6, 0x54
	v_add_co_u32_e32 v34, vcc, s14, v34
	v_addc_co_u32_e32 v35, vcc, v42, v35, vcc
	global_load_dwordx2 v[34:35], v[34:35], off
	v_add_u32_e32 v0, s0, v0
	s_waitcnt vmcnt(0)
	v_mul_f64 v[34:35], v[4:5], v[34:35]
	v_mul_f64 v[4:5], v[4:5], v[4:5]
	v_div_scale_f64 v[40:41], s[2:3], v[34:35], v[34:35], 1.0
	s_mov_b32 s2, 0x4357691b
	s_mov_b32 s3, 0x479e17b8
	v_rcp_f64_e32 v[45:46], v[40:41]
	v_fma_f64 v[47:48], -v[40:41], v[45:46], 1.0
	v_fma_f64 v[45:46], v[45:46], v[47:48], v[45:46]
	v_fma_f64 v[47:48], -v[40:41], v[45:46], 1.0
	v_fma_f64 v[45:46], v[45:46], v[47:48], v[45:46]
	v_div_scale_f64 v[47:48], vcc, 1.0, v[34:35], 1.0
	v_mul_f64 v[49:50], v[47:48], v[45:46]
	v_fma_f64 v[40:41], -v[40:41], v[49:50], v[47:48]
	s_nop 1
	v_div_fmas_f64 v[40:41], v[40:41], v[45:46], v[49:50]
	v_add_co_u32_e32 v6, vcc, s14, v6
	v_addc_co_u32_e32 v7, vcc, v42, v7, vcc
	v_add_co_u32_e32 v18, vcc, s14, v18
	v_addc_co_u32_e32 v19, vcc, v42, v19, vcc
	global_load_dwordx2 v[43:44], v[18:19], off
	s_nop 0
	global_load_dwordx2 v[18:19], v[6:7], off
	s_waitcnt vmcnt(0)
	v_mul_f64 v[43:44], v[18:19], v[43:44]
	v_mul_f64 v[20:21], v[43:44], v[20:21]
	v_add_u32_e32 v43, s1, v17
	v_mov_b32_e32 v44, v1
	v_lshlrev_b64 v[45:46], 3, v[43:44]
	v_mov_b32_e32 v44, s11
	v_add_co_u32_e32 v47, vcc, s10, v45
	v_addc_co_u32_e32 v48, vcc, v44, v46, vcc
	global_load_dwordx2 v[47:48], v[47:48], off
	v_min_f64 v[20:21], v[20:21], s[2:3]
	v_mov_b32_e32 v43, s13
	v_add_co_u32_e32 v45, vcc, s12, v45
	v_addc_co_u32_e32 v46, vcc, v43, v46, vcc
	v_mov_b32_e32 v17, v1
	s_waitcnt vmcnt(0)
	v_mul_f64 v[20:21], v[47:48], v[20:21]
	global_store_dwordx2 v[45:46], v[20:21], off
	v_lshlrev_b64 v[20:21], 3, v[16:17]
	v_add_u32_e32 v16, s8, v16
	v_add_co_u32_e32 v20, vcc, s14, v20
	v_lshlrev_b64 v[16:17], 3, v[16:17]
	v_addc_co_u32_e32 v21, vcc, v42, v21, vcc
	v_add_co_u32_e32 v16, vcc, s14, v16
	v_addc_co_u32_e32 v17, vcc, v42, v17, vcc
	global_load_dwordx2 v[45:46], v[16:17], off
	global_load_dwordx2 v[36:37], v[20:21], off
	s_waitcnt vmcnt(0)
	v_mul_f64 v[16:17], v[36:37], v[45:46]
	v_mul_f64 v[14:15], v[16:17], v[14:15]
	v_add_co_u32_e32 v16, vcc, s10, v30
	v_addc_co_u32_e32 v17, vcc, v44, v31, vcc
	global_load_dwordx2 v[16:17], v[16:17], off
	v_min_f64 v[14:15], v[14:15], s[2:3]
	s_waitcnt vmcnt(0)
	v_mul_f64 v[14:15], v[16:17], v[14:15]
	v_add_co_u32_e32 v16, vcc, s12, v30
	v_addc_co_u32_e32 v17, vcc, v43, v31, vcc
	global_store_dwordx2 v[16:17], v[14:15], off
	v_add_co_u32_e32 v14, vcc, s14, v28
	v_addc_co_u32_e32 v15, vcc, v42, v29, vcc
	global_load_dwordx2 v[28:29], v[14:15], off
	v_div_fixup_f64 v[16:17], v[38:39], v[23:24], 1.0
	v_lshlrev_b64 v[24:25], 3, v[0:1]
	v_add_u32_e32 v0, s4, v0
	s_waitcnt vmcnt(0)
	v_mul_f64 v[22:23], v[45:46], v[28:29]
	v_mul_f64 v[16:17], v[22:23], v[16:17]
	v_add_co_u32_e32 v22, vcc, s10, v32
	v_addc_co_u32_e32 v23, vcc, v44, v33, vcc
	global_load_dwordx2 v[22:23], v[22:23], off
	v_min_f64 v[16:17], v[16:17], s[2:3]
	s_waitcnt vmcnt(0)
	v_mul_f64 v[16:17], v[22:23], v[16:17]
	v_add_co_u32_e32 v22, vcc, s12, v32
	v_addc_co_u32_e32 v23, vcc, v43, v33, vcc
	global_store_dwordx2 v[22:23], v[16:17], off
	v_mul_f64 v[16:17], v[45:46], v[26:27]
	v_div_fixup_f64 v[22:23], v[40:41], v[34:35], 1.0
	v_mul_f64 v[16:17], v[16:17], v[22:23]
	v_add_co_u32_e32 v22, vcc, s10, v24
	v_addc_co_u32_e32 v23, vcc, v44, v25, vcc
	global_load_dwordx2 v[22:23], v[22:23], off
	v_min_f64 v[16:17], v[16:17], s[2:3]
	s_waitcnt vmcnt(0)
	v_mul_f64 v[16:17], v[22:23], v[16:17]
	v_add_co_u32_e32 v22, vcc, s12, v24
	v_addc_co_u32_e32 v23, vcc, v43, v25, vcc
	v_mad_u64_u32 v[24:25], s[0:1], s6, 13, v[0:1]
	v_mov_b32_e32 v25, v1
	global_store_dwordx2 v[22:23], v[16:17], off
	v_lshlrev_b64 v[16:17], 3, v[24:25]
	v_add_co_u32_e32 v16, vcc, s14, v16
	v_addc_co_u32_e32 v17, vcc, v42, v17, vcc
	global_load_dwordx2 v[16:17], v[16:17], off
	s_waitcnt vmcnt(0)
	v_mul_f64 v[16:17], v[36:37], v[16:17]
	v_div_scale_f64 v[22:23], s[0:1], v[16:17], v[16:17], 1.0
	v_rcp_f64_e32 v[30:31], v[22:23]
	v_fma_f64 v[32:33], -v[22:23], v[30:31], 1.0
	v_fma_f64 v[30:31], v[30:31], v[32:33], v[30:31]
	v_fma_f64 v[32:33], -v[22:23], v[30:31], 1.0
	v_fma_f64 v[30:31], v[30:31], v[32:33], v[30:31]
	v_div_scale_f64 v[32:33], vcc, 1.0, v[16:17], 1.0
	v_mul_f64 v[34:35], v[32:33], v[30:31]
	v_fma_f64 v[22:23], -v[22:23], v[34:35], v[32:33]
	s_nop 1
	v_div_fmas_f64 v[22:23], v[22:23], v[30:31], v[34:35]
	v_div_scale_f64 v[30:31], s[0:1], v[4:5], v[4:5], 1.0
	s_mul_i32 s0, s6, 0x53
	v_div_fixup_f64 v[16:17], v[22:23], v[16:17], 1.0
	v_rcp_f64_e32 v[32:33], v[30:31]
	v_fma_f64 v[34:35], -v[30:31], v[32:33], 1.0
	v_fma_f64 v[32:33], v[32:33], v[34:35], v[32:33]
	v_fma_f64 v[34:35], -v[30:31], v[32:33], 1.0
	v_fma_f64 v[32:33], v[32:33], v[34:35], v[32:33]
	v_div_scale_f64 v[34:35], vcc, 1.0, v[4:5], 1.0
	v_mul_f64 v[38:39], v[34:35], v[32:33]
	v_fma_f64 v[30:31], -v[30:31], v[38:39], v[34:35]
	s_nop 1
	v_div_fmas_f64 v[30:31], v[30:31], v[32:33], v[38:39]
	v_lshlrev_b64 v[32:33], 3, v[0:1]
	v_add_u32_e32 v0, s0, v24
	v_add_co_u32_e32 v32, vcc, s14, v32
	v_addc_co_u32_e32 v33, vcc, v42, v33, vcc
	global_load_dwordx2 v[32:33], v[32:33], off
	s_mul_i32 s0, s6, 0x60
	v_div_fixup_f64 v[4:5], v[30:31], v[4:5], 1.0
	s_waitcnt vmcnt(0)
	v_mul_f64 v[22:23], v[45:46], v[32:33]
	v_mul_f64 v[16:17], v[22:23], v[16:17]
	v_lshlrev_b64 v[22:23], 3, v[0:1]
	v_add_u32_e32 v0, s4, v0
	v_add_co_u32_e32 v24, vcc, s10, v22
	v_addc_co_u32_e32 v25, vcc, v44, v23, vcc
	global_load_dwordx2 v[24:25], v[24:25], off
	v_min_f64 v[16:17], v[16:17], s[2:3]
	v_add_co_u32_e32 v22, vcc, s12, v22
	v_addc_co_u32_e32 v23, vcc, v43, v23, vcc
	s_waitcnt vmcnt(0)
	v_mul_f64 v[16:17], v[24:25], v[16:17]
	global_store_dwordx2 v[22:23], v[16:17], off
	v_lshlrev_b64 v[16:17], 3, v[0:1]
	v_add_u32_e32 v0, s0, v0
	v_add_co_u32_e32 v16, vcc, s14, v16
	v_lshlrev_b64 v[22:23], 3, v[0:1]
	v_addc_co_u32_e32 v17, vcc, v42, v17, vcc
	v_add_co_u32_e32 v24, vcc, s10, v22
	v_addc_co_u32_e32 v25, vcc, v44, v23, vcc
	global_load_dwordx2 v[24:25], v[24:25], off
	s_nop 0
	global_load_dwordx2 v[30:31], v[16:17], off
	v_add_co_u32_e32 v22, vcc, s12, v22
	v_addc_co_u32_e32 v23, vcc, v43, v23, vcc
	v_add_u32_e32 v0, s4, v0
	s_mul_i32 s4, s6, 0x5c
	s_waitcnt vmcnt(0)
	v_mul_f64 v[34:35], v[45:46], v[30:31]
	v_mul_f64 v[34:35], v[4:5], v[34:35]
	v_min_f64 v[34:35], v[34:35], s[2:3]
	v_mul_f64 v[24:25], v[24:25], v[34:35]
	global_store_dwordx2 v[22:23], v[24:25], off
	v_lshlrev_b64 v[22:23], 3, v[0:1]
	v_add_u32_e32 v0, s0, v0
	v_add_co_u32_e32 v22, vcc, s14, v22
	v_addc_co_u32_e32 v23, vcc, v42, v23, vcc
	global_load_dwordx2 v[24:25], v[22:23], off
	s_mul_i32 s0, s6, 0xffffffae
	s_waitcnt vmcnt(0)
	v_mul_f64 v[22:23], v[45:46], v[24:25]
	v_mul_f64 v[4:5], v[4:5], v[22:23]
	v_lshlrev_b64 v[22:23], 3, v[0:1]
	v_add_u32_e32 v0, s0, v0
	v_add_co_u32_e32 v34, vcc, s10, v22
	v_addc_co_u32_e32 v35, vcc, v44, v23, vcc
	global_load_dwordx2 v[34:35], v[34:35], off
	v_min_f64 v[4:5], v[4:5], s[2:3]
	v_add_co_u32_e32 v22, vcc, s12, v22
	v_addc_co_u32_e32 v23, vcc, v43, v23, vcc
	s_waitcnt vmcnt(0)
	v_mul_f64 v[4:5], v[34:35], v[4:5]
	global_store_dwordx2 v[22:23], v[4:5], off
	v_lshlrev_b64 v[4:5], 3, v[0:1]
	v_add_u32_e32 v0, s7, v0
	v_lshlrev_b64 v[22:23], 3, v[0:1]
	s_mul_i32 s7, s6, 0x5e
	v_add_co_u32_e32 v22, vcc, s14, v22
	v_addc_co_u32_e32 v23, vcc, v42, v23, vcc
	global_load_dwordx2 v[34:35], v[22:23], off
	v_add_u32_e32 v0, s7, v0
	s_waitcnt vmcnt(0)
	v_mul_f64 v[38:39], v[24:25], v[34:35]
	v_div_scale_f64 v[24:25], s[0:1], v[38:39], v[38:39], 1.0
	s_mov_b32 s0, 0
	s_mov_b32 s1, 0x412eec04
	v_rcp_f64_e32 v[40:41], v[24:25]
	v_fma_f64 v[45:46], -v[24:25], v[40:41], 1.0
	v_fma_f64 v[40:41], v[40:41], v[45:46], v[40:41]
	v_fma_f64 v[45:46], -v[24:25], v[40:41], 1.0
	v_fma_f64 v[40:41], v[40:41], v[45:46], v[40:41]
	v_div_scale_f64 v[45:46], vcc, 1.0, v[38:39], 1.0
	v_mul_f64 v[47:48], v[45:46], v[40:41]
	v_fma_f64 v[24:25], -v[24:25], v[47:48], v[45:46]
	s_nop 1
	v_div_fmas_f64 v[40:41], v[24:25], v[40:41], v[47:48]
	v_mul_f64 v[24:25], v[8:9], s[0:1]
	v_mul_f64 v[8:9], v[36:37], v[34:35]
	;; [unrolled: 1-line block ×3, first 2 shown]
	v_div_fixup_f64 v[40:41], v[40:41], v[38:39], 1.0
	v_mul_f64 v[12:13], v[24:25], v[8:9]
	v_div_scale_f64 v[8:9], s[0:1], v[12:13], v[12:13], 1.0
	v_rcp_f64_e32 v[45:46], v[8:9]
	v_fma_f64 v[47:48], -v[8:9], v[45:46], 1.0
	v_fma_f64 v[45:46], v[45:46], v[47:48], v[45:46]
	v_fma_f64 v[47:48], -v[8:9], v[45:46], 1.0
	v_fma_f64 v[45:46], v[45:46], v[47:48], v[45:46]
	v_div_scale_f64 v[47:48], vcc, 1.0, v[12:13], 1.0
	v_mul_f64 v[49:50], v[47:48], v[45:46]
	v_fma_f64 v[8:9], -v[8:9], v[49:50], v[47:48]
	s_nop 1
	v_div_fmas_f64 v[45:46], v[8:9], v[45:46], v[49:50]
	v_add_co_u32_e32 v4, vcc, s14, v4
	v_addc_co_u32_e32 v5, vcc, v42, v5, vcc
	global_load_dwordx2 v[38:39], v[4:5], off
	v_lshlrev_b64 v[4:5], 3, v[0:1]
	v_add_u32_e32 v0, s6, v0
	v_add_co_u32_e32 v8, vcc, s10, v4
	v_addc_co_u32_e32 v9, vcc, v44, v5, vcc
	global_load_dwordx2 v[47:48], v[8:9], off
	v_add_co_u32_e32 v4, vcc, s12, v4
	v_addc_co_u32_e32 v5, vcc, v43, v5, vcc
	s_waitcnt vmcnt(1)
	v_mul_f64 v[8:9], v[36:37], v[38:39]
	v_mul_f64 v[18:19], v[18:19], v[38:39]
	;; [unrolled: 1-line block ×4, first 2 shown]
	v_min_f64 v[40:41], v[40:41], s[2:3]
	s_waitcnt vmcnt(0)
	v_mul_f64 v[40:41], v[47:48], v[40:41]
	global_store_dwordx2 v[4:5], v[40:41], off
	v_div_fixup_f64 v[4:5], v[45:46], v[12:13], 1.0
	v_mul_f64 v[12:13], v[28:29], v[38:39]
	v_mul_f64 v[4:5], v[12:13], v[4:5]
	v_lshlrev_b64 v[12:13], 3, v[0:1]
	v_add_u32_e32 v0, s6, v0
	v_add_co_u32_e32 v40, vcc, s10, v12
	v_addc_co_u32_e32 v41, vcc, v44, v13, vcc
	global_load_dwordx2 v[40:41], v[40:41], off
	v_min_f64 v[4:5], v[4:5], s[2:3]
	v_add_co_u32_e32 v12, vcc, s12, v12
	v_addc_co_u32_e32 v13, vcc, v43, v13, vcc
	s_waitcnt vmcnt(0)
	v_mul_f64 v[4:5], v[40:41], v[4:5]
	global_store_dwordx2 v[12:13], v[4:5], off
	v_mul_f64 v[4:5], v[26:27], v[34:35]
	v_mul_f64 v[4:5], v[34:35], v[4:5]
	;; [unrolled: 1-line block ×3, first 2 shown]
	v_div_scale_f64 v[4:5], s[0:1], v[12:13], v[12:13], 1.0
	v_rcp_f64_e32 v[26:27], v[4:5]
	v_fma_f64 v[40:41], -v[4:5], v[26:27], 1.0
	v_fma_f64 v[26:27], v[26:27], v[40:41], v[26:27]
	v_fma_f64 v[40:41], -v[4:5], v[26:27], 1.0
	v_fma_f64 v[26:27], v[26:27], v[40:41], v[26:27]
	v_div_scale_f64 v[40:41], vcc, 1.0, v[12:13], 1.0
	v_mul_f64 v[45:46], v[40:41], v[26:27]
	v_fma_f64 v[4:5], -v[4:5], v[45:46], v[40:41]
	v_lshlrev_b64 v[40:41], 3, v[0:1]
	v_add_u32_e32 v0, s5, v0
	v_div_fmas_f64 v[26:27], v[4:5], v[26:27], v[45:46]
	v_lshlrev_b64 v[4:5], 3, v[0:1]
	v_add_u32_e32 v0, s4, v0
	v_add_co_u32_e32 v4, vcc, s14, v4
	v_addc_co_u32_e32 v5, vcc, v42, v5, vcc
	global_load_dwordx2 v[4:5], v[4:5], off
	v_div_fixup_f64 v[12:13], v[26:27], v[12:13], 1.0
	v_mul_f64 v[12:13], v[18:19], v[12:13]
	v_min_f64 v[12:13], v[12:13], s[2:3]
	s_waitcnt vmcnt(0)
	v_mul_f64 v[45:46], v[34:35], v[4:5]
	v_mul_f64 v[28:29], v[28:29], v[4:5]
	v_div_scale_f64 v[47:48], s[0:1], v[45:46], v[45:46], 1.0
	s_mul_i32 s0, s6, 0xffffffa6
	v_rcp_f64_e32 v[49:50], v[47:48]
	v_fma_f64 v[51:52], -v[47:48], v[49:50], 1.0
	v_fma_f64 v[49:50], v[49:50], v[51:52], v[49:50]
	v_fma_f64 v[51:52], -v[47:48], v[49:50], 1.0
	v_fma_f64 v[49:50], v[49:50], v[51:52], v[49:50]
	v_div_scale_f64 v[51:52], vcc, 1.0, v[45:46], 1.0
	v_mul_f64 v[53:54], v[51:52], v[49:50]
	v_fma_f64 v[47:48], -v[47:48], v[53:54], v[51:52]
	s_nop 1
	v_div_fmas_f64 v[47:48], v[47:48], v[49:50], v[53:54]
	v_add_co_u32_e32 v18, vcc, s10, v40
	v_addc_co_u32_e32 v19, vcc, v44, v41, vcc
	global_load_dwordx2 v[18:19], v[18:19], off
	s_waitcnt vmcnt(0)
	v_mul_f64 v[12:13], v[18:19], v[12:13]
	v_add_co_u32_e32 v18, vcc, s12, v40
	v_addc_co_u32_e32 v19, vcc, v43, v41, vcc
	global_store_dwordx2 v[18:19], v[12:13], off
	v_div_fixup_f64 v[12:13], v[47:48], v[45:46], 1.0
	v_mul_f64 v[18:19], v[32:33], v[38:39]
	v_mul_f64 v[12:13], v[18:19], v[12:13]
	v_lshlrev_b64 v[18:19], 3, v[0:1]
	v_add_u32_e32 v0, s0, v0
	v_add_co_u32_e32 v26, vcc, s10, v18
	v_addc_co_u32_e32 v27, vcc, v44, v19, vcc
	global_load_dwordx2 v[26:27], v[26:27], off
	v_min_f64 v[12:13], v[12:13], s[2:3]
	v_add_co_u32_e32 v18, vcc, s12, v18
	v_addc_co_u32_e32 v19, vcc, v43, v19, vcc
	s_waitcnt vmcnt(0)
	v_mul_f64 v[12:13], v[26:27], v[12:13]
	global_store_dwordx2 v[18:19], v[12:13], off
	v_lshlrev_b64 v[12:13], 3, v[0:1]
	v_add_co_u32_e32 v12, vcc, s14, v12
	v_addc_co_u32_e32 v13, vcc, v42, v13, vcc
	global_load_dwordx2 v[26:27], v[12:13], off
	s_waitcnt vmcnt(0)
	v_mul_f64 v[18:19], v[34:35], v[26:27]
	v_mul_f64 v[34:35], v[34:35], v[34:35]
	v_div_scale_f64 v[32:33], s[0:1], v[18:19], v[18:19], 1.0
	v_mul_f64 v[34:35], v[34:35], v[4:5]
	v_mul_f64 v[34:35], v[24:25], v[34:35]
	v_rcp_f64_e32 v[40:41], v[32:33]
	v_fma_f64 v[45:46], -v[32:33], v[40:41], 1.0
	v_fma_f64 v[40:41], v[40:41], v[45:46], v[40:41]
	v_fma_f64 v[45:46], -v[32:33], v[40:41], 1.0
	v_fma_f64 v[40:41], v[40:41], v[45:46], v[40:41]
	v_div_scale_f64 v[45:46], vcc, 1.0, v[18:19], 1.0
	v_mul_f64 v[47:48], v[45:46], v[40:41]
	v_fma_f64 v[32:33], -v[32:33], v[47:48], v[45:46]
	s_nop 1
	v_div_fmas_f64 v[32:33], v[32:33], v[40:41], v[47:48]
	v_div_scale_f64 v[40:41], s[0:1], v[34:35], v[34:35], 1.0
	s_mul_i32 s0, s6, 0x5b
	v_add_u32_e32 v0, s0, v0
	s_mul_i32 s0, s6, 0xffffffa3
	v_div_fixup_f64 v[18:19], v[32:33], v[18:19], 1.0
	v_rcp_f64_e32 v[45:46], v[40:41]
	v_mul_f64 v[18:19], v[30:31], v[18:19]
	v_lshlrev_b64 v[30:31], 3, v[0:1]
	v_add_u32_e32 v0, s6, v0
	v_min_f64 v[18:19], v[18:19], s[2:3]
	v_fma_f64 v[47:48], -v[40:41], v[45:46], 1.0
	v_fma_f64 v[45:46], v[45:46], v[47:48], v[45:46]
	v_fma_f64 v[47:48], -v[40:41], v[45:46], 1.0
	v_fma_f64 v[45:46], v[45:46], v[47:48], v[45:46]
	v_div_scale_f64 v[47:48], vcc, 1.0, v[34:35], 1.0
	v_mul_f64 v[49:50], v[47:48], v[45:46]
	v_fma_f64 v[40:41], -v[40:41], v[49:50], v[47:48]
	s_nop 1
	v_div_fmas_f64 v[40:41], v[40:41], v[45:46], v[49:50]
	v_add_co_u32_e32 v32, vcc, s10, v30
	v_addc_co_u32_e32 v33, vcc, v44, v31, vcc
	global_load_dwordx2 v[32:33], v[32:33], off
	v_add_co_u32_e32 v30, vcc, s12, v30
	v_addc_co_u32_e32 v31, vcc, v43, v31, vcc
	s_waitcnt vmcnt(0)
	v_mul_f64 v[18:19], v[32:33], v[18:19]
	global_store_dwordx2 v[30:31], v[18:19], off
	v_div_fixup_f64 v[18:19], v[40:41], v[34:35], 1.0
	v_mul_f64 v[30:31], v[38:39], v[38:39]
	v_mul_f64 v[18:19], v[30:31], v[18:19]
	v_lshlrev_b64 v[30:31], 3, v[0:1]
	v_add_u32_e32 v0, s0, v0
	v_add_co_u32_e32 v32, vcc, s10, v30
	v_addc_co_u32_e32 v33, vcc, v44, v31, vcc
	global_load_dwordx2 v[32:33], v[32:33], off
	v_min_f64 v[18:19], v[18:19], s[2:3]
	v_add_co_u32_e32 v30, vcc, s12, v30
	v_addc_co_u32_e32 v31, vcc, v43, v31, vcc
	s_waitcnt vmcnt(0)
	v_mul_f64 v[18:19], v[18:19], v[32:33]
	global_store_dwordx2 v[30:31], v[18:19], off
	v_lshlrev_b64 v[18:19], 3, v[0:1]
	v_add_u32_e32 v0, s7, v0
	v_add_co_u32_e32 v18, vcc, s14, v18
	v_addc_co_u32_e32 v19, vcc, v42, v19, vcc
	global_load_dwordx2 v[30:31], v[18:19], off
	s_waitcnt vmcnt(0)
	v_div_scale_f64 v[32:33], s[0:1], v[30:31], v[30:31], 1.0
	v_rcp_f64_e32 v[34:35], v[32:33]
	v_fma_f64 v[38:39], -v[32:33], v[34:35], 1.0
	v_fma_f64 v[34:35], v[34:35], v[38:39], v[34:35]
	v_fma_f64 v[38:39], -v[32:33], v[34:35], 1.0
	v_fma_f64 v[34:35], v[34:35], v[38:39], v[34:35]
	v_div_scale_f64 v[38:39], vcc, 1.0, v[30:31], 1.0
	v_mul_f64 v[40:41], v[38:39], v[34:35]
	v_fma_f64 v[32:33], -v[32:33], v[40:41], v[38:39]
	s_nop 1
	v_div_fmas_f64 v[32:33], v[32:33], v[34:35], v[40:41]
	v_mul_f64 v[34:35], v[36:37], v[4:5]
	v_mul_f64 v[34:35], v[24:25], v[34:35]
	v_div_fixup_f64 v[30:31], v[32:33], v[30:31], 1.0
	v_div_scale_f64 v[36:37], s[0:1], v[34:35], v[34:35], 1.0
	v_lshlrev_b64 v[32:33], 3, v[0:1]
	v_add_u32_e32 v0, s6, v0
	v_mul_f64 v[30:31], v[4:5], v[30:31]
	v_min_f64 v[30:31], v[30:31], s[2:3]
	v_rcp_f64_e32 v[38:39], v[36:37]
	v_fma_f64 v[40:41], -v[36:37], v[38:39], 1.0
	v_fma_f64 v[38:39], v[38:39], v[40:41], v[38:39]
	v_fma_f64 v[40:41], -v[36:37], v[38:39], 1.0
	v_fma_f64 v[38:39], v[38:39], v[40:41], v[38:39]
	v_div_scale_f64 v[40:41], vcc, 1.0, v[34:35], 1.0
	v_mul_f64 v[45:46], v[40:41], v[38:39]
	v_fma_f64 v[36:37], -v[36:37], v[45:46], v[40:41]
	s_nop 1
	v_div_fmas_f64 v[36:37], v[36:37], v[38:39], v[45:46]
	v_add_co_u32_e32 v38, vcc, s10, v32
	v_addc_co_u32_e32 v39, vcc, v44, v33, vcc
	global_load_dwordx2 v[38:39], v[38:39], off
	v_add_co_u32_e32 v32, vcc, s12, v32
	v_addc_co_u32_e32 v33, vcc, v43, v33, vcc
	s_waitcnt vmcnt(0)
	v_mul_f64 v[30:31], v[38:39], v[30:31]
	global_store_dwordx2 v[32:33], v[30:31], off
	v_div_fixup_f64 v[30:31], v[36:37], v[34:35], 1.0
	v_lshlrev_b64 v[32:33], 3, v[0:1]
	v_add_u32_e32 v0, s6, v0
	v_mul_f64 v[26:27], v[26:27], v[30:31]
	v_add_co_u32_e32 v30, vcc, s10, v32
	v_addc_co_u32_e32 v31, vcc, v44, v33, vcc
	global_load_dwordx2 v[30:31], v[30:31], off
	v_min_f64 v[26:27], v[26:27], s[2:3]
	s_waitcnt vmcnt(0)
	v_mul_f64 v[26:27], v[26:27], v[30:31]
	v_add_co_u32_e32 v30, vcc, s12, v32
	v_addc_co_u32_e32 v31, vcc, v43, v33, vcc
	v_div_scale_f64 v[32:33], s[0:1], v[8:9], v[8:9], 1.0
	global_store_dwordx2 v[30:31], v[26:27], off
	v_rcp_f64_e32 v[26:27], v[32:33]
	v_fma_f64 v[30:31], -v[32:33], v[26:27], 1.0
	v_fma_f64 v[26:27], v[26:27], v[30:31], v[26:27]
	v_fma_f64 v[30:31], -v[32:33], v[26:27], 1.0
	v_fma_f64 v[26:27], v[26:27], v[30:31], v[26:27]
	v_div_scale_f64 v[30:31], vcc, 1.0, v[8:9], 1.0
	v_mul_f64 v[34:35], v[30:31], v[26:27]
	v_fma_f64 v[30:31], -v[32:33], v[34:35], v[30:31]
	s_nop 1
	v_div_fmas_f64 v[26:27], v[30:31], v[26:27], v[34:35]
	global_load_dwordx2 v[30:31], v[16:17], off
	s_nop 0
	global_load_dwordx2 v[22:23], v[22:23], off
	v_div_fixup_f64 v[8:9], v[26:27], v[8:9], 1.0
	v_lshlrev_b64 v[26:27], 3, v[0:1]
	v_add_u32_e32 v0, s6, v0
	v_mul_f64 v[8:9], v[8:9], v[28:29]
	v_min_f64 v[8:9], v[8:9], s[2:3]
	s_waitcnt vmcnt(0)
	v_mul_f64 v[30:31], v[30:31], v[22:23]
	v_div_scale_f64 v[32:33], s[0:1], v[30:31], v[30:31], 1.0
	v_rcp_f64_e32 v[34:35], v[32:33]
	v_fma_f64 v[36:37], -v[32:33], v[34:35], 1.0
	v_fma_f64 v[34:35], v[34:35], v[36:37], v[34:35]
	v_fma_f64 v[36:37], -v[32:33], v[34:35], 1.0
	v_fma_f64 v[34:35], v[34:35], v[36:37], v[34:35]
	v_div_scale_f64 v[36:37], vcc, 1.0, v[30:31], 1.0
	v_mul_f64 v[38:39], v[36:37], v[34:35]
	v_fma_f64 v[32:33], -v[32:33], v[38:39], v[36:37]
	s_nop 1
	v_div_fmas_f64 v[32:33], v[32:33], v[34:35], v[38:39]
	v_add_co_u32_e32 v34, vcc, s10, v26
	v_addc_co_u32_e32 v35, vcc, v44, v27, vcc
	global_load_dwordx2 v[34:35], v[34:35], off
	v_add_co_u32_e32 v26, vcc, s12, v26
	v_addc_co_u32_e32 v27, vcc, v43, v27, vcc
	s_waitcnt vmcnt(0)
	v_mul_f64 v[8:9], v[8:9], v[34:35]
	v_lshlrev_b64 v[34:35], 3, v[0:1]
	v_add_u32_e32 v0, s5, v0
	global_store_dwordx2 v[26:27], v[8:9], off
	v_lshlrev_b64 v[8:9], 3, v[0:1]
	v_add_u32_e32 v0, s4, v0
	v_add_co_u32_e32 v8, vcc, s14, v8
	v_addc_co_u32_e32 v9, vcc, v42, v9, vcc
	global_load_dwordx2 v[20:21], v[20:21], off
	s_nop 0
	global_load_dwordx2 v[26:27], v[8:9], off
	v_div_fixup_f64 v[8:9], v[32:33], v[30:31], 1.0
	v_add_co_u32_e32 v30, vcc, s10, v34
	v_addc_co_u32_e32 v31, vcc, v44, v35, vcc
	global_load_dwordx2 v[30:31], v[30:31], off
	v_mul_f64 v[28:29], v[28:29], v[8:9]
	global_load_dwordx2 v[10:11], v[10:11], off
	v_min_f64 v[28:29], v[28:29], s[2:3]
	global_load_dwordx2 v[12:13], v[12:13], off
	s_waitcnt vmcnt(3)
	v_mul_f64 v[20:21], v[20:21], v[26:27]
	s_waitcnt vmcnt(2)
	v_mul_f64 v[28:29], v[30:31], v[28:29]
	v_add_co_u32_e32 v30, vcc, s12, v34
	v_div_scale_f64 v[26:27], s[0:1], v[20:21], v[20:21], 1.0
	v_addc_co_u32_e32 v31, vcc, v43, v35, vcc
	global_store_dwordx2 v[30:31], v[28:29], off
	v_div_scale_f64 v[28:29], vcc, 1.0, v[20:21], 1.0
	s_waitcnt vmcnt(1)
	v_mul_f64 v[12:13], v[22:23], v[12:13]
	v_rcp_f64_e32 v[32:33], v[26:27]
	v_fma_f64 v[34:35], -v[26:27], v[32:33], 1.0
	v_fma_f64 v[32:33], v[32:33], v[34:35], v[32:33]
	global_load_dwordx2 v[34:35], v[2:3], off
	v_fma_f64 v[2:3], -v[26:27], v[32:33], 1.0
	v_fma_f64 v[2:3], v[32:33], v[2:3], v[32:33]
	v_mul_f64 v[30:31], v[28:29], v[2:3]
	v_fma_f64 v[26:27], -v[26:27], v[30:31], v[28:29]
	v_div_fmas_f64 v[2:3], v[26:27], v[2:3], v[30:31]
	v_div_fixup_f64 v[2:3], v[2:3], v[20:21], 1.0
	v_lshlrev_b64 v[20:21], 3, v[0:1]
	v_add_u32_e32 v0, s6, v0
	s_waitcnt vmcnt(0)
	v_mul_f64 v[28:29], v[34:35], v[22:23]
	v_mul_f64 v[34:35], v[34:35], v[4:5]
	v_div_scale_f64 v[26:27], s[0:1], v[28:29], v[28:29], 1.0
	v_mul_f64 v[24:25], v[24:25], v[34:35]
	v_rcp_f64_e32 v[30:31], v[26:27]
	v_fma_f64 v[32:33], -v[26:27], v[30:31], 1.0
	v_fma_f64 v[30:31], v[30:31], v[32:33], v[30:31]
	v_fma_f64 v[32:33], -v[26:27], v[30:31], 1.0
	v_fma_f64 v[30:31], v[30:31], v[32:33], v[30:31]
	v_div_scale_f64 v[32:33], vcc, 1.0, v[28:29], 1.0
	v_mul_f64 v[36:37], v[32:33], v[30:31]
	v_fma_f64 v[26:27], -v[26:27], v[36:37], v[32:33]
	v_mul_f64 v[32:33], v[10:11], v[4:5]
	s_nop 0
	v_div_fmas_f64 v[26:27], v[26:27], v[30:31], v[36:37]
	v_add_co_u32_e32 v30, vcc, s10, v20
	v_addc_co_u32_e32 v31, vcc, v44, v21, vcc
	global_load_dwordx2 v[30:31], v[30:31], off
	v_mul_f64 v[36:37], v[32:33], v[2:3]
	v_add_co_u32_e32 v20, vcc, s12, v20
	v_addc_co_u32_e32 v21, vcc, v43, v21, vcc
	v_min_f64 v[36:37], v[36:37], s[2:3]
	v_div_fixup_f64 v[26:27], v[26:27], v[28:29], 1.0
	v_mul_f64 v[26:27], v[32:33], v[26:27]
	v_min_f64 v[26:27], v[26:27], s[2:3]
	s_waitcnt vmcnt(0)
	v_mul_f64 v[30:31], v[30:31], v[36:37]
	global_store_dwordx2 v[20:21], v[30:31], off
	v_div_scale_f64 v[20:21], s[0:1], v[12:13], v[12:13], 1.0
	v_lshlrev_b64 v[30:31], 3, v[0:1]
	v_rcp_f64_e32 v[22:23], v[20:21]
	v_fma_f64 v[28:29], -v[20:21], v[22:23], 1.0
	v_fma_f64 v[22:23], v[22:23], v[28:29], v[22:23]
	v_add_co_u32_e32 v28, vcc, s10, v30
	v_addc_co_u32_e32 v29, vcc, v44, v31, vcc
	global_load_dwordx2 v[28:29], v[28:29], off
	s_waitcnt vmcnt(0)
	v_mul_f64 v[26:27], v[28:29], v[26:27]
	v_fma_f64 v[28:29], -v[20:21], v[22:23], 1.0
	v_fma_f64 v[22:23], v[22:23], v[28:29], v[22:23]
	v_div_scale_f64 v[28:29], vcc, 1.0, v[12:13], 1.0
	v_mul_f64 v[32:33], v[28:29], v[22:23]
	v_fma_f64 v[20:21], -v[20:21], v[32:33], v[28:29]
	v_add_co_u32_e64 v28, s[0:1], s12, v30
	v_addc_co_u32_e64 v29, s[0:1], v43, v31, s[0:1]
	s_mul_i32 s0, s6, 0xffffff99
	v_add_u32_e32 v0, s0, v0
	s_mul_i32 s0, s6, 0x68
	v_div_fmas_f64 v[20:21], v[20:21], v[22:23], v[32:33]
	v_lshlrev_b64 v[22:23], 3, v[0:1]
	v_add_u32_e32 v0, s0, v0
	global_store_dwordx2 v[28:29], v[26:27], off
	v_lshlrev_b64 v[26:27], 3, v[0:1]
	v_add_u32_e32 v0, s5, v0
	v_lshlrev_b64 v[28:29], 3, v[0:1]
	v_add_u32_e32 v0, s4, v0
	v_add_co_u32_e32 v28, vcc, s14, v28
	v_addc_co_u32_e32 v29, vcc, v42, v29, vcc
	global_load_dwordx2 v[32:33], v[28:29], off
	v_div_fixup_f64 v[12:13], v[20:21], v[12:13], 1.0
	s_waitcnt vmcnt(0)
	v_div_scale_f64 v[28:29], s[0:1], v[32:33], v[32:33], 1.0
	v_rcp_f64_e32 v[30:31], v[28:29]
	v_fma_f64 v[36:37], -v[28:29], v[30:31], 1.0
	v_fma_f64 v[30:31], v[30:31], v[36:37], v[30:31]
	v_fma_f64 v[36:37], -v[28:29], v[30:31], 1.0
	v_fma_f64 v[30:31], v[30:31], v[36:37], v[30:31]
	v_div_scale_f64 v[36:37], vcc, 1.0, v[32:33], 1.0
	v_mul_f64 v[38:39], v[36:37], v[30:31]
	v_fma_f64 v[28:29], -v[28:29], v[38:39], v[36:37]
	s_nop 1
	v_div_fmas_f64 v[36:37], v[28:29], v[30:31], v[38:39]
	v_add_co_u32_e32 v22, vcc, s14, v22
	v_addc_co_u32_e32 v23, vcc, v42, v23, vcc
	global_load_dwordx2 v[22:23], v[22:23], off
	s_nop 0
	global_load_dwordx2 v[28:29], v[18:19], off
	v_add_co_u32_e32 v18, vcc, s10, v26
	v_addc_co_u32_e32 v19, vcc, v44, v27, vcc
	global_load_dwordx2 v[18:19], v[18:19], off
	v_div_fixup_f64 v[32:33], v[36:37], v[32:33], 1.0
	v_mul_f64 v[32:33], v[24:25], v[32:33]
	s_waitcnt vmcnt(2)
	v_mul_f64 v[20:21], v[22:23], v[4:5]
	s_waitcnt vmcnt(1)
	v_mul_f64 v[10:11], v[10:11], v[28:29]
	v_mul_f64 v[12:13], v[20:21], v[12:13]
	v_div_scale_f64 v[20:21], s[0:1], v[28:29], v[28:29], 1.0
	s_mul_i32 s0, s6, 0xffffff93
	v_mul_f64 v[2:3], v[10:11], v[2:3]
	v_min_f64 v[12:13], v[12:13], s[2:3]
	v_min_f64 v[2:3], v[2:3], s[2:3]
	s_waitcnt vmcnt(0)
	v_mul_f64 v[12:13], v[18:19], v[12:13]
	v_rcp_f64_e32 v[18:19], v[20:21]
	v_fma_f64 v[22:23], -v[20:21], v[18:19], 1.0
	v_fma_f64 v[18:19], v[18:19], v[22:23], v[18:19]
	v_add_co_u32_e32 v22, vcc, s12, v26
	v_addc_co_u32_e32 v23, vcc, v43, v27, vcc
	global_store_dwordx2 v[22:23], v[12:13], off
	v_div_scale_f64 v[22:23], vcc, 1.0, v[28:29], 1.0
	v_fma_f64 v[12:13], -v[20:21], v[18:19], 1.0
	v_fma_f64 v[12:13], v[18:19], v[12:13], v[18:19]
	v_mul_f64 v[18:19], v[22:23], v[12:13]
	v_fma_f64 v[20:21], -v[20:21], v[18:19], v[22:23]
	v_lshlrev_b64 v[22:23], 3, v[0:1]
	v_add_u32_e32 v0, s6, v0
	v_div_fmas_f64 v[30:31], v[20:21], v[12:13], v[18:19]
	v_lshlrev_b64 v[20:21], 3, v[0:1]
	v_add_u32_e32 v0, s6, v0
	v_lshlrev_b64 v[18:19], 3, v[0:1]
	v_add_u32_e32 v0, s6, v0
	;; [unrolled: 2-line block ×3, first 2 shown]
	v_lshlrev_b64 v[26:27], 3, v[0:1]
	s_mulk_i32 s6, 0x6e
	v_add_co_u32_e32 v26, vcc, s14, v26
	v_addc_co_u32_e32 v27, vcc, v42, v27, vcc
	global_load_dwordx2 v[16:17], v[16:17], off
	s_nop 0
	global_load_dwordx2 v[26:27], v[26:27], off
	v_add_u32_e32 v0, s6, v0
	v_lshlrev_b64 v[0:1], 3, v[0:1]
	v_div_fixup_f64 v[30:31], v[30:31], v[28:29], 1.0
	v_mul_f64 v[4:5], v[4:5], v[30:31]
	v_min_f64 v[4:5], v[4:5], s[2:3]
	s_waitcnt vmcnt(0)
	v_mul_f64 v[16:17], v[16:17], v[26:27]
	v_div_scale_f64 v[26:27], s[0:1], v[16:17], v[16:17], 1.0
	v_rcp_f64_e32 v[38:39], v[26:27]
	v_fma_f64 v[40:41], -v[26:27], v[38:39], 1.0
	v_fma_f64 v[38:39], v[38:39], v[40:41], v[38:39]
	v_fma_f64 v[40:41], -v[26:27], v[38:39], 1.0
	v_fma_f64 v[38:39], v[38:39], v[40:41], v[38:39]
	v_div_scale_f64 v[40:41], vcc, 1.0, v[16:17], 1.0
	v_mul_f64 v[45:46], v[40:41], v[38:39]
	v_fma_f64 v[26:27], -v[26:27], v[45:46], v[40:41]
	s_nop 1
	v_div_fmas_f64 v[26:27], v[26:27], v[38:39], v[45:46]
	v_add_co_u32_e32 v24, vcc, s10, v22
	v_addc_co_u32_e32 v25, vcc, v44, v23, vcc
	global_load_dwordx2 v[34:35], v[24:25], off
	s_nop 0
	global_load_dwordx2 v[14:15], v[14:15], off
	s_nop 0
	global_load_dwordx2 v[24:25], v[6:7], off
	v_min_f64 v[6:7], v[32:33], s[2:3]
	v_add_co_u32_e32 v32, vcc, s10, v20
	v_addc_co_u32_e32 v33, vcc, v44, v21, vcc
	v_add_co_u32_e32 v30, vcc, s10, v18
	v_addc_co_u32_e32 v31, vcc, v44, v19, vcc
	s_waitcnt vmcnt(2)
	v_mul_f64 v[6:7], v[34:35], v[6:7]
	s_waitcnt vmcnt(1)
	v_mul_f64 v[14:15], v[14:15], v[28:29]
	;; [unrolled: 2-line block ×3, first 2 shown]
	v_add_co_u32_e32 v28, vcc, s10, v12
	v_addc_co_u32_e32 v29, vcc, v44, v13, vcc
	v_add_co_u32_e32 v34, vcc, s10, v0
	v_addc_co_u32_e32 v35, vcc, v44, v1, vcc
	global_load_dwordx2 v[32:33], v[32:33], off
	s_nop 0
	global_load_dwordx2 v[30:31], v[30:31], off
	s_nop 0
	;; [unrolled: 2-line block ×3, first 2 shown]
	global_load_dwordx2 v[34:35], v[34:35], off
	v_mul_f64 v[8:9], v[14:15], v[8:9]
	v_div_fixup_f64 v[14:15], v[26:27], v[16:17], 1.0
	v_add_co_u32_e32 v10, vcc, s12, v22
	v_addc_co_u32_e32 v11, vcc, v43, v23, vcc
	global_store_dwordx2 v[10:11], v[6:7], off
	v_add_co_u32_e32 v10, vcc, s12, v20
	v_min_f64 v[6:7], v[8:9], s[2:3]
	v_mul_f64 v[8:9], v[24:25], v[14:15]
	v_addc_co_u32_e32 v11, vcc, v43, v21, vcc
	v_min_f64 v[8:9], v[8:9], s[2:3]
	s_waitcnt vmcnt(4)
	v_mul_f64 v[4:5], v[32:33], v[4:5]
	s_waitcnt vmcnt(3)
	v_mul_f64 v[6:7], v[30:31], v[6:7]
	;; [unrolled: 2-line block ×3, first 2 shown]
	global_store_dwordx2 v[10:11], v[4:5], off
	v_add_co_u32_e32 v4, vcc, s12, v18
	v_addc_co_u32_e32 v5, vcc, v43, v19, vcc
	global_store_dwordx2 v[4:5], v[6:7], off
	s_waitcnt vmcnt(3)
	v_mul_f64 v[4:5], v[34:35], v[8:9]
	v_add_co_u32_e32 v6, vcc, s12, v12
	v_addc_co_u32_e32 v7, vcc, v43, v13, vcc
	v_add_co_u32_e32 v0, vcc, s12, v0
	v_addc_co_u32_e32 v1, vcc, v43, v1, vcc
	global_store_dwordx2 v[6:7], v[2:3], off
	global_store_dwordx2 v[0:1], v[4:5], off
	s_endpgm
	.section	.rodata,"a",@progbits
	.p2align	6, 0x0
	.amdhsa_kernel _Z12ratt6_kernelIdEvPKT_S2_PS0_S2_S0_
		.amdhsa_group_segment_fixed_size 0
		.amdhsa_private_segment_fixed_size 0
		.amdhsa_kernarg_size 296
		.amdhsa_user_sgpr_count 6
		.amdhsa_user_sgpr_private_segment_buffer 1
		.amdhsa_user_sgpr_dispatch_ptr 0
		.amdhsa_user_sgpr_queue_ptr 0
		.amdhsa_user_sgpr_kernarg_segment_ptr 1
		.amdhsa_user_sgpr_dispatch_id 0
		.amdhsa_user_sgpr_flat_scratch_init 0
		.amdhsa_user_sgpr_private_segment_size 0
		.amdhsa_uses_dynamic_stack 0
		.amdhsa_system_sgpr_private_segment_wavefront_offset 0
		.amdhsa_system_sgpr_workgroup_id_x 1
		.amdhsa_system_sgpr_workgroup_id_y 0
		.amdhsa_system_sgpr_workgroup_id_z 0
		.amdhsa_system_sgpr_workgroup_info 0
		.amdhsa_system_vgpr_workitem_id 0
		.amdhsa_next_free_vgpr 55
		.amdhsa_next_free_sgpr 16
		.amdhsa_reserve_vcc 1
		.amdhsa_reserve_flat_scratch 0
		.amdhsa_float_round_mode_32 0
		.amdhsa_float_round_mode_16_64 0
		.amdhsa_float_denorm_mode_32 3
		.amdhsa_float_denorm_mode_16_64 3
		.amdhsa_dx10_clamp 1
		.amdhsa_ieee_mode 1
		.amdhsa_fp16_overflow 0
		.amdhsa_exception_fp_ieee_invalid_op 0
		.amdhsa_exception_fp_denorm_src 0
		.amdhsa_exception_fp_ieee_div_zero 0
		.amdhsa_exception_fp_ieee_overflow 0
		.amdhsa_exception_fp_ieee_underflow 0
		.amdhsa_exception_fp_ieee_inexact 0
		.amdhsa_exception_int_div_zero 0
	.end_amdhsa_kernel
	.section	.text._Z12ratt6_kernelIdEvPKT_S2_PS0_S2_S0_,"axG",@progbits,_Z12ratt6_kernelIdEvPKT_S2_PS0_S2_S0_,comdat
.Lfunc_end34:
	.size	_Z12ratt6_kernelIdEvPKT_S2_PS0_S2_S0_, .Lfunc_end34-_Z12ratt6_kernelIdEvPKT_S2_PS0_S2_S0_
                                        ; -- End function
	.set _Z12ratt6_kernelIdEvPKT_S2_PS0_S2_S0_.num_vgpr, 55
	.set _Z12ratt6_kernelIdEvPKT_S2_PS0_S2_S0_.num_agpr, 0
	.set _Z12ratt6_kernelIdEvPKT_S2_PS0_S2_S0_.numbered_sgpr, 16
	.set _Z12ratt6_kernelIdEvPKT_S2_PS0_S2_S0_.num_named_barrier, 0
	.set _Z12ratt6_kernelIdEvPKT_S2_PS0_S2_S0_.private_seg_size, 0
	.set _Z12ratt6_kernelIdEvPKT_S2_PS0_S2_S0_.uses_vcc, 1
	.set _Z12ratt6_kernelIdEvPKT_S2_PS0_S2_S0_.uses_flat_scratch, 0
	.set _Z12ratt6_kernelIdEvPKT_S2_PS0_S2_S0_.has_dyn_sized_stack, 0
	.set _Z12ratt6_kernelIdEvPKT_S2_PS0_S2_S0_.has_recursion, 0
	.set _Z12ratt6_kernelIdEvPKT_S2_PS0_S2_S0_.has_indirect_call, 0
	.section	.AMDGPU.csdata,"",@progbits
; Kernel info:
; codeLenInByte = 5448
; TotalNumSgprs: 20
; NumVgprs: 55
; ScratchSize: 0
; MemoryBound: 0
; FloatMode: 240
; IeeeMode: 1
; LDSByteSize: 0 bytes/workgroup (compile time only)
; SGPRBlocks: 2
; VGPRBlocks: 13
; NumSGPRsForWavesPerEU: 20
; NumVGPRsForWavesPerEU: 55
; Occupancy: 4
; WaveLimiterHint : 0
; COMPUTE_PGM_RSRC2:SCRATCH_EN: 0
; COMPUTE_PGM_RSRC2:USER_SGPR: 6
; COMPUTE_PGM_RSRC2:TRAP_HANDLER: 0
; COMPUTE_PGM_RSRC2:TGID_X_EN: 1
; COMPUTE_PGM_RSRC2:TGID_Y_EN: 0
; COMPUTE_PGM_RSRC2:TGID_Z_EN: 0
; COMPUTE_PGM_RSRC2:TIDIG_COMP_CNT: 0
	.section	.text._Z12ratt7_kernelIdEvPKT_S2_PS0_S2_S0_,"axG",@progbits,_Z12ratt7_kernelIdEvPKT_S2_PS0_S2_S0_,comdat
	.protected	_Z12ratt7_kernelIdEvPKT_S2_PS0_S2_S0_ ; -- Begin function _Z12ratt7_kernelIdEvPKT_S2_PS0_S2_S0_
	.globl	_Z12ratt7_kernelIdEvPKT_S2_PS0_S2_S0_
	.p2align	8
	.type	_Z12ratt7_kernelIdEvPKT_S2_PS0_S2_S0_,@function
_Z12ratt7_kernelIdEvPKT_S2_PS0_S2_S0_:  ; @_Z12ratt7_kernelIdEvPKT_S2_PS0_S2_S0_
; %bb.0:
	s_load_dword s0, s[4:5], 0x34
	s_load_dwordx8 s[8:15], s[4:5], 0x0
	v_mov_b32_e32 v1, 0
	s_waitcnt lgkmcnt(0)
	s_and_b32 s0, s0, 0xffff
	s_mul_i32 s6, s6, s0
	v_add_u32_e32 v0, s6, v0
	v_lshlrev_b64 v[6:7], 3, v[0:1]
	v_mov_b32_e32 v3, s9
	v_add_co_u32_e32 v2, vcc, s8, v6
	v_addc_co_u32_e32 v3, vcc, v3, v7, vcc
	global_load_dwordx2 v[18:19], v[2:3], off
	s_load_dword s6, s[4:5], 0x28
	v_mov_b32_e32 v44, s15
	s_waitcnt lgkmcnt(0)
	s_mul_i32 s6, s6, s0
	v_add_u32_e32 v0, s6, v0
	v_mad_u64_u32 v[4:5], s[0:1], s6, 24, v[0:1]
	v_lshlrev_b64 v[16:17], 3, v[0:1]
	s_mul_i32 s0, s6, 0x63
	v_add_u32_e32 v0, s6, v4
	v_lshlrev_b64 v[2:3], 3, v[0:1]
	s_mul_i32 s1, s6, 0xffffff9b
	v_add_co_u32_e32 v2, vcc, s14, v2
	v_addc_co_u32_e32 v3, vcc, v44, v3, vcc
	global_load_dwordx2 v[8:9], v[2:3], off
	v_add_u32_e32 v0, s0, v0
	v_lshlrev_b64 v[14:15], 3, v[0:1]
	v_add_u32_e32 v0, s1, v0
	v_add_co_u32_e32 v6, vcc, s14, v6
	v_lshlrev_b64 v[12:13], 3, v[0:1]
	v_addc_co_u32_e32 v7, vcc, v44, v7, vcc
	v_add_co_u32_e32 v12, vcc, s14, v12
	v_addc_co_u32_e32 v13, vcc, v44, v13, vcc
	global_load_dwordx2 v[10:11], v[6:7], off
	s_load_dwordx2 s[0:1], s[4:5], 0x20
	global_load_dwordx2 v[12:13], v[12:13], off
	s_mul_i32 s2, s6, 0x66
	s_mul_i32 s3, s6, 0xffffff8d
	v_add_u32_e32 v0, s2, v0
	s_lshl_b32 s4, s6, 1
	v_mov_b32_e32 v5, v1
	v_lshlrev_b64 v[4:5], 3, v[4:5]
	s_mul_i32 s5, s6, 0xffffff84
	s_mul_i32 s7, s6, 0xffffff85
	s_waitcnt vmcnt(3) lgkmcnt(0)
	v_mul_f64 v[18:19], s[0:1], v[18:19]
	s_brev_b32 s0, 12
	s_mov_b32 s1, 0x4193d2c6
	v_mul_f64 v[26:27], v[18:19], s[0:1]
	v_div_scale_f64 v[18:19], s[0:1], v[26:27], v[26:27], 1.0
	v_div_scale_f64 v[32:33], vcc, 1.0, v[26:27], 1.0
	s_waitcnt vmcnt(2)
	v_div_scale_f64 v[22:23], s[0:1], v[8:9], v[8:9], 1.0
	v_rcp_f64_e32 v[20:21], v[18:19]
	v_rcp_f64_e32 v[28:29], v[22:23]
	v_fma_f64 v[24:25], -v[18:19], v[20:21], 1.0
	v_fma_f64 v[34:35], -v[22:23], v[28:29], 1.0
	v_fma_f64 v[20:21], v[20:21], v[24:25], v[20:21]
	s_waitcnt vmcnt(0)
	v_mul_f64 v[24:25], v[10:11], v[12:13]
	v_fma_f64 v[34:35], v[28:29], v[34:35], v[28:29]
	v_fma_f64 v[30:31], -v[18:19], v[20:21], 1.0
	v_fma_f64 v[20:21], v[20:21], v[30:31], v[20:21]
	v_div_scale_f64 v[30:31], s[0:1], v[24:25], v[24:25], 1.0
	v_mul_f64 v[28:29], v[32:33], v[20:21]
	v_fma_f64 v[18:19], -v[18:19], v[28:29], v[32:33]
	v_rcp_f64_e32 v[32:33], v[30:31]
	v_div_fmas_f64 v[28:29], v[18:19], v[20:21], v[28:29]
	v_fma_f64 v[20:21], -v[22:23], v[34:35], 1.0
	v_div_scale_f64 v[36:37], vcc, 1.0, v[8:9], 1.0
	v_fma_f64 v[18:19], -v[30:31], v[32:33], 1.0
	v_fma_f64 v[20:21], v[34:35], v[20:21], v[34:35]
	v_div_fixup_f64 v[26:27], v[28:29], v[26:27], 1.0
	v_fma_f64 v[18:19], v[32:33], v[18:19], v[32:33]
	v_fma_f64 v[32:33], -v[30:31], v[18:19], 1.0
	v_fma_f64 v[18:19], v[18:19], v[32:33], v[18:19]
	v_mul_f64 v[32:33], v[36:37], v[20:21]
	v_fma_f64 v[34:35], -v[22:23], v[32:33], v[36:37]
	v_div_scale_f64 v[36:37], s[0:1], 1.0, v[24:25], 1.0
	v_div_fmas_f64 v[32:33], v[34:35], v[20:21], v[32:33]
	v_lshlrev_b64 v[34:35], 3, v[0:1]
	v_add_u32_e32 v0, s3, v0
	v_lshlrev_b64 v[20:21], 3, v[0:1]
	v_add_u32_e32 v0, s4, v0
	s_mov_b64 vcc, s[0:1]
	v_mul_f64 v[22:23], v[36:37], v[18:19]
	v_fma_f64 v[30:31], -v[30:31], v[22:23], v[36:37]
	v_div_fmas_f64 v[38:39], v[30:31], v[18:19], v[22:23]
	v_lshlrev_b64 v[22:23], 3, v[0:1]
	v_add_co_u32_e32 v18, vcc, s14, v20
	v_addc_co_u32_e32 v19, vcc, v44, v21, vcc
	v_add_co_u32_e32 v20, vcc, s14, v22
	v_addc_co_u32_e32 v21, vcc, v44, v23, vcc
	global_load_dwordx2 v[22:23], v[18:19], off
	global_load_dwordx2 v[30:31], v[20:21], off
	s_waitcnt vmcnt(0)
	v_mul_f64 v[30:31], v[22:23], v[30:31]
	v_div_scale_f64 v[22:23], s[0:1], v[30:31], v[30:31], 1.0
	s_mul_i32 s1, s6, 0x72
	s_mul_i32 s0, s6, 0xffffff83
	v_add_u32_e32 v0, s1, v0
	v_lshlrev_b64 v[45:46], 3, v[0:1]
	v_add_u32_e32 v0, s0, v0
	v_lshlrev_b64 v[47:48], 3, v[0:1]
	v_add_u32_e32 v0, s4, v0
	s_mul_i32 s0, s6, 0x7c
	s_mul_i32 s4, s6, 0xffffff89
	v_rcp_f64_e32 v[36:37], v[22:23]
	v_fma_f64 v[40:41], -v[22:23], v[36:37], 1.0
	v_fma_f64 v[36:37], v[36:37], v[40:41], v[36:37]
	v_fma_f64 v[40:41], -v[22:23], v[36:37], 1.0
	v_fma_f64 v[36:37], v[36:37], v[40:41], v[36:37]
	v_div_scale_f64 v[40:41], vcc, 1.0, v[30:31], 1.0
	v_mul_f64 v[42:43], v[40:41], v[36:37]
	v_fma_f64 v[22:23], -v[22:23], v[42:43], v[40:41]
	s_nop 1
	v_div_fmas_f64 v[40:41], v[22:23], v[36:37], v[42:43]
	v_lshlrev_b64 v[22:23], 3, v[0:1]
	v_add_u32_e32 v0, s0, v0
	v_add_co_u32_e32 v22, vcc, s14, v22
	v_addc_co_u32_e32 v23, vcc, v44, v23, vcc
	global_load_dwordx2 v[22:23], v[22:23], off
	s_mul_i32 s0, s6, 0x73
	s_waitcnt vmcnt(0)
	v_mul_f64 v[49:50], v[12:13], v[22:23]
	v_div_scale_f64 v[36:37], s[2:3], v[49:50], v[49:50], 1.0
	s_mov_b32 s2, 0
	s_mov_b32 s3, 0x412eec04
	v_rcp_f64_e32 v[42:43], v[36:37]
	v_fma_f64 v[51:52], -v[36:37], v[42:43], 1.0
	v_fma_f64 v[42:43], v[42:43], v[51:52], v[42:43]
	v_fma_f64 v[51:52], -v[36:37], v[42:43], 1.0
	v_fma_f64 v[42:43], v[42:43], v[51:52], v[42:43]
	v_div_scale_f64 v[51:52], vcc, 1.0, v[49:50], 1.0
	v_mul_f64 v[53:54], v[51:52], v[42:43]
	v_fma_f64 v[36:37], -v[36:37], v[53:54], v[51:52]
	s_nop 1
	v_div_fmas_f64 v[51:52], v[36:37], v[42:43], v[53:54]
	v_add_co_u32_e32 v16, vcc, s14, v16
	v_addc_co_u32_e32 v17, vcc, v44, v17, vcc
	v_add_co_u32_e32 v28, vcc, s14, v4
	v_addc_co_u32_e32 v29, vcc, v44, v5, vcc
	v_mul_f64 v[4:5], v[26:27], s[2:3]
	global_load_dwordx2 v[36:37], v[16:17], off
	global_load_dwordx2 v[26:27], v[28:29], off
	v_div_fixup_f64 v[42:43], v[32:33], v[8:9], 1.0
	v_add_co_u32_e32 v55, vcc, s10, v14
	s_mov_b32 s2, 0x4357691b
	s_mov_b32 s3, 0x479e17b8
	s_waitcnt vmcnt(0)
	v_mul_f64 v[32:33], v[36:37], v[26:27]
	v_mul_f64 v[53:54], v[32:33], v[4:5]
	;; [unrolled: 1-line block ×3, first 2 shown]
	v_mov_b32_e32 v43, s11
	v_addc_co_u32_e32 v56, vcc, v43, v15, vcc
	global_load_dwordx2 v[55:56], v[55:56], off
	v_mov_b32_e32 v42, s13
	v_add_co_u32_e32 v14, vcc, s12, v14
	v_min_f64 v[53:54], v[53:54], s[2:3]
	v_addc_co_u32_e32 v15, vcc, v42, v15, vcc
	s_waitcnt vmcnt(0)
	v_mul_f64 v[53:54], v[55:56], v[53:54]
	global_store_dwordx2 v[14:15], v[53:54], off
	v_div_fixup_f64 v[14:15], v[38:39], v[24:25], 1.0
	v_add_co_u32_e32 v24, vcc, s10, v34
	v_addc_co_u32_e32 v25, vcc, v43, v35, vcc
	global_load_dwordx2 v[24:25], v[24:25], off
	v_mul_f64 v[14:15], v[32:33], v[14:15]
	v_min_f64 v[14:15], v[14:15], s[2:3]
	s_waitcnt vmcnt(0)
	v_mul_f64 v[14:15], v[24:25], v[14:15]
	v_add_co_u32_e32 v24, vcc, s12, v34
	v_addc_co_u32_e32 v25, vcc, v42, v35, vcc
	v_div_fixup_f64 v[34:35], v[40:41], v[30:31], 1.0
	global_store_dwordx2 v[24:25], v[14:15], off
	v_add_co_u32_e32 v14, vcc, s10, v45
	v_addc_co_u32_e32 v15, vcc, v43, v46, vcc
	global_load_dwordx2 v[14:15], v[14:15], off
	v_mul_f64 v[24:25], v[32:33], v[34:35]
	v_min_f64 v[24:25], v[24:25], s[2:3]
	s_waitcnt vmcnt(0)
	v_mul_f64 v[14:15], v[14:15], v[24:25]
	v_add_co_u32_e32 v24, vcc, s12, v45
	v_addc_co_u32_e32 v25, vcc, v42, v46, vcc
	global_store_dwordx2 v[24:25], v[14:15], off
	v_add_co_u32_e32 v14, vcc, s14, v47
	v_addc_co_u32_e32 v15, vcc, v44, v48, vcc
	global_load_dwordx2 v[30:31], v[14:15], off
	v_lshlrev_b64 v[14:15], 3, v[0:1]
	v_div_fixup_f64 v[24:25], v[51:52], v[49:50], 1.0
	v_add_co_u32_e32 v38, vcc, s10, v14
	v_addc_co_u32_e32 v39, vcc, v43, v15, vcc
	global_load_dwordx2 v[38:39], v[38:39], off
	v_add_co_u32_e32 v14, vcc, s12, v14
	v_addc_co_u32_e32 v15, vcc, v42, v15, vcc
	v_add_u32_e32 v0, s4, v0
	s_waitcnt vmcnt(1)
	v_mul_f64 v[40:41], v[26:27], v[30:31]
	v_mul_f64 v[24:25], v[40:41], v[24:25]
	v_min_f64 v[24:25], v[24:25], s[2:3]
	s_waitcnt vmcnt(0)
	v_mul_f64 v[24:25], v[38:39], v[24:25]
	global_store_dwordx2 v[14:15], v[24:25], off
	v_mad_u64_u32 v[24:25], s[8:9], s6, 5, v[0:1]
	v_lshlrev_b64 v[14:15], 3, v[0:1]
	v_mov_b32_e32 v25, v1
	v_add_co_u32_e32 v14, vcc, s14, v14
	v_lshlrev_b64 v[38:39], 3, v[24:25]
	v_addc_co_u32_e32 v15, vcc, v44, v15, vcc
	v_add_co_u32_e32 v38, vcc, s14, v38
	v_addc_co_u32_e32 v39, vcc, v44, v39, vcc
	global_load_dwordx2 v[14:15], v[14:15], off
	s_nop 0
	global_load_dwordx2 v[38:39], v[38:39], off
	v_add_u32_e32 v0, s0, v24
	v_lshlrev_b64 v[24:25], 3, v[0:1]
	v_add_u32_e32 v0, s5, v0
	s_mul_i32 s5, s6, 0x7d
	s_waitcnt vmcnt(0)
	v_mul_f64 v[14:15], v[14:15], v[38:39]
	v_div_scale_f64 v[38:39], s[8:9], v[14:15], v[14:15], 1.0
	v_rcp_f64_e32 v[45:46], v[38:39]
	v_fma_f64 v[47:48], -v[38:39], v[45:46], 1.0
	v_fma_f64 v[45:46], v[45:46], v[47:48], v[45:46]
	v_fma_f64 v[47:48], -v[38:39], v[45:46], 1.0
	v_fma_f64 v[45:46], v[45:46], v[47:48], v[45:46]
	v_div_scale_f64 v[47:48], vcc, 1.0, v[14:15], 1.0
	v_mul_f64 v[49:50], v[47:48], v[45:46]
	v_fma_f64 v[38:39], -v[38:39], v[49:50], v[47:48]
	s_nop 1
	v_div_fmas_f64 v[45:46], v[38:39], v[45:46], v[49:50]
	v_lshlrev_b64 v[38:39], 3, v[0:1]
	v_add_u32_e32 v0, s5, v0
	v_add_co_u32_e32 v38, vcc, s14, v38
	v_addc_co_u32_e32 v39, vcc, v44, v39, vcc
	global_load_dwordx2 v[38:39], v[38:39], off
	s_mul_i32 s5, s6, 0xffffff92
	v_div_fixup_f64 v[14:15], v[45:46], v[14:15], 1.0
	v_mul_f64 v[14:15], v[40:41], v[14:15]
	v_min_f64 v[14:15], v[14:15], s[2:3]
	s_waitcnt vmcnt(0)
	v_mul_f64 v[12:13], v[12:13], v[38:39]
	v_div_scale_f64 v[47:48], s[8:9], v[12:13], v[12:13], 1.0
	v_rcp_f64_e32 v[49:50], v[47:48]
	v_fma_f64 v[51:52], -v[47:48], v[49:50], 1.0
	v_fma_f64 v[49:50], v[49:50], v[51:52], v[49:50]
	v_fma_f64 v[51:52], -v[47:48], v[49:50], 1.0
	v_fma_f64 v[49:50], v[49:50], v[51:52], v[49:50]
	v_div_scale_f64 v[51:52], vcc, 1.0, v[12:13], 1.0
	v_mul_f64 v[53:54], v[51:52], v[49:50]
	v_fma_f64 v[47:48], -v[47:48], v[53:54], v[51:52]
	s_nop 1
	v_div_fmas_f64 v[47:48], v[47:48], v[49:50], v[53:54]
	v_add_co_u32_e32 v40, vcc, s10, v24
	v_addc_co_u32_e32 v41, vcc, v43, v25, vcc
	global_load_dwordx2 v[40:41], v[40:41], off
	v_add_co_u32_e32 v24, vcc, s12, v24
	v_addc_co_u32_e32 v25, vcc, v42, v25, vcc
	v_div_fixup_f64 v[12:13], v[47:48], v[12:13], 1.0
	s_waitcnt vmcnt(0)
	v_mul_f64 v[14:15], v[40:41], v[14:15]
	global_store_dwordx2 v[24:25], v[14:15], off
	v_mul_f64 v[14:15], v[26:27], v[22:23]
	v_mul_f64 v[12:13], v[14:15], v[12:13]
	v_lshlrev_b64 v[14:15], 3, v[0:1]
	v_add_u32_e32 v0, s5, v0
	v_add_co_u32_e32 v24, vcc, s10, v14
	v_addc_co_u32_e32 v25, vcc, v43, v15, vcc
	global_load_dwordx2 v[24:25], v[24:25], off
	v_min_f64 v[12:13], v[12:13], s[2:3]
	v_add_co_u32_e32 v14, vcc, s12, v14
	v_addc_co_u32_e32 v15, vcc, v42, v15, vcc
	s_mul_i32 s5, s6, 0x6e
	s_waitcnt vmcnt(0)
	v_mul_f64 v[12:13], v[24:25], v[12:13]
	global_store_dwordx2 v[14:15], v[12:13], off
	v_lshlrev_b64 v[14:15], 3, v[0:1]
	v_add_u32_e32 v0, s6, v0
	v_lshlrev_b64 v[12:13], 3, v[0:1]
	v_add_u32_e32 v0, s5, v0
	v_add_co_u32_e32 v24, vcc, s14, v12
	v_addc_co_u32_e32 v25, vcc, v44, v13, vcc
	global_load_dwordx2 v[26:27], v[24:25], off
	s_mul_i32 s5, s6, 0xffffff8f
	s_waitcnt vmcnt(0)
	v_div_scale_f64 v[12:13], s[8:9], v[26:27], v[26:27], 1.0
	v_rcp_f64_e32 v[40:41], v[12:13]
	v_fma_f64 v[45:46], -v[12:13], v[40:41], 1.0
	v_fma_f64 v[40:41], v[40:41], v[45:46], v[40:41]
	v_fma_f64 v[45:46], -v[12:13], v[40:41], 1.0
	v_fma_f64 v[40:41], v[40:41], v[45:46], v[40:41]
	v_div_scale_f64 v[45:46], vcc, 1.0, v[26:27], 1.0
	v_mul_f64 v[47:48], v[45:46], v[40:41]
	v_fma_f64 v[12:13], -v[12:13], v[47:48], v[45:46]
	s_nop 1
	v_div_fmas_f64 v[45:46], v[12:13], v[40:41], v[47:48]
	v_lshlrev_b64 v[47:48], 3, v[0:1]
	v_add_u32_e32 v0, s5, v0
	v_lshlrev_b64 v[12:13], 3, v[0:1]
	v_add_u32_e32 v0, s1, v0
	v_add_co_u32_e32 v12, vcc, s14, v12
	v_addc_co_u32_e32 v13, vcc, v44, v13, vcc
	global_load_dwordx2 v[40:41], v[12:13], off
	v_div_fixup_f64 v[45:46], v[45:46], v[26:27], 1.0
	s_waitcnt vmcnt(0)
	v_mul_f64 v[49:50], v[10:11], v[40:41]
	v_div_scale_f64 v[51:52], s[8:9], v[49:50], v[49:50], 1.0
	v_rcp_f64_e32 v[53:54], v[51:52]
	v_fma_f64 v[55:56], -v[51:52], v[53:54], 1.0
	v_fma_f64 v[53:54], v[53:54], v[55:56], v[53:54]
	v_fma_f64 v[55:56], -v[51:52], v[53:54], 1.0
	v_fma_f64 v[53:54], v[53:54], v[55:56], v[53:54]
	v_div_scale_f64 v[55:56], vcc, 1.0, v[49:50], 1.0
	v_mul_f64 v[57:58], v[55:56], v[53:54]
	v_fma_f64 v[51:52], -v[51:52], v[57:58], v[55:56]
	s_nop 1
	v_div_fmas_f64 v[51:52], v[51:52], v[53:54], v[57:58]
	v_add_co_u32_e32 v14, vcc, s14, v14
	v_addc_co_u32_e32 v15, vcc, v44, v15, vcc
	global_load_dwordx2 v[26:27], v[14:15], off
	s_waitcnt vmcnt(0)
	v_mul_f64 v[36:37], v[36:37], v[26:27]
	v_mul_f64 v[53:54], v[4:5], v[36:37]
	;; [unrolled: 1-line block ×3, first 2 shown]
	v_add_co_u32_e32 v53, vcc, s10, v47
	v_addc_co_u32_e32 v54, vcc, v43, v48, vcc
	global_load_dwordx2 v[53:54], v[53:54], off
	v_add_co_u32_e32 v47, vcc, s12, v47
	v_min_f64 v[45:46], v[45:46], s[2:3]
	v_addc_co_u32_e32 v48, vcc, v42, v48, vcc
	s_waitcnt vmcnt(0)
	v_mul_f64 v[45:46], v[53:54], v[45:46]
	global_store_dwordx2 v[47:48], v[45:46], off
	v_lshlrev_b64 v[47:48], 3, v[0:1]
	v_div_fixup_f64 v[45:46], v[51:52], v[49:50], 1.0
	v_add_co_u32_e32 v49, vcc, s10, v47
	v_addc_co_u32_e32 v50, vcc, v43, v48, vcc
	global_load_dwordx2 v[49:50], v[49:50], off
	v_add_co_u32_e32 v47, vcc, s12, v47
	v_mul_f64 v[45:46], v[36:37], v[45:46]
	v_addc_co_u32_e32 v48, vcc, v42, v48, vcc
	v_add_u32_e32 v0, s5, v0
	s_mul_i32 s5, s6, 0x83
	v_min_f64 v[45:46], v[45:46], s[2:3]
	s_waitcnt vmcnt(0)
	v_mul_f64 v[45:46], v[49:50], v[45:46]
	global_store_dwordx2 v[47:48], v[45:46], off
	v_lshlrev_b64 v[45:46], 3, v[0:1]
	v_add_u32_e32 v0, s1, v0
	v_add_co_u32_e32 v45, vcc, s14, v45
	v_addc_co_u32_e32 v46, vcc, v44, v46, vcc
	global_load_dwordx2 v[45:46], v[45:46], off
	s_mul_i32 s1, s6, 0xffffff7b
	s_waitcnt vmcnt(0)
	v_mul_f64 v[10:11], v[10:11], v[45:46]
	v_div_scale_f64 v[45:46], s[8:9], v[10:11], v[10:11], 1.0
	v_rcp_f64_e32 v[47:48], v[45:46]
	v_fma_f64 v[49:50], -v[45:46], v[47:48], 1.0
	v_fma_f64 v[47:48], v[47:48], v[49:50], v[47:48]
	v_fma_f64 v[49:50], -v[45:46], v[47:48], 1.0
	v_fma_f64 v[47:48], v[47:48], v[49:50], v[47:48]
	v_div_scale_f64 v[49:50], vcc, 1.0, v[10:11], 1.0
	v_mul_f64 v[51:52], v[49:50], v[47:48]
	v_fma_f64 v[45:46], -v[45:46], v[51:52], v[49:50]
	s_nop 1
	v_div_fmas_f64 v[45:46], v[45:46], v[47:48], v[51:52]
	v_div_scale_f64 v[47:48], s[8:9], v[32:33], v[32:33], 1.0
	v_div_fixup_f64 v[10:11], v[45:46], v[10:11], 1.0
	v_rcp_f64_e32 v[49:50], v[47:48]
	v_mul_f64 v[10:11], v[36:37], v[10:11]
	v_lshlrev_b64 v[36:37], 3, v[0:1]
	v_add_u32_e32 v0, s6, v0
	v_min_f64 v[10:11], v[10:11], s[2:3]
	v_fma_f64 v[51:52], -v[47:48], v[49:50], 1.0
	v_fma_f64 v[49:50], v[49:50], v[51:52], v[49:50]
	v_fma_f64 v[51:52], -v[47:48], v[49:50], 1.0
	v_fma_f64 v[49:50], v[49:50], v[51:52], v[49:50]
	v_div_scale_f64 v[51:52], vcc, 1.0, v[32:33], 1.0
	v_mul_f64 v[53:54], v[51:52], v[49:50]
	v_fma_f64 v[47:48], -v[47:48], v[53:54], v[51:52]
	s_nop 1
	v_div_fmas_f64 v[47:48], v[47:48], v[49:50], v[53:54]
	v_add_co_u32_e32 v45, vcc, s10, v36
	v_addc_co_u32_e32 v46, vcc, v43, v37, vcc
	global_load_dwordx2 v[45:46], v[45:46], off
	v_add_co_u32_e32 v36, vcc, s12, v36
	v_addc_co_u32_e32 v37, vcc, v42, v37, vcc
	s_waitcnt vmcnt(0)
	v_mul_f64 v[10:11], v[45:46], v[10:11]
	v_mul_f64 v[45:46], v[30:31], v[26:27]
	;; [unrolled: 1-line block ×4, first 2 shown]
	global_store_dwordx2 v[36:37], v[10:11], off
	v_div_fixup_f64 v[10:11], v[47:48], v[32:33], 1.0
	v_lshlrev_b64 v[32:33], 3, v[0:1]
	v_add_u32_e32 v0, s6, v0
	v_add_co_u32_e32 v36, vcc, s10, v32
	v_addc_co_u32_e32 v37, vcc, v43, v33, vcc
	global_load_dwordx2 v[36:37], v[36:37], off
	v_mul_f64 v[10:11], v[10:11], v[45:46]
	v_add_co_u32_e32 v32, vcc, s12, v32
	v_addc_co_u32_e32 v33, vcc, v42, v33, vcc
	v_mul_f64 v[34:35], v[34:35], v[45:46]
	v_min_f64 v[10:11], v[10:11], s[2:3]
	v_min_f64 v[34:35], v[34:35], s[2:3]
	s_waitcnt vmcnt(0)
	v_mul_f64 v[10:11], v[10:11], v[36:37]
	global_store_dwordx2 v[32:33], v[10:11], off
	v_mul_f64 v[10:11], v[38:39], v[40:41]
	v_div_scale_f64 v[32:33], s[8:9], v[10:11], v[10:11], 1.0
	v_rcp_f64_e32 v[36:37], v[32:33]
	v_fma_f64 v[38:39], -v[32:33], v[36:37], 1.0
	v_fma_f64 v[36:37], v[36:37], v[38:39], v[36:37]
	v_fma_f64 v[38:39], -v[32:33], v[36:37], 1.0
	v_fma_f64 v[36:37], v[36:37], v[38:39], v[36:37]
	v_div_scale_f64 v[38:39], vcc, 1.0, v[10:11], 1.0
	v_mul_f64 v[47:48], v[38:39], v[36:37]
	v_fma_f64 v[32:33], -v[32:33], v[47:48], v[38:39]
	s_nop 1
	v_div_fmas_f64 v[32:33], v[32:33], v[36:37], v[47:48]
	v_lshlrev_b64 v[36:37], 3, v[0:1]
	v_add_u32_e32 v0, s6, v0
	v_add_co_u32_e32 v38, vcc, s10, v36
	v_addc_co_u32_e32 v39, vcc, v43, v37, vcc
	global_load_dwordx2 v[38:39], v[38:39], off
	v_add_co_u32_e32 v36, vcc, s12, v36
	v_addc_co_u32_e32 v37, vcc, v42, v37, vcc
	v_div_fixup_f64 v[10:11], v[32:33], v[10:11], 1.0
	v_mul_f64 v[32:33], v[22:23], v[26:27]
	v_div_scale_f64 v[22:23], s[8:9], v[8:9], v[8:9], 1.0
	v_mul_f64 v[10:11], v[32:33], v[10:11]
	v_lshlrev_b64 v[32:33], 3, v[0:1]
	v_add_u32_e32 v0, s1, v0
	v_min_f64 v[10:11], v[10:11], s[2:3]
	s_waitcnt vmcnt(0)
	v_mul_f64 v[34:35], v[34:35], v[38:39]
	global_store_dwordx2 v[36:37], v[34:35], off
	v_add_co_u32_e32 v34, vcc, s10, v32
	v_addc_co_u32_e32 v35, vcc, v43, v33, vcc
	global_load_dwordx2 v[34:35], v[34:35], off
	v_add_co_u32_e32 v32, vcc, s12, v32
	v_addc_co_u32_e32 v33, vcc, v42, v33, vcc
	s_waitcnt vmcnt(0)
	v_mul_f64 v[10:11], v[10:11], v[34:35]
	global_store_dwordx2 v[32:33], v[10:11], off
	v_mad_u64_u32 v[10:11], s[8:9], s6, 3, v[0:1]
	v_mov_b32_e32 v11, v1
	v_lshlrev_b64 v[32:33], 3, v[10:11]
	v_add_co_u32_e32 v32, vcc, s14, v32
	v_addc_co_u32_e32 v33, vcc, v44, v33, vcc
	global_load_dwordx2 v[32:33], v[32:33], off
	s_waitcnt vmcnt(0)
	v_mul_f64 v[34:35], v[40:41], v[32:33]
	v_div_scale_f64 v[36:37], s[8:9], v[34:35], v[34:35], 1.0
	v_rcp_f64_e32 v[38:39], v[36:37]
	v_fma_f64 v[40:41], -v[36:37], v[38:39], 1.0
	v_fma_f64 v[38:39], v[38:39], v[40:41], v[38:39]
	v_fma_f64 v[40:41], -v[36:37], v[38:39], 1.0
	v_fma_f64 v[38:39], v[38:39], v[40:41], v[38:39]
	v_div_scale_f64 v[40:41], vcc, 1.0, v[34:35], 1.0
	v_mul_f64 v[45:46], v[40:41], v[38:39]
	v_fma_f64 v[36:37], -v[36:37], v[45:46], v[40:41]
	s_nop 1
	v_div_fmas_f64 v[36:37], v[36:37], v[38:39], v[45:46]
	v_div_scale_f64 v[38:39], s[8:9], v[30:31], v[30:31], 1.0
	v_div_fixup_f64 v[34:35], v[36:37], v[34:35], 1.0
	v_rcp_f64_e32 v[40:41], v[38:39]
	v_fma_f64 v[45:46], -v[38:39], v[40:41], 1.0
	v_fma_f64 v[40:41], v[40:41], v[45:46], v[40:41]
	v_fma_f64 v[45:46], -v[38:39], v[40:41], 1.0
	v_fma_f64 v[40:41], v[40:41], v[45:46], v[40:41]
	v_div_scale_f64 v[45:46], vcc, 1.0, v[30:31], 1.0
	v_mul_f64 v[47:48], v[45:46], v[40:41]
	v_fma_f64 v[38:39], -v[38:39], v[47:48], v[45:46]
	s_nop 1
	v_div_fmas_f64 v[38:39], v[38:39], v[40:41], v[47:48]
	v_lshlrev_b64 v[40:41], 3, v[0:1]
	v_add_u32_e32 v0, s5, v10
	v_add_co_u32_e32 v40, vcc, s14, v40
	v_addc_co_u32_e32 v41, vcc, v44, v41, vcc
	global_load_dwordx2 v[10:11], v[40:41], off
	v_lshlrev_b64 v[36:37], 3, v[0:1]
	v_add_u32_e32 v0, s6, v0
	v_add_co_u32_e32 v40, vcc, s10, v36
	v_addc_co_u32_e32 v41, vcc, v43, v37, vcc
	global_load_dwordx2 v[40:41], v[40:41], off
	v_add_co_u32_e32 v36, vcc, s12, v36
	v_addc_co_u32_e32 v37, vcc, v42, v37, vcc
	v_div_fixup_f64 v[30:31], v[38:39], v[30:31], 1.0
	s_waitcnt vmcnt(1)
	v_mul_f64 v[10:11], v[26:27], v[10:11]
	v_mul_f64 v[34:35], v[10:11], v[34:35]
	;; [unrolled: 1-line block ×3, first 2 shown]
	v_min_f64 v[34:35], v[34:35], s[2:3]
	v_min_f64 v[30:31], v[30:31], s[2:3]
	s_waitcnt vmcnt(0)
	v_mul_f64 v[34:35], v[40:41], v[34:35]
	global_store_dwordx2 v[36:37], v[34:35], off
	v_lshlrev_b64 v[34:35], 3, v[0:1]
	v_add_u32_e32 v0, s7, v0
	v_add_co_u32_e32 v36, vcc, s10, v34
	v_addc_co_u32_e32 v37, vcc, v43, v35, vcc
	global_load_dwordx2 v[36:37], v[36:37], off
	v_add_co_u32_e32 v34, vcc, s12, v34
	v_addc_co_u32_e32 v35, vcc, v42, v35, vcc
	s_mul_i32 s7, s6, 0x7b
	s_waitcnt vmcnt(0)
	v_mul_f64 v[30:31], v[30:31], v[36:37]
	global_store_dwordx2 v[34:35], v[30:31], off
	v_lshlrev_b64 v[30:31], 3, v[0:1]
	v_add_u32_e32 v0, s6, v0
	v_add_co_u32_e32 v30, vcc, s14, v30
	v_lshlrev_b64 v[34:35], 3, v[0:1]
	v_addc_co_u32_e32 v31, vcc, v44, v31, vcc
	v_add_co_u32_e32 v34, vcc, s14, v34
	v_addc_co_u32_e32 v35, vcc, v44, v35, vcc
	global_load_dwordx2 v[34:35], v[34:35], off
	s_nop 0
	global_load_dwordx2 v[36:37], v[30:31], off
	v_add_u32_e32 v0, s7, v0
	global_load_dwordx2 v[12:13], v[12:13], off
	s_waitcnt vmcnt(1)
	v_mul_f64 v[34:35], v[36:37], v[34:35]
	v_div_scale_f64 v[38:39], s[8:9], v[34:35], v[34:35], 1.0
	v_rcp_f64_e32 v[40:41], v[38:39]
	v_fma_f64 v[45:46], -v[38:39], v[40:41], 1.0
	v_fma_f64 v[40:41], v[40:41], v[45:46], v[40:41]
	v_fma_f64 v[45:46], -v[38:39], v[40:41], 1.0
	v_fma_f64 v[40:41], v[40:41], v[45:46], v[40:41]
	v_div_scale_f64 v[45:46], vcc, 1.0, v[34:35], 1.0
	v_mul_f64 v[47:48], v[45:46], v[40:41]
	v_fma_f64 v[38:39], -v[38:39], v[47:48], v[45:46]
	s_nop 1
	v_div_fmas_f64 v[38:39], v[38:39], v[40:41], v[47:48]
	v_rcp_f64_e32 v[40:41], v[22:23]
	v_div_fixup_f64 v[34:35], v[38:39], v[34:35], 1.0
	v_fma_f64 v[45:46], -v[22:23], v[40:41], 1.0
	v_mul_f64 v[10:11], v[10:11], v[34:35]
	v_fma_f64 v[40:41], v[40:41], v[45:46], v[40:41]
	v_lshlrev_b64 v[34:35], 3, v[0:1]
	v_add_u32_e32 v0, s6, v0
	v_min_f64 v[10:11], v[10:11], s[2:3]
	v_fma_f64 v[45:46], -v[22:23], v[40:41], 1.0
	v_fma_f64 v[40:41], v[40:41], v[45:46], v[40:41]
	v_div_scale_f64 v[45:46], vcc, 1.0, v[8:9], 1.0
	v_mul_f64 v[47:48], v[45:46], v[40:41]
	v_fma_f64 v[22:23], -v[22:23], v[47:48], v[45:46]
	s_nop 1
	v_div_fmas_f64 v[22:23], v[22:23], v[40:41], v[47:48]
	v_add_co_u32_e32 v38, vcc, s10, v34
	v_addc_co_u32_e32 v39, vcc, v43, v35, vcc
	global_load_dwordx2 v[38:39], v[38:39], off
	v_add_co_u32_e32 v34, vcc, s12, v34
	v_addc_co_u32_e32 v35, vcc, v42, v35, vcc
	v_div_fixup_f64 v[8:9], v[22:23], v[8:9], 1.0
	s_waitcnt vmcnt(0)
	v_mul_f64 v[10:11], v[38:39], v[10:11]
	global_store_dwordx2 v[34:35], v[10:11], off
	v_mul_f64 v[10:11], v[26:27], v[32:33]
	v_mul_f64 v[8:9], v[8:9], v[10:11]
	v_lshlrev_b64 v[10:11], 3, v[0:1]
	v_add_u32_e32 v0, s1, v0
	v_add_co_u32_e32 v22, vcc, s10, v10
	v_addc_co_u32_e32 v23, vcc, v43, v11, vcc
	global_load_dwordx2 v[22:23], v[22:23], off
	v_min_f64 v[8:9], v[8:9], s[2:3]
	v_add_co_u32_e32 v10, vcc, s12, v10
	v_addc_co_u32_e32 v11, vcc, v42, v11, vcc
	s_mul_i32 s1, s6, 0x86
	s_waitcnt vmcnt(0)
	v_mul_f64 v[8:9], v[8:9], v[22:23]
	global_load_dwordx2 v[22:23], v[24:25], off
	s_waitcnt vmcnt(0)
	v_mul_f64 v[24:25], v[32:33], v[22:23]
	global_store_dwordx2 v[10:11], v[8:9], off
	v_div_scale_f64 v[8:9], s[8:9], v[24:25], v[24:25], 1.0
	v_rcp_f64_e32 v[10:11], v[8:9]
	v_fma_f64 v[32:33], -v[8:9], v[10:11], 1.0
	v_fma_f64 v[10:11], v[10:11], v[32:33], v[10:11]
	v_fma_f64 v[32:33], -v[8:9], v[10:11], 1.0
	v_fma_f64 v[10:11], v[10:11], v[32:33], v[10:11]
	v_div_scale_f64 v[32:33], vcc, 1.0, v[24:25], 1.0
	v_mul_f64 v[34:35], v[32:33], v[10:11]
	v_fma_f64 v[8:9], -v[8:9], v[34:35], v[32:33]
	s_nop 1
	v_div_fmas_f64 v[8:9], v[8:9], v[10:11], v[34:35]
	global_load_dwordx2 v[10:11], v[20:21], off
	v_div_fixup_f64 v[8:9], v[8:9], v[24:25], 1.0
	s_waitcnt vmcnt(0)
	v_mul_f64 v[20:21], v[10:11], v[22:23]
	v_div_scale_f64 v[22:23], s[8:9], v[20:21], v[20:21], 1.0
	v_rcp_f64_e32 v[32:33], v[22:23]
	v_fma_f64 v[34:35], -v[22:23], v[32:33], 1.0
	v_fma_f64 v[32:33], v[32:33], v[34:35], v[32:33]
	v_fma_f64 v[34:35], -v[22:23], v[32:33], 1.0
	v_fma_f64 v[32:33], v[32:33], v[34:35], v[32:33]
	v_div_scale_f64 v[34:35], vcc, 1.0, v[20:21], 1.0
	v_mul_f64 v[38:39], v[34:35], v[32:33]
	v_fma_f64 v[22:23], -v[22:23], v[38:39], v[34:35]
	s_nop 1
	v_div_fmas_f64 v[22:23], v[22:23], v[32:33], v[38:39]
	v_lshlrev_b64 v[32:33], 3, v[0:1]
	v_add_u32_e32 v0, s1, v0
	v_add_co_u32_e32 v32, vcc, s14, v32
	v_addc_co_u32_e32 v33, vcc, v44, v33, vcc
	global_load_dwordx2 v[32:33], v[32:33], off
	v_lshlrev_b64 v[24:25], 3, v[0:1]
	v_add_u32_e32 v0, s6, v0
	s_mul_i32 s1, s6, 0xffffff7e
	v_div_fixup_f64 v[20:21], v[22:23], v[20:21], 1.0
	s_waitcnt vmcnt(0)
	v_mul_f64 v[26:27], v[26:27], v[32:33]
	v_mul_f64 v[8:9], v[26:27], v[8:9]
	v_add_co_u32_e32 v26, vcc, s10, v24
	v_addc_co_u32_e32 v27, vcc, v43, v25, vcc
	global_load_dwordx2 v[26:27], v[26:27], off
	v_add_co_u32_e32 v24, vcc, s12, v24
	v_min_f64 v[8:9], v[8:9], s[2:3]
	v_addc_co_u32_e32 v25, vcc, v42, v25, vcc
	s_waitcnt vmcnt(0)
	v_mul_f64 v[8:9], v[26:27], v[8:9]
	v_lshlrev_b64 v[26:27], 3, v[0:1]
	v_add_u32_e32 v0, s1, v0
	s_mul_i32 s1, s6, 0xffffff8e
	global_store_dwordx2 v[24:25], v[8:9], off
	v_lshlrev_b64 v[8:9], 3, v[0:1]
	v_add_u32_e32 v0, s5, v0
	v_add_co_u32_e32 v8, vcc, s14, v8
	v_addc_co_u32_e32 v9, vcc, v44, v9, vcc
	global_load_dwordx2 v[8:9], v[8:9], off
	s_nop 0
	global_load_dwordx2 v[14:15], v[14:15], off
	v_add_co_u32_e32 v24, vcc, s10, v26
	v_addc_co_u32_e32 v25, vcc, v43, v27, vcc
	global_load_dwordx2 v[24:25], v[24:25], off
	s_waitcnt vmcnt(2)
	v_mul_f64 v[8:9], v[8:9], v[12:13]
	s_waitcnt vmcnt(1)
	v_mul_f64 v[22:23], v[36:37], v[14:15]
	v_div_scale_f64 v[12:13], s[8:9], v[8:9], v[8:9], 1.0
	v_mul_f64 v[20:21], v[22:23], v[20:21]
	v_min_f64 v[20:21], v[20:21], s[2:3]
	v_rcp_f64_e32 v[32:33], v[12:13]
	s_waitcnt vmcnt(0)
	v_mul_f64 v[20:21], v[24:25], v[20:21]
	v_add_co_u32_e32 v24, vcc, s12, v26
	v_addc_co_u32_e32 v25, vcc, v42, v27, vcc
	v_lshlrev_b64 v[26:27], 3, v[0:1]
	v_add_u32_e32 v0, s1, v0
	global_store_dwordx2 v[24:25], v[20:21], off
	v_fma_f64 v[22:23], -v[12:13], v[32:33], 1.0
	v_fma_f64 v[22:23], v[32:33], v[22:23], v[32:33]
	v_lshlrev_b64 v[32:33], 3, v[0:1]
	v_add_u32_e32 v0, s0, v0
	v_add_co_u32_e32 v32, vcc, s14, v32
	v_addc_co_u32_e32 v33, vcc, v44, v33, vcc
	global_load_dwordx2 v[32:33], v[32:33], off
	v_fma_f64 v[20:21], -v[12:13], v[22:23], 1.0
	v_div_scale_f64 v[24:25], vcc, 1.0, v[8:9], 1.0
	s_mul_i32 s0, s6, 0xffffff8c
	v_fma_f64 v[20:21], v[22:23], v[20:21], v[22:23]
	v_mul_f64 v[22:23], v[24:25], v[20:21]
	v_fma_f64 v[12:13], -v[12:13], v[22:23], v[24:25]
	v_div_fmas_f64 v[12:13], v[12:13], v[20:21], v[22:23]
	v_div_fixup_f64 v[8:9], v[12:13], v[8:9], 1.0
	s_waitcnt vmcnt(0)
	v_div_scale_f64 v[24:25], s[8:9], v[32:33], v[32:33], 1.0
	v_rcp_f64_e32 v[20:21], v[24:25]
	v_fma_f64 v[22:23], -v[24:25], v[20:21], 1.0
	v_fma_f64 v[20:21], v[20:21], v[22:23], v[20:21]
	v_fma_f64 v[22:23], -v[24:25], v[20:21], 1.0
	v_fma_f64 v[20:21], v[20:21], v[22:23], v[20:21]
	v_div_scale_f64 v[22:23], vcc, 1.0, v[32:33], 1.0
	v_mul_f64 v[34:35], v[22:23], v[20:21]
	v_fma_f64 v[22:23], -v[24:25], v[34:35], v[22:23]
	global_load_dwordx2 v[24:25], v[18:19], off
	s_nop 0
	v_div_fmas_f64 v[18:19], v[22:23], v[20:21], v[34:35]
	v_lshlrev_b64 v[20:21], 3, v[0:1]
	v_add_u32_e32 v0, s0, v0
	v_lshlrev_b64 v[12:13], 3, v[0:1]
	v_add_co_u32_e32 v22, vcc, s14, v12
	v_addc_co_u32_e32 v23, vcc, v44, v13, vcc
	v_add_co_u32_e32 v12, vcc, s10, v26
	v_addc_co_u32_e32 v13, vcc, v43, v27, vcc
	global_load_dwordx2 v[34:35], v[12:13], off
	s_nop 0
	global_load_dwordx2 v[12:13], v[16:17], off
	s_nop 0
	global_load_dwordx2 v[16:17], v[22:23], off
	v_add_co_u32_e32 v22, vcc, s12, v26
	v_addc_co_u32_e32 v23, vcc, v42, v27, vcc
	v_add_co_u32_e32 v26, vcc, s10, v20
	v_addc_co_u32_e32 v27, vcc, v43, v21, vcc
	global_load_dwordx2 v[26:27], v[26:27], off
	v_div_fixup_f64 v[18:19], v[18:19], v[32:33], 1.0
	v_add_co_u32_e32 v20, vcc, s12, v20
	v_addc_co_u32_e32 v21, vcc, v42, v21, vcc
	s_waitcnt vmcnt(4)
	v_mul_f64 v[14:15], v[24:25], v[14:15]
	v_mul_f64 v[10:11], v[24:25], v[10:11]
	;; [unrolled: 1-line block ×4, first 2 shown]
	v_min_f64 v[8:9], v[8:9], s[2:3]
	v_mul_f64 v[18:19], v[32:33], v[18:19]
	s_waitcnt vmcnt(3)
	v_mul_f64 v[8:9], v[34:35], v[8:9]
	s_waitcnt vmcnt(1)
	v_mul_f64 v[34:35], v[12:13], v[16:17]
	v_mul_f64 v[16:17], v[4:5], v[10:11]
	v_min_f64 v[10:11], v[18:19], s[2:3]
	global_store_dwordx2 v[22:23], v[8:9], off
	v_div_scale_f64 v[32:33], s[0:1], v[34:35], v[34:35], 1.0
	v_div_scale_f64 v[18:19], s[0:1], v[16:17], v[16:17], 1.0
	s_waitcnt vmcnt(1)
	v_mul_f64 v[10:11], v[26:27], v[10:11]
	global_store_dwordx2 v[20:21], v[10:11], off
	v_div_scale_f64 v[20:21], vcc, 1.0, v[34:35], 1.0
	v_rcp_f64_e32 v[8:9], v[32:33]
	v_fma_f64 v[22:23], -v[32:33], v[8:9], 1.0
	v_fma_f64 v[8:9], v[8:9], v[22:23], v[8:9]
	v_rcp_f64_e32 v[22:23], v[18:19]
	v_fma_f64 v[10:11], -v[32:33], v[8:9], 1.0
	v_fma_f64 v[8:9], v[8:9], v[10:11], v[8:9]
	v_fma_f64 v[10:11], -v[18:19], v[22:23], 1.0
	v_fma_f64 v[10:11], v[22:23], v[10:11], v[22:23]
	v_mul_f64 v[22:23], v[20:21], v[8:9]
	v_fma_f64 v[26:27], -v[18:19], v[10:11], 1.0
	v_fma_f64 v[20:21], -v[32:33], v[22:23], v[20:21]
	v_fma_f64 v[10:11], v[10:11], v[26:27], v[10:11]
	v_div_scale_f64 v[26:27], s[0:1], 1.0, v[16:17], 1.0
	v_div_fmas_f64 v[36:37], v[20:21], v[8:9], v[22:23]
	s_mov_b64 vcc, s[0:1]
	s_mul_i32 s0, s6, 0x75
	v_add_u32_e32 v0, s0, v0
	v_mul_f64 v[32:33], v[26:27], v[10:11]
	v_fma_f64 v[18:19], -v[18:19], v[32:33], v[26:27]
	v_div_fmas_f64 v[18:19], v[18:19], v[10:11], v[32:33]
	v_lshlrev_b64 v[10:11], 3, v[0:1]
	v_add_u32_e32 v0, s6, v0
	v_lshlrev_b64 v[8:9], 3, v[0:1]
	v_add_u32_e32 v0, s4, v0
	v_lshlrev_b64 v[20:21], 3, v[0:1]
	v_add_co_u32_e32 v20, vcc, s14, v20
	v_addc_co_u32_e32 v21, vcc, v44, v21, vcc
	global_load_dwordx2 v[20:21], v[20:21], off
	v_div_fixup_f64 v[16:17], v[18:19], v[16:17], 1.0
	s_waitcnt vmcnt(0)
	v_div_scale_f64 v[22:23], s[0:1], v[20:21], v[20:21], 1.0
	v_rcp_f64_e32 v[26:27], v[22:23]
	v_fma_f64 v[32:33], -v[22:23], v[26:27], 1.0
	v_fma_f64 v[26:27], v[26:27], v[32:33], v[26:27]
	v_fma_f64 v[32:33], -v[22:23], v[26:27], 1.0
	v_fma_f64 v[26:27], v[26:27], v[32:33], v[26:27]
	v_div_scale_f64 v[32:33], vcc, 1.0, v[20:21], 1.0
	v_mul_f64 v[38:39], v[32:33], v[26:27]
	v_fma_f64 v[22:23], -v[22:23], v[38:39], v[32:33]
	s_nop 1
	v_div_fmas_f64 v[22:23], v[22:23], v[26:27], v[38:39]
	global_load_dwordx2 v[26:27], v[30:31], off
	s_nop 0
	global_load_dwordx2 v[6:7], v[6:7], off
	s_nop 0
	global_load_dwordx2 v[28:29], v[28:29], off
	s_waitcnt vmcnt(2)
	v_mul_f64 v[24:25], v[24:25], v[26:27]
	s_waitcnt vmcnt(0)
	v_mul_f64 v[6:7], v[6:7], v[28:29]
	global_load_dwordx2 v[2:3], v[2:3], off
	v_div_fixup_f64 v[28:29], v[36:37], v[34:35], 1.0
	v_div_scale_f64 v[26:27], s[0:1], v[24:25], v[24:25], 1.0
	v_mul_f64 v[14:15], v[14:15], v[28:29]
	v_min_f64 v[14:15], v[14:15], s[2:3]
	v_rcp_f64_e32 v[30:31], v[26:27]
	v_fma_f64 v[32:33], -v[26:27], v[30:31], 1.0
	v_fma_f64 v[30:31], v[30:31], v[32:33], v[30:31]
	v_fma_f64 v[32:33], -v[26:27], v[30:31], 1.0
	v_fma_f64 v[30:31], v[30:31], v[32:33], v[30:31]
	v_div_scale_f64 v[32:33], vcc, 1.0, v[24:25], 1.0
	v_mul_f64 v[38:39], v[32:33], v[30:31]
	s_waitcnt vmcnt(0)
	v_mul_f64 v[16:17], v[2:3], v[16:17]
	v_mul_f64 v[2:3], v[12:13], v[2:3]
	v_div_fixup_f64 v[12:13], v[22:23], v[20:21], 1.0
	v_fma_f64 v[26:27], -v[26:27], v[38:39], v[32:33]
	v_div_scale_f64 v[32:33], s[0:1], v[6:7], v[6:7], 1.0
	v_add_co_u32_e64 v18, s[0:1], s10, v10
	v_addc_co_u32_e64 v19, s[0:1], v43, v11, s[0:1]
	s_mul_i32 s0, s6, 0x78
	v_div_fmas_f64 v[26:27], v[26:27], v[30:31], v[38:39]
	v_add_u32_e32 v0, s0, v0
	v_lshlrev_b64 v[22:23], 3, v[0:1]
	v_add_u32_e32 v0, s6, v0
	v_mul_f64 v[4:5], v[4:5], v[2:3]
	v_min_f64 v[16:17], v[16:17], s[2:3]
	v_rcp_f64_e32 v[30:31], v[32:33]
	v_mul_f64 v[4:5], v[4:5], v[12:13]
	v_div_fixup_f64 v[20:21], v[26:27], v[24:25], 1.0
	v_lshlrev_b64 v[26:27], 3, v[0:1]
	v_add_u32_e32 v0, s6, v0
	v_lshlrev_b64 v[0:1], 3, v[0:1]
	v_min_f64 v[4:5], v[4:5], s[2:3]
	v_mul_f64 v[12:13], v[2:3], v[20:21]
	v_fma_f64 v[34:35], -v[32:33], v[30:31], 1.0
	v_fma_f64 v[30:31], v[30:31], v[34:35], v[30:31]
	v_div_scale_f64 v[34:35], vcc, 1.0, v[6:7], 1.0
	v_fma_f64 v[28:29], -v[32:33], v[30:31], 1.0
	v_fma_f64 v[28:29], v[30:31], v[28:29], v[30:31]
	v_mul_f64 v[30:31], v[34:35], v[28:29]
	v_fma_f64 v[32:33], -v[32:33], v[30:31], v[34:35]
	v_div_fmas_f64 v[28:29], v[32:33], v[28:29], v[30:31]
	v_add_co_u32_e32 v30, vcc, s10, v8
	v_addc_co_u32_e32 v31, vcc, v43, v9, vcc
	v_add_co_u32_e32 v24, vcc, s10, v22
	v_addc_co_u32_e32 v25, vcc, v43, v23, vcc
	;; [unrolled: 2-line block ×4, first 2 shown]
	global_load_dwordx2 v[18:19], v[18:19], off
	s_nop 0
	global_load_dwordx2 v[30:31], v[30:31], off
	s_nop 0
	global_load_dwordx2 v[24:25], v[24:25], off
	s_nop 0
	global_load_dwordx2 v[32:33], v[32:33], off
	s_nop 0
	global_load_dwordx2 v[34:35], v[34:35], off
	v_div_fixup_f64 v[6:7], v[28:29], v[6:7], 1.0
	v_add_co_u32_e32 v10, vcc, s12, v10
	v_addc_co_u32_e32 v11, vcc, v42, v11, vcc
	v_add_co_u32_e32 v8, vcc, s12, v8
	v_addc_co_u32_e32 v9, vcc, v42, v9, vcc
	v_mul_f64 v[2:3], v[2:3], v[6:7]
	v_min_f64 v[2:3], v[2:3], s[2:3]
	s_waitcnt vmcnt(4)
	v_mul_f64 v[14:15], v[18:19], v[14:15]
	s_waitcnt vmcnt(3)
	v_mul_f64 v[6:7], v[30:31], v[16:17]
	;; [unrolled: 2-line block ×4, first 2 shown]
	global_store_dwordx2 v[10:11], v[14:15], off
	v_min_f64 v[10:11], v[12:13], s[2:3]
	global_store_dwordx2 v[8:9], v[6:7], off
	v_add_co_u32_e32 v8, vcc, s12, v22
	v_addc_co_u32_e32 v9, vcc, v42, v23, vcc
	global_store_dwordx2 v[8:9], v[4:5], off
	v_add_co_u32_e32 v4, vcc, s12, v26
	v_mul_f64 v[6:7], v[32:33], v[10:11]
	v_addc_co_u32_e32 v5, vcc, v42, v27, vcc
	v_add_co_u32_e32 v0, vcc, s12, v0
	v_addc_co_u32_e32 v1, vcc, v42, v1, vcc
	global_store_dwordx2 v[4:5], v[6:7], off
	global_store_dwordx2 v[0:1], v[2:3], off
	s_endpgm
	.section	.rodata,"a",@progbits
	.p2align	6, 0x0
	.amdhsa_kernel _Z12ratt7_kernelIdEvPKT_S2_PS0_S2_S0_
		.amdhsa_group_segment_fixed_size 0
		.amdhsa_private_segment_fixed_size 0
		.amdhsa_kernarg_size 296
		.amdhsa_user_sgpr_count 6
		.amdhsa_user_sgpr_private_segment_buffer 1
		.amdhsa_user_sgpr_dispatch_ptr 0
		.amdhsa_user_sgpr_queue_ptr 0
		.amdhsa_user_sgpr_kernarg_segment_ptr 1
		.amdhsa_user_sgpr_dispatch_id 0
		.amdhsa_user_sgpr_flat_scratch_init 0
		.amdhsa_user_sgpr_private_segment_size 0
		.amdhsa_uses_dynamic_stack 0
		.amdhsa_system_sgpr_private_segment_wavefront_offset 0
		.amdhsa_system_sgpr_workgroup_id_x 1
		.amdhsa_system_sgpr_workgroup_id_y 0
		.amdhsa_system_sgpr_workgroup_id_z 0
		.amdhsa_system_sgpr_workgroup_info 0
		.amdhsa_system_vgpr_workitem_id 0
		.amdhsa_next_free_vgpr 59
		.amdhsa_next_free_sgpr 16
		.amdhsa_reserve_vcc 1
		.amdhsa_reserve_flat_scratch 0
		.amdhsa_float_round_mode_32 0
		.amdhsa_float_round_mode_16_64 0
		.amdhsa_float_denorm_mode_32 3
		.amdhsa_float_denorm_mode_16_64 3
		.amdhsa_dx10_clamp 1
		.amdhsa_ieee_mode 1
		.amdhsa_fp16_overflow 0
		.amdhsa_exception_fp_ieee_invalid_op 0
		.amdhsa_exception_fp_denorm_src 0
		.amdhsa_exception_fp_ieee_div_zero 0
		.amdhsa_exception_fp_ieee_overflow 0
		.amdhsa_exception_fp_ieee_underflow 0
		.amdhsa_exception_fp_ieee_inexact 0
		.amdhsa_exception_int_div_zero 0
	.end_amdhsa_kernel
	.section	.text._Z12ratt7_kernelIdEvPKT_S2_PS0_S2_S0_,"axG",@progbits,_Z12ratt7_kernelIdEvPKT_S2_PS0_S2_S0_,comdat
.Lfunc_end35:
	.size	_Z12ratt7_kernelIdEvPKT_S2_PS0_S2_S0_, .Lfunc_end35-_Z12ratt7_kernelIdEvPKT_S2_PS0_S2_S0_
                                        ; -- End function
	.set _Z12ratt7_kernelIdEvPKT_S2_PS0_S2_S0_.num_vgpr, 59
	.set _Z12ratt7_kernelIdEvPKT_S2_PS0_S2_S0_.num_agpr, 0
	.set _Z12ratt7_kernelIdEvPKT_S2_PS0_S2_S0_.numbered_sgpr, 16
	.set _Z12ratt7_kernelIdEvPKT_S2_PS0_S2_S0_.num_named_barrier, 0
	.set _Z12ratt7_kernelIdEvPKT_S2_PS0_S2_S0_.private_seg_size, 0
	.set _Z12ratt7_kernelIdEvPKT_S2_PS0_S2_S0_.uses_vcc, 1
	.set _Z12ratt7_kernelIdEvPKT_S2_PS0_S2_S0_.uses_flat_scratch, 0
	.set _Z12ratt7_kernelIdEvPKT_S2_PS0_S2_S0_.has_dyn_sized_stack, 0
	.set _Z12ratt7_kernelIdEvPKT_S2_PS0_S2_S0_.has_recursion, 0
	.set _Z12ratt7_kernelIdEvPKT_S2_PS0_S2_S0_.has_indirect_call, 0
	.section	.AMDGPU.csdata,"",@progbits
; Kernel info:
; codeLenInByte = 5584
; TotalNumSgprs: 20
; NumVgprs: 59
; ScratchSize: 0
; MemoryBound: 0
; FloatMode: 240
; IeeeMode: 1
; LDSByteSize: 0 bytes/workgroup (compile time only)
; SGPRBlocks: 2
; VGPRBlocks: 14
; NumSGPRsForWavesPerEU: 20
; NumVGPRsForWavesPerEU: 59
; Occupancy: 4
; WaveLimiterHint : 0
; COMPUTE_PGM_RSRC2:SCRATCH_EN: 0
; COMPUTE_PGM_RSRC2:USER_SGPR: 6
; COMPUTE_PGM_RSRC2:TRAP_HANDLER: 0
; COMPUTE_PGM_RSRC2:TGID_X_EN: 1
; COMPUTE_PGM_RSRC2:TGID_Y_EN: 0
; COMPUTE_PGM_RSRC2:TGID_Z_EN: 0
; COMPUTE_PGM_RSRC2:TIDIG_COMP_CNT: 0
	.section	.text._Z12ratt8_kernelIdEvPKT_S2_PS0_S2_S0_,"axG",@progbits,_Z12ratt8_kernelIdEvPKT_S2_PS0_S2_S0_,comdat
	.protected	_Z12ratt8_kernelIdEvPKT_S2_PS0_S2_S0_ ; -- Begin function _Z12ratt8_kernelIdEvPKT_S2_PS0_S2_S0_
	.globl	_Z12ratt8_kernelIdEvPKT_S2_PS0_S2_S0_
	.p2align	8
	.type	_Z12ratt8_kernelIdEvPKT_S2_PS0_S2_S0_,@function
_Z12ratt8_kernelIdEvPKT_S2_PS0_S2_S0_:  ; @_Z12ratt8_kernelIdEvPKT_S2_PS0_S2_S0_
; %bb.0:
	s_load_dwordx8 s[8:15], s[4:5], 0x0
	s_load_dwordx2 s[0:1], s[4:5], 0x20
	s_load_dword s2, s[4:5], 0x28
	s_load_dword s3, s[4:5], 0x34
	v_mov_b32_e32 v1, 0
	s_waitcnt lgkmcnt(0)
	v_mov_b32_e32 v3, s9
	v_mov_b32_e32 v52, s15
	;; [unrolled: 1-line block ×3, first 2 shown]
	s_and_b32 s3, s3, 0xffff
	s_mul_i32 s6, s6, s3
	v_add_u32_e32 v0, s6, v0
	v_lshlrev_b64 v[14:15], 3, v[0:1]
	s_mul_i32 s2, s2, s3
	v_add_co_u32_e32 v2, vcc, s8, v14
	v_addc_co_u32_e32 v3, vcc, v3, v15, vcc
	global_load_dwordx2 v[2:3], v[2:3], off
	s_lshl_b32 s3, s2, 1
	s_mul_i32 s6, s2, 21
	v_mov_b32_e32 v19, v1
	v_mov_b32_e32 v51, s11
	;; [unrolled: 1-line block ×3, first 2 shown]
	s_mul_i32 s4, s2, 0xffffff6f
	s_mul_i32 s5, s2, 0x92
	;; [unrolled: 1-line block ×3, first 2 shown]
	s_waitcnt vmcnt(0)
	v_mul_f64 v[2:3], s[0:1], v[2:3]
	s_brev_b32 s0, 12
	s_mov_b32 s1, 0x4193d2c6
	v_mul_f64 v[2:3], v[2:3], s[0:1]
	v_div_scale_f64 v[4:5], s[0:1], v[2:3], v[2:3], 1.0
	s_mov_b32 s0, 0
	s_mov_b32 s1, 0x412eec04
	v_rcp_f64_e32 v[6:7], v[4:5]
	v_fma_f64 v[8:9], -v[4:5], v[6:7], 1.0
	v_fma_f64 v[6:7], v[6:7], v[8:9], v[6:7]
	v_fma_f64 v[8:9], -v[4:5], v[6:7], 1.0
	v_fma_f64 v[6:7], v[6:7], v[8:9], v[6:7]
	v_div_scale_f64 v[8:9], vcc, 1.0, v[2:3], 1.0
	v_mul_f64 v[10:11], v[8:9], v[6:7]
	v_fma_f64 v[4:5], -v[4:5], v[10:11], v[8:9]
	s_nop 1
	v_div_fmas_f64 v[4:5], v[4:5], v[6:7], v[10:11]
	v_div_fixup_f64 v[2:3], v[4:5], v[2:3], 1.0
	v_add_u32_e32 v4, s3, v0
	v_mov_b32_e32 v5, v1
	v_lshlrev_b64 v[6:7], 3, v[4:5]
	v_add_u32_e32 v0, s2, v0
	v_add_co_u32_e32 v8, vcc, s14, v6
	v_addc_co_u32_e32 v9, vcc, v52, v7, vcc
	v_mul_f64 v[2:3], v[2:3], s[0:1]
	v_mad_u64_u32 v[4:5], s[0:1], s2, 24, v[4:5]
	v_mov_b32_e32 v5, v1
	s_mul_i32 s0, s2, 0xffffffea
	v_lshlrev_b64 v[10:11], 3, v[4:5]
	v_add_u32_e32 v16, s0, v4
	v_add_co_u32_e32 v10, vcc, s14, v10
	v_lshlrev_b64 v[4:5], 3, v[16:17]
	v_addc_co_u32_e32 v11, vcc, v52, v11, vcc
	v_add_u32_e32 v18, s6, v16
	v_add_co_u32_e32 v4, vcc, s14, v4
	v_lshlrev_b64 v[16:17], 3, v[18:19]
	v_addc_co_u32_e32 v5, vcc, v52, v5, vcc
	v_add_co_u32_e32 v16, vcc, s14, v16
	v_addc_co_u32_e32 v17, vcc, v52, v17, vcc
	global_load_dwordx2 v[6:7], v[8:9], off
	global_load_dwordx2 v[12:13], v[10:11], off
	s_nop 0
	global_load_dwordx2 v[16:17], v[16:17], off
	s_nop 0
	global_load_dwordx2 v[4:5], v[4:5], off
	s_waitcnt vmcnt(2)
	v_mul_f64 v[10:11], v[6:7], v[12:13]
	s_waitcnt vmcnt(0)
	v_mul_f64 v[19:20], v[4:5], v[16:17]
	v_div_scale_f64 v[21:22], s[0:1], v[19:20], v[19:20], 1.0
	s_mul_i32 s0, s2, 0x7d
	v_add_u32_e32 v18, s0, v18
	s_mov_b32 s0, 0x4357691b
	s_mov_b32 s1, 0x479e17b8
	v_rcp_f64_e32 v[23:24], v[21:22]
	v_fma_f64 v[25:26], -v[21:22], v[23:24], 1.0
	v_fma_f64 v[23:24], v[23:24], v[25:26], v[23:24]
	v_fma_f64 v[25:26], -v[21:22], v[23:24], 1.0
	v_fma_f64 v[23:24], v[23:24], v[25:26], v[23:24]
	v_div_scale_f64 v[25:26], vcc, 1.0, v[19:20], 1.0
	v_mul_f64 v[27:28], v[25:26], v[23:24]
	v_fma_f64 v[21:22], -v[21:22], v[27:28], v[25:26]
	s_nop 1
	v_div_fmas_f64 v[21:22], v[21:22], v[23:24], v[27:28]
	v_div_fixup_f64 v[19:20], v[21:22], v[19:20], 1.0
	v_mul_f64 v[10:11], v[10:11], v[19:20]
	v_mov_b32_e32 v19, v1
	v_lshlrev_b64 v[19:20], 3, v[18:19]
	v_add_co_u32_e32 v21, vcc, s10, v19
	v_addc_co_u32_e32 v22, vcc, v51, v20, vcc
	global_load_dwordx2 v[21:22], v[21:22], off
	v_min_f64 v[10:11], v[10:11], s[0:1]
	v_add_co_u32_e32 v19, vcc, s12, v19
	v_addc_co_u32_e32 v20, vcc, v50, v20, vcc
	s_waitcnt vmcnt(0)
	v_mul_f64 v[10:11], v[21:22], v[10:11]
	v_mov_b32_e32 v21, v1
	global_store_dwordx2 v[19:20], v[10:11], off
	v_add_u32_e32 v20, s4, v18
	v_lshlrev_b64 v[18:19], 3, v[20:21]
	v_mul_f64 v[10:11], v[12:13], v[4:5]
	v_add_co_u32_e32 v18, vcc, s14, v18
	v_addc_co_u32_e32 v19, vcc, v52, v19, vcc
	global_load_dwordx2 v[18:19], v[18:19], off
	v_add_u32_e32 v20, s5, v20
	s_waitcnt vmcnt(0)
	v_mul_f64 v[21:22], v[16:17], v[18:19]
	v_div_scale_f64 v[23:24], s[8:9], v[21:22], v[21:22], 1.0
	v_rcp_f64_e32 v[25:26], v[23:24]
	v_fma_f64 v[27:28], -v[23:24], v[25:26], 1.0
	v_fma_f64 v[25:26], v[25:26], v[27:28], v[25:26]
	v_fma_f64 v[27:28], -v[23:24], v[25:26], 1.0
	v_fma_f64 v[25:26], v[25:26], v[27:28], v[25:26]
	v_div_scale_f64 v[27:28], vcc, 1.0, v[21:22], 1.0
	v_mul_f64 v[29:30], v[27:28], v[25:26]
	v_fma_f64 v[23:24], -v[23:24], v[29:30], v[27:28]
	s_nop 1
	v_div_fmas_f64 v[23:24], v[23:24], v[25:26], v[29:30]
	v_mov_b32_e32 v25, v1
	v_div_fixup_f64 v[21:22], v[23:24], v[21:22], 1.0
	v_mul_f64 v[10:11], v[10:11], v[21:22]
	v_mov_b32_e32 v21, v1
	v_lshlrev_b64 v[21:22], 3, v[20:21]
	v_add_co_u32_e32 v23, vcc, s10, v21
	v_addc_co_u32_e32 v24, vcc, v51, v22, vcc
	global_load_dwordx2 v[23:24], v[23:24], off
	v_min_f64 v[10:11], v[10:11], s[0:1]
	v_add_co_u32_e32 v21, vcc, s12, v21
	v_addc_co_u32_e32 v22, vcc, v50, v22, vcc
	s_waitcnt vmcnt(0)
	v_mul_f64 v[10:11], v[23:24], v[10:11]
	v_add_u32_e32 v24, s7, v20
	s_mul_i32 s7, s2, 3
	global_store_dwordx2 v[21:22], v[10:11], off
	v_lshlrev_b64 v[10:11], 3, v[24:25]
	v_add_u32_e32 v24, s7, v24
	v_add_co_u32_e32 v10, vcc, s14, v10
	v_addc_co_u32_e32 v11, vcc, v52, v11, vcc
	global_load_dwordx2 v[20:21], v[10:11], off
	s_waitcnt vmcnt(0)
	v_mul_f64 v[22:23], v[12:13], v[20:21]
	v_lshlrev_b64 v[12:13], 3, v[24:25]
	v_add_u32_e32 v24, s5, v24
	v_add_co_u32_e32 v12, vcc, s14, v12
	v_addc_co_u32_e32 v13, vcc, v52, v13, vcc
	global_load_dwordx2 v[34:35], v[12:13], off
	s_waitcnt vmcnt(0)
	v_mul_f64 v[16:17], v[16:17], v[34:35]
	v_div_scale_f64 v[25:26], s[8:9], v[16:17], v[16:17], 1.0
	s_mul_i32 s8, s2, 0xffffff75
	v_rcp_f64_e32 v[27:28], v[25:26]
	v_fma_f64 v[29:30], -v[25:26], v[27:28], 1.0
	v_fma_f64 v[27:28], v[27:28], v[29:30], v[27:28]
	v_fma_f64 v[29:30], -v[25:26], v[27:28], 1.0
	v_fma_f64 v[27:28], v[27:28], v[29:30], v[27:28]
	v_div_scale_f64 v[29:30], vcc, 1.0, v[16:17], 1.0
	v_mul_f64 v[31:32], v[29:30], v[27:28]
	v_fma_f64 v[25:26], -v[25:26], v[31:32], v[29:30]
	s_nop 1
	v_div_fmas_f64 v[25:26], v[25:26], v[27:28], v[31:32]
	v_div_fixup_f64 v[16:17], v[25:26], v[16:17], 1.0
	v_mov_b32_e32 v25, v1
	v_lshlrev_b64 v[25:26], 3, v[24:25]
	v_add_co_u32_e32 v27, vcc, s10, v25
	v_addc_co_u32_e32 v28, vcc, v51, v26, vcc
	global_load_dwordx2 v[27:28], v[27:28], off
	v_mul_f64 v[16:17], v[22:23], v[16:17]
	v_add_co_u32_e32 v25, vcc, s12, v25
	v_addc_co_u32_e32 v26, vcc, v50, v26, vcc
	v_min_f64 v[16:17], v[16:17], s[0:1]
	s_waitcnt vmcnt(0)
	v_mul_f64 v[16:17], v[27:28], v[16:17]
	v_mov_b32_e32 v27, v1
	global_store_dwordx2 v[25:26], v[16:17], off
	v_add_u32_e32 v16, s8, v24
	v_mov_b32_e32 v17, v1
	v_lshlrev_b64 v[24:25], 3, v[16:17]
	v_add_u32_e32 v26, s7, v16
	v_add_co_u32_e32 v24, vcc, s14, v24
	v_addc_co_u32_e32 v25, vcc, v52, v25, vcc
	global_load_dwordx2 v[36:37], v[24:25], off
	v_lshlrev_b64 v[16:17], 3, v[26:27]
	s_mul_i32 s7, s2, 0x89
	v_add_co_u32_e32 v16, vcc, s14, v16
	v_addc_co_u32_e32 v17, vcc, v52, v17, vcc
	global_load_dwordx2 v[42:43], v[16:17], off
	s_waitcnt vmcnt(1)
	v_mul_f64 v[24:25], v[4:5], v[36:37]
	s_waitcnt vmcnt(0)
	v_mul_f64 v[24:25], v[24:25], v[42:43]
	v_mul_f64 v[24:25], v[2:3], v[24:25]
	v_div_scale_f64 v[27:28], s[8:9], v[24:25], v[24:25], 1.0
	v_rcp_f64_e32 v[29:30], v[27:28]
	v_fma_f64 v[31:32], -v[27:28], v[29:30], 1.0
	v_fma_f64 v[29:30], v[29:30], v[31:32], v[29:30]
	v_fma_f64 v[31:32], -v[27:28], v[29:30], 1.0
	v_fma_f64 v[29:30], v[29:30], v[31:32], v[29:30]
	v_div_scale_f64 v[31:32], vcc, 1.0, v[24:25], 1.0
	v_mul_f64 v[38:39], v[31:32], v[29:30]
	v_fma_f64 v[27:28], -v[27:28], v[38:39], v[31:32]
	s_nop 1
	v_div_fmas_f64 v[27:28], v[27:28], v[29:30], v[38:39]
	v_div_fixup_f64 v[24:25], v[27:28], v[24:25], 1.0
	v_mul_f64 v[22:23], v[22:23], v[24:25]
	v_add_u32_e32 v24, s7, v26
	v_mov_b32_e32 v25, v1
	v_lshlrev_b64 v[25:26], 3, v[24:25]
	s_mul_i32 s7, s2, 0xffffff7c
	v_add_co_u32_e32 v27, vcc, s10, v25
	v_addc_co_u32_e32 v28, vcc, v51, v26, vcc
	global_load_dwordx2 v[27:28], v[27:28], off
	v_min_f64 v[22:23], v[22:23], s[0:1]
	v_add_co_u32_e32 v25, vcc, s12, v25
	v_addc_co_u32_e32 v26, vcc, v50, v26, vcc
	s_waitcnt vmcnt(0)
	v_mul_f64 v[22:23], v[27:28], v[22:23]
	global_store_dwordx2 v[25:26], v[22:23], off
	v_add_u32_e32 v22, s7, v24
	v_mov_b32_e32 v23, v1
	v_lshlrev_b64 v[24:25], 3, v[22:23]
	v_subrev_u32_e32 v22, s3, v22
	v_add_co_u32_e32 v24, vcc, s14, v24
	v_addc_co_u32_e32 v25, vcc, v52, v25, vcc
	v_add_co_u32_e32 v14, vcc, s14, v14
	v_lshlrev_b64 v[28:29], 3, v[22:23]
	v_addc_co_u32_e32 v15, vcc, v52, v15, vcc
	v_add_co_u32_e32 v28, vcc, s14, v28
	v_addc_co_u32_e32 v29, vcc, v52, v29, vcc
	global_load_dwordx2 v[26:27], v[24:25], off
	s_mul_i32 s7, s2, 0x87
	global_load_dwordx2 v[28:29], v[28:29], off
	v_add_u32_e32 v22, s7, v22
	global_load_dwordx2 v[46:47], v[14:15], off
	v_lshlrev_b64 v[22:23], 3, v[22:23]
	s_waitcnt vmcnt(0)
	v_mul_f64 v[30:31], v[46:47], v[28:29]
	v_mul_f64 v[30:31], v[2:3], v[30:31]
	v_div_scale_f64 v[32:33], s[8:9], v[30:31], v[30:31], 1.0
	v_rcp_f64_e32 v[38:39], v[32:33]
	v_fma_f64 v[40:41], -v[32:33], v[38:39], 1.0
	v_fma_f64 v[38:39], v[38:39], v[40:41], v[38:39]
	v_fma_f64 v[40:41], -v[32:33], v[38:39], 1.0
	v_fma_f64 v[38:39], v[38:39], v[40:41], v[38:39]
	v_div_scale_f64 v[40:41], vcc, 1.0, v[30:31], 1.0
	v_mul_f64 v[44:45], v[40:41], v[38:39]
	v_fma_f64 v[32:33], -v[32:33], v[44:45], v[40:41]
	s_nop 1
	v_div_fmas_f64 v[32:33], v[32:33], v[38:39], v[44:45]
	v_div_fixup_f64 v[30:31], v[32:33], v[30:31], 1.0
	v_add_co_u32_e32 v32, vcc, s10, v22
	v_addc_co_u32_e32 v33, vcc, v51, v23, vcc
	global_load_dwordx2 v[32:33], v[32:33], off
	v_add_co_u32_e32 v22, vcc, s12, v22
	v_mul_f64 v[30:31], v[26:27], v[30:31]
	v_addc_co_u32_e32 v23, vcc, v50, v23, vcc
	v_min_f64 v[30:31], v[30:31], s[0:1]
	s_waitcnt vmcnt(0)
	v_mul_f64 v[30:31], v[32:33], v[30:31]
	global_store_dwordx2 v[22:23], v[30:31], off
	v_lshlrev_b64 v[22:23], 3, v[0:1]
	v_add_u32_e32 v0, s6, v0
	v_add_co_u32_e32 v30, vcc, s14, v22
	v_addc_co_u32_e32 v31, vcc, v52, v23, vcc
	v_lshlrev_b64 v[22:23], 3, v[0:1]
	global_load_dwordx2 v[38:39], v[30:31], off
	v_add_co_u32_e32 v22, vcc, s14, v22
	v_addc_co_u32_e32 v23, vcc, v52, v23, vcc
	global_load_dwordx2 v[40:41], v[22:23], off
	s_mul_i32 s6, s2, 0x85
	v_add_u32_e32 v0, s6, v0
	s_mul_i32 s6, s2, 0xffffff79
	s_waitcnt vmcnt(1)
	v_mul_f64 v[48:49], v[26:27], v[38:39]
	s_waitcnt vmcnt(0)
	v_div_scale_f64 v[44:45], s[8:9], v[40:41], v[40:41], 1.0
	v_mul_f64 v[32:33], v[2:3], v[48:49]
	v_rcp_f64_e32 v[53:54], v[44:45]
	v_fma_f64 v[55:56], -v[44:45], v[53:54], 1.0
	v_fma_f64 v[53:54], v[53:54], v[55:56], v[53:54]
	v_fma_f64 v[55:56], -v[44:45], v[53:54], 1.0
	v_fma_f64 v[53:54], v[53:54], v[55:56], v[53:54]
	v_div_scale_f64 v[55:56], vcc, 1.0, v[40:41], 1.0
	v_mul_f64 v[57:58], v[55:56], v[53:54]
	v_fma_f64 v[44:45], -v[44:45], v[57:58], v[55:56]
	s_nop 1
	v_div_fmas_f64 v[44:45], v[44:45], v[53:54], v[57:58]
	v_div_fixup_f64 v[44:45], v[44:45], v[40:41], 1.0
	v_mul_f64 v[32:33], v[32:33], v[44:45]
	v_lshlrev_b64 v[44:45], 3, v[0:1]
	v_add_u32_e32 v0, s6, v0
	v_add_co_u32_e32 v53, vcc, s10, v44
	v_addc_co_u32_e32 v54, vcc, v51, v45, vcc
	global_load_dwordx2 v[53:54], v[53:54], off
	v_min_f64 v[32:33], v[32:33], s[0:1]
	v_add_co_u32_e32 v44, vcc, s12, v44
	v_addc_co_u32_e32 v45, vcc, v50, v45, vcc
	s_waitcnt vmcnt(0)
	v_mul_f64 v[32:33], v[53:54], v[32:33]
	global_store_dwordx2 v[44:45], v[32:33], off
	v_lshlrev_b64 v[32:33], 3, v[0:1]
	v_add_co_u32_e32 v32, vcc, s14, v32
	v_addc_co_u32_e32 v33, vcc, v52, v33, vcc
	global_load_dwordx2 v[44:45], v[32:33], off
	s_waitcnt vmcnt(0)
	v_mul_f64 v[46:47], v[46:47], v[44:45]
	v_mul_f64 v[18:19], v[18:19], v[44:45]
	v_div_scale_f64 v[53:54], s[8:9], v[46:47], v[46:47], 1.0
	s_mul_i32 s8, s2, 0x88
	v_add_u32_e32 v0, s8, v0
	s_mul_i32 s9, s2, 0xffffff6e
	v_rcp_f64_e32 v[55:56], v[53:54]
	v_fma_f64 v[57:58], -v[53:54], v[55:56], 1.0
	v_fma_f64 v[55:56], v[55:56], v[57:58], v[55:56]
	v_fma_f64 v[57:58], -v[53:54], v[55:56], 1.0
	v_fma_f64 v[55:56], v[55:56], v[57:58], v[55:56]
	v_div_scale_f64 v[57:58], vcc, 1.0, v[46:47], 1.0
	v_mul_f64 v[59:60], v[57:58], v[55:56]
	v_fma_f64 v[53:54], -v[53:54], v[59:60], v[57:58]
	s_nop 1
	v_div_fmas_f64 v[53:54], v[53:54], v[55:56], v[59:60]
	v_div_fixup_f64 v[46:47], v[53:54], v[46:47], 1.0
	v_mul_f64 v[46:47], v[48:49], v[46:47]
	v_lshlrev_b64 v[48:49], 3, v[0:1]
	v_add_u32_e32 v0, s2, v0
	v_add_co_u32_e32 v53, vcc, s10, v48
	v_addc_co_u32_e32 v54, vcc, v51, v49, vcc
	global_load_dwordx2 v[53:54], v[53:54], off
	v_min_f64 v[46:47], v[46:47], s[0:1]
	v_add_co_u32_e32 v48, vcc, s12, v48
	v_addc_co_u32_e32 v49, vcc, v50, v49, vcc
	s_waitcnt vmcnt(0)
	v_mul_f64 v[46:47], v[53:54], v[46:47]
	v_mul_f64 v[53:54], v[6:7], v[26:27]
	;; [unrolled: 1-line block ×3, first 2 shown]
	global_store_dwordx2 v[48:49], v[46:47], off
	v_div_scale_f64 v[46:47], s[16:17], v[6:7], v[6:7], 1.0
	v_rcp_f64_e32 v[48:49], v[46:47]
	v_fma_f64 v[55:56], -v[46:47], v[48:49], 1.0
	v_fma_f64 v[48:49], v[48:49], v[55:56], v[48:49]
	v_fma_f64 v[55:56], -v[46:47], v[48:49], 1.0
	v_fma_f64 v[48:49], v[48:49], v[55:56], v[48:49]
	v_div_scale_f64 v[55:56], vcc, 1.0, v[6:7], 1.0
	v_mul_f64 v[57:58], v[55:56], v[48:49]
	v_fma_f64 v[46:47], -v[46:47], v[57:58], v[55:56]
	s_nop 1
	v_div_fmas_f64 v[46:47], v[46:47], v[48:49], v[57:58]
	v_div_fixup_f64 v[6:7], v[46:47], v[6:7], 1.0
	v_lshlrev_b64 v[46:47], 3, v[0:1]
	v_add_u32_e32 v0, s9, v0
	v_add_co_u32_e32 v48, vcc, s10, v46
	v_addc_co_u32_e32 v49, vcc, v51, v47, vcc
	global_load_dwordx2 v[48:49], v[48:49], off
	v_mul_f64 v[6:7], v[53:54], v[6:7]
	v_add_co_u32_e32 v46, vcc, s12, v46
	v_addc_co_u32_e32 v47, vcc, v50, v47, vcc
	s_mul_i32 s9, s2, 0x8f
	v_min_f64 v[6:7], v[6:7], s[0:1]
	s_waitcnt vmcnt(0)
	v_mul_f64 v[6:7], v[48:49], v[6:7]
	global_store_dwordx2 v[46:47], v[6:7], off
	v_lshlrev_b64 v[6:7], 3, v[0:1]
	v_lshl_add_u32 v0, s2, 2, v0
	v_add_co_u32_e32 v6, vcc, s14, v6
	v_lshlrev_b64 v[46:47], 3, v[0:1]
	v_addc_co_u32_e32 v7, vcc, v52, v7, vcc
	v_add_co_u32_e32 v46, vcc, s14, v46
	v_addc_co_u32_e32 v47, vcc, v52, v47, vcc
	global_load_dwordx2 v[48:49], v[6:7], off
	v_add_u32_e32 v0, s9, v0
	global_load_dwordx2 v[46:47], v[46:47], off
	s_mul_i32 s9, s2, 0xffffff6b
	s_waitcnt vmcnt(0)
	v_mul_f64 v[48:49], v[48:49], v[46:47]
	v_div_scale_f64 v[55:56], s[16:17], v[48:49], v[48:49], 1.0
	v_rcp_f64_e32 v[57:58], v[55:56]
	v_fma_f64 v[59:60], -v[55:56], v[57:58], 1.0
	v_fma_f64 v[57:58], v[57:58], v[59:60], v[57:58]
	v_fma_f64 v[59:60], -v[55:56], v[57:58], 1.0
	v_fma_f64 v[57:58], v[57:58], v[59:60], v[57:58]
	v_div_scale_f64 v[59:60], vcc, 1.0, v[48:49], 1.0
	v_mul_f64 v[61:62], v[59:60], v[57:58]
	v_fma_f64 v[55:56], -v[55:56], v[61:62], v[59:60]
	s_nop 1
	v_div_fmas_f64 v[55:56], v[55:56], v[57:58], v[61:62]
	v_div_fixup_f64 v[48:49], v[55:56], v[48:49], 1.0
	v_lshlrev_b64 v[55:56], 3, v[0:1]
	v_add_u32_e32 v0, s9, v0
	v_add_co_u32_e32 v57, vcc, s10, v55
	v_addc_co_u32_e32 v58, vcc, v51, v56, vcc
	global_load_dwordx2 v[57:58], v[57:58], off
	v_mul_f64 v[48:49], v[53:54], v[48:49]
	v_add_co_u32_e32 v55, vcc, s12, v55
	v_addc_co_u32_e32 v56, vcc, v50, v56, vcc
	s_mul_i32 s9, s2, 0x96
	v_min_f64 v[48:49], v[48:49], s[0:1]
	s_waitcnt vmcnt(0)
	v_mul_f64 v[48:49], v[57:58], v[48:49]
	global_store_dwordx2 v[55:56], v[48:49], off
	v_lshlrev_b64 v[48:49], 3, v[0:1]
	v_add_u32_e32 v0, s9, v0
	v_add_co_u32_e32 v48, vcc, s14, v48
	v_addc_co_u32_e32 v49, vcc, v52, v49, vcc
	global_load_dwordx2 v[48:49], v[48:49], off
	s_mul_i32 s9, s2, 0xffffff7a
	s_waitcnt vmcnt(0)
	v_mul_f64 v[42:43], v[42:43], v[48:49]
	v_div_scale_f64 v[55:56], s[16:17], v[42:43], v[42:43], 1.0
	v_rcp_f64_e32 v[57:58], v[55:56]
	v_fma_f64 v[59:60], -v[55:56], v[57:58], 1.0
	v_fma_f64 v[57:58], v[57:58], v[59:60], v[57:58]
	v_fma_f64 v[59:60], -v[55:56], v[57:58], 1.0
	v_fma_f64 v[57:58], v[57:58], v[59:60], v[57:58]
	v_div_scale_f64 v[59:60], vcc, 1.0, v[42:43], 1.0
	v_mul_f64 v[61:62], v[59:60], v[57:58]
	v_fma_f64 v[55:56], -v[55:56], v[61:62], v[59:60]
	s_nop 1
	v_div_fmas_f64 v[55:56], v[55:56], v[57:58], v[61:62]
	v_div_fixup_f64 v[42:43], v[55:56], v[42:43], 1.0
	v_mul_f64 v[42:43], v[53:54], v[42:43]
	v_lshlrev_b64 v[53:54], 3, v[0:1]
	v_add_u32_e32 v0, s2, v0
	v_add_co_u32_e32 v55, vcc, s10, v53
	v_addc_co_u32_e32 v56, vcc, v51, v54, vcc
	global_load_dwordx2 v[55:56], v[55:56], off
	v_min_f64 v[42:43], v[42:43], s[0:1]
	v_add_co_u32_e32 v53, vcc, s12, v53
	v_addc_co_u32_e32 v54, vcc, v50, v54, vcc
	s_waitcnt vmcnt(0)
	v_mul_f64 v[42:43], v[55:56], v[42:43]
	global_store_dwordx2 v[53:54], v[42:43], off
	v_div_scale_f64 v[53:54], s[16:17], v[18:19], v[18:19], 1.0
	v_mul_f64 v[42:43], v[4:5], v[26:27]
	v_rcp_f64_e32 v[55:56], v[53:54]
	v_fma_f64 v[57:58], -v[53:54], v[55:56], 1.0
	v_fma_f64 v[55:56], v[55:56], v[57:58], v[55:56]
	v_fma_f64 v[57:58], -v[53:54], v[55:56], 1.0
	v_fma_f64 v[55:56], v[55:56], v[57:58], v[55:56]
	v_div_scale_f64 v[57:58], vcc, 1.0, v[18:19], 1.0
	v_mul_f64 v[59:60], v[57:58], v[55:56]
	v_fma_f64 v[53:54], -v[53:54], v[59:60], v[57:58]
	s_nop 1
	v_div_fmas_f64 v[53:54], v[53:54], v[55:56], v[59:60]
	v_div_fixup_f64 v[18:19], v[53:54], v[18:19], 1.0
	v_mul_f64 v[18:19], v[42:43], v[18:19]
	v_lshlrev_b64 v[42:43], 3, v[0:1]
	v_add_u32_e32 v0, s2, v0
	v_add_co_u32_e32 v53, vcc, s10, v42
	v_addc_co_u32_e32 v54, vcc, v51, v43, vcc
	global_load_dwordx2 v[53:54], v[53:54], off
	v_min_f64 v[18:19], v[18:19], s[0:1]
	v_add_co_u32_e32 v42, vcc, s12, v42
	v_addc_co_u32_e32 v43, vcc, v50, v43, vcc
	s_waitcnt vmcnt(0)
	v_mul_f64 v[18:19], v[18:19], v[53:54]
	global_store_dwordx2 v[42:43], v[18:19], off
	v_mul_f64 v[18:19], v[20:21], v[26:27]
	v_mul_f64 v[20:21], v[34:35], v[44:45]
	v_div_scale_f64 v[42:43], s[16:17], v[20:21], v[20:21], 1.0
	v_rcp_f64_e32 v[44:45], v[42:43]
	v_fma_f64 v[53:54], -v[42:43], v[44:45], 1.0
	v_fma_f64 v[44:45], v[44:45], v[53:54], v[44:45]
	v_fma_f64 v[53:54], -v[42:43], v[44:45], 1.0
	v_fma_f64 v[44:45], v[44:45], v[53:54], v[44:45]
	v_div_scale_f64 v[53:54], vcc, 1.0, v[20:21], 1.0
	v_mul_f64 v[55:56], v[53:54], v[44:45]
	v_fma_f64 v[42:43], -v[42:43], v[55:56], v[53:54]
	s_nop 1
	v_div_fmas_f64 v[42:43], v[42:43], v[44:45], v[55:56]
	v_div_fixup_f64 v[20:21], v[42:43], v[20:21], 1.0
	v_mul_f64 v[18:19], v[18:19], v[20:21]
	v_lshlrev_b64 v[20:21], 3, v[0:1]
	v_add_u32_e32 v0, s9, v0
	v_add_co_u32_e32 v42, vcc, s10, v20
	v_addc_co_u32_e32 v43, vcc, v51, v21, vcc
	global_load_dwordx2 v[42:43], v[42:43], off
	v_min_f64 v[18:19], v[18:19], s[0:1]
	v_add_co_u32_e32 v20, vcc, s12, v20
	v_addc_co_u32_e32 v21, vcc, v50, v21, vcc
	s_waitcnt vmcnt(0)
	v_mul_f64 v[18:19], v[18:19], v[42:43]
	global_store_dwordx2 v[20:21], v[18:19], off
	v_lshlrev_b64 v[18:19], 3, v[0:1]
	v_mul_f64 v[20:21], v[34:35], v[26:27]
	v_add_co_u32_e32 v18, vcc, s14, v18
	v_addc_co_u32_e32 v19, vcc, v52, v19, vcc
	global_load_dwordx2 v[34:35], v[18:19], off
	v_add_u32_e32 v0, s7, v0
	s_waitcnt vmcnt(0)
	v_mul_f64 v[4:5], v[4:5], v[34:35]
	v_div_scale_f64 v[34:35], s[16:17], v[4:5], v[4:5], 1.0
	v_rcp_f64_e32 v[42:43], v[34:35]
	v_fma_f64 v[44:45], -v[34:35], v[42:43], 1.0
	v_fma_f64 v[42:43], v[42:43], v[44:45], v[42:43]
	v_fma_f64 v[44:45], -v[34:35], v[42:43], 1.0
	v_fma_f64 v[42:43], v[42:43], v[44:45], v[42:43]
	v_div_scale_f64 v[44:45], vcc, 1.0, v[4:5], 1.0
	v_mul_f64 v[53:54], v[44:45], v[42:43]
	v_fma_f64 v[34:35], -v[34:35], v[53:54], v[44:45]
	s_nop 1
	v_div_fmas_f64 v[34:35], v[34:35], v[42:43], v[53:54]
	v_div_fixup_f64 v[4:5], v[34:35], v[4:5], 1.0
	v_mul_f64 v[4:5], v[20:21], v[4:5]
	v_lshlrev_b64 v[20:21], 3, v[0:1]
	v_add_u32_e32 v0, s2, v0
	v_add_co_u32_e32 v34, vcc, s10, v20
	v_addc_co_u32_e32 v35, vcc, v51, v21, vcc
	global_load_dwordx2 v[34:35], v[34:35], off
	v_min_f64 v[4:5], v[4:5], s[0:1]
	v_add_co_u32_e32 v20, vcc, s12, v20
	v_addc_co_u32_e32 v21, vcc, v50, v21, vcc
	s_waitcnt vmcnt(0)
	v_mul_f64 v[4:5], v[34:35], v[4:5]
	global_store_dwordx2 v[20:21], v[4:5], off
	v_mul_f64 v[20:21], v[36:37], v[40:41]
	v_mul_f64 v[4:5], v[26:27], v[46:47]
	v_div_scale_f64 v[34:35], s[16:17], v[20:21], v[20:21], 1.0
	v_rcp_f64_e32 v[36:37], v[34:35]
	v_fma_f64 v[40:41], -v[34:35], v[36:37], 1.0
	v_fma_f64 v[36:37], v[36:37], v[40:41], v[36:37]
	v_fma_f64 v[40:41], -v[34:35], v[36:37], 1.0
	v_fma_f64 v[36:37], v[36:37], v[40:41], v[36:37]
	v_div_scale_f64 v[40:41], vcc, 1.0, v[20:21], 1.0
	v_mul_f64 v[42:43], v[40:41], v[36:37]
	v_fma_f64 v[34:35], -v[34:35], v[42:43], v[40:41]
	s_nop 1
	v_div_fmas_f64 v[34:35], v[34:35], v[36:37], v[42:43]
	v_div_fixup_f64 v[20:21], v[34:35], v[20:21], 1.0
	v_mul_f64 v[4:5], v[20:21], v[4:5]
	v_lshlrev_b64 v[20:21], 3, v[0:1]
	v_add_u32_e32 v0, s6, v0
	v_add_co_u32_e32 v34, vcc, s10, v20
	v_addc_co_u32_e32 v35, vcc, v51, v21, vcc
	global_load_dwordx2 v[34:35], v[34:35], off
	v_min_f64 v[4:5], v[4:5], s[0:1]
	v_add_co_u32_e32 v20, vcc, s12, v20
	v_addc_co_u32_e32 v21, vcc, v50, v21, vcc
	s_waitcnt vmcnt(0)
	v_mul_f64 v[4:5], v[4:5], v[34:35]
	global_store_dwordx2 v[20:21], v[4:5], off
	v_lshlrev_b64 v[20:21], 3, v[0:1]
	v_mul_f64 v[4:5], v[26:27], v[48:49]
	v_add_co_u32_e32 v20, vcc, s14, v20
	v_addc_co_u32_e32 v21, vcc, v52, v21, vcc
	global_load_dwordx2 v[34:35], v[20:21], off
	v_add_u32_e32 v0, s8, v0
	s_waitcnt vmcnt(0)
	v_mul_f64 v[20:21], v[38:39], v[34:35]
	v_div_scale_f64 v[36:37], s[6:7], v[20:21], v[20:21], 1.0
	s_mul_i32 s6, s2, 0xffffff66
	v_rcp_f64_e32 v[38:39], v[36:37]
	v_fma_f64 v[40:41], -v[36:37], v[38:39], 1.0
	v_fma_f64 v[38:39], v[38:39], v[40:41], v[38:39]
	v_fma_f64 v[40:41], -v[36:37], v[38:39], 1.0
	v_fma_f64 v[38:39], v[38:39], v[40:41], v[38:39]
	v_div_scale_f64 v[40:41], vcc, 1.0, v[20:21], 1.0
	v_mul_f64 v[42:43], v[40:41], v[38:39]
	v_fma_f64 v[36:37], -v[36:37], v[42:43], v[40:41]
	s_nop 1
	v_div_fmas_f64 v[36:37], v[36:37], v[38:39], v[42:43]
	v_div_fixup_f64 v[20:21], v[36:37], v[20:21], 1.0
	v_mul_f64 v[4:5], v[4:5], v[20:21]
	v_lshlrev_b64 v[20:21], 3, v[0:1]
	v_add_u32_e32 v0, s6, v0
	v_add_co_u32_e32 v36, vcc, s10, v20
	v_addc_co_u32_e32 v37, vcc, v51, v21, vcc
	global_load_dwordx2 v[36:37], v[36:37], off
	v_min_f64 v[4:5], v[4:5], s[0:1]
	v_add_co_u32_e32 v20, vcc, s12, v20
	v_addc_co_u32_e32 v21, vcc, v50, v21, vcc
	s_waitcnt vmcnt(0)
	v_mul_f64 v[4:5], v[36:37], v[4:5]
	global_store_dwordx2 v[20:21], v[4:5], off
	v_lshlrev_b64 v[4:5], 3, v[0:1]
	v_add_u32_e32 v0, s3, v0
	v_add_co_u32_e32 v4, vcc, s14, v4
	v_addc_co_u32_e32 v5, vcc, v52, v5, vcc
	global_load_dwordx2 v[4:5], v[4:5], off
	v_lshlrev_b64 v[20:21], 3, v[0:1]
	s_mul_i32 s3, s2, 0x99
	v_add_co_u32_e32 v20, vcc, s14, v20
	v_addc_co_u32_e32 v21, vcc, v52, v21, vcc
	v_add_u32_e32 v0, s3, v0
	s_mul_i32 s3, s2, 0xffffff77
	s_waitcnt vmcnt(0)
	v_mul_f64 v[4:5], v[26:27], v[4:5]
	global_load_dwordx2 v[26:27], v[20:21], off
	s_waitcnt vmcnt(0)
	v_mul_f64 v[20:21], v[28:29], v[26:27]
	v_div_scale_f64 v[28:29], s[6:7], v[20:21], v[20:21], 1.0
	v_rcp_f64_e32 v[36:37], v[28:29]
	v_fma_f64 v[38:39], -v[28:29], v[36:37], 1.0
	v_fma_f64 v[36:37], v[36:37], v[38:39], v[36:37]
	v_fma_f64 v[38:39], -v[28:29], v[36:37], 1.0
	v_fma_f64 v[36:37], v[36:37], v[38:39], v[36:37]
	v_div_scale_f64 v[38:39], vcc, 1.0, v[20:21], 1.0
	v_mul_f64 v[40:41], v[38:39], v[36:37]
	v_fma_f64 v[28:29], -v[28:29], v[40:41], v[38:39]
	s_nop 1
	v_div_fmas_f64 v[28:29], v[28:29], v[36:37], v[40:41]
	v_div_fixup_f64 v[20:21], v[28:29], v[20:21], 1.0
	v_lshlrev_b64 v[28:29], 3, v[0:1]
	v_add_u32_e32 v0, s2, v0
	v_add_co_u32_e32 v36, vcc, s10, v28
	v_addc_co_u32_e32 v37, vcc, v51, v29, vcc
	global_load_dwordx2 v[36:37], v[36:37], off
	v_mul_f64 v[20:21], v[4:5], v[20:21]
	v_add_co_u32_e32 v28, vcc, s12, v28
	v_addc_co_u32_e32 v29, vcc, v50, v29, vcc
	v_min_f64 v[20:21], v[20:21], s[0:1]
	s_waitcnt vmcnt(0)
	v_mul_f64 v[20:21], v[36:37], v[20:21]
	global_store_dwordx2 v[28:29], v[20:21], off
	global_load_dwordx2 v[20:21], v[30:31], off
	s_waitcnt vmcnt(0)
	v_mul_f64 v[28:29], v[20:21], v[34:35]
	v_div_scale_f64 v[30:31], s[6:7], v[28:29], v[28:29], 1.0
	v_rcp_f64_e32 v[34:35], v[30:31]
	v_fma_f64 v[36:37], -v[30:31], v[34:35], 1.0
	v_fma_f64 v[34:35], v[34:35], v[36:37], v[34:35]
	v_fma_f64 v[36:37], -v[30:31], v[34:35], 1.0
	v_fma_f64 v[34:35], v[34:35], v[36:37], v[34:35]
	v_div_scale_f64 v[36:37], vcc, 1.0, v[28:29], 1.0
	v_mul_f64 v[38:39], v[36:37], v[34:35]
	v_fma_f64 v[30:31], -v[30:31], v[38:39], v[36:37]
	s_nop 1
	v_div_fmas_f64 v[30:31], v[30:31], v[34:35], v[38:39]
	v_div_fixup_f64 v[28:29], v[30:31], v[28:29], 1.0
	v_mul_f64 v[4:5], v[4:5], v[28:29]
	v_lshlrev_b64 v[28:29], 3, v[0:1]
	v_add_u32_e32 v0, s2, v0
	v_add_co_u32_e32 v30, vcc, s10, v28
	v_addc_co_u32_e32 v31, vcc, v51, v29, vcc
	global_load_dwordx2 v[30:31], v[30:31], off
	v_min_f64 v[4:5], v[4:5], s[0:1]
	v_add_co_u32_e32 v28, vcc, s12, v28
	v_addc_co_u32_e32 v29, vcc, v50, v29, vcc
	s_waitcnt vmcnt(0)
	v_mul_f64 v[4:5], v[30:31], v[4:5]
	global_store_dwordx2 v[28:29], v[4:5], off
	global_load_dwordx2 v[28:29], v[6:7], off
	s_nop 0
	global_load_dwordx2 v[4:5], v[24:25], off
	s_waitcnt vmcnt(0)
	v_mul_f64 v[6:7], v[28:29], v[4:5]
	global_load_dwordx2 v[24:25], v[32:33], off
	s_waitcnt vmcnt(0)
	v_mul_f64 v[24:25], v[26:27], v[24:25]
	global_load_dwordx2 v[14:15], v[14:15], off
	v_div_scale_f64 v[26:27], s[6:7], v[24:25], v[24:25], 1.0
	global_load_dwordx2 v[8:9], v[8:9], off
	v_rcp_f64_e32 v[30:31], v[26:27]
	global_load_dwordx2 v[12:13], v[12:13], off
	v_fma_f64 v[32:33], -v[26:27], v[30:31], 1.0
	v_fma_f64 v[30:31], v[30:31], v[32:33], v[30:31]
	v_fma_f64 v[32:33], -v[26:27], v[30:31], 1.0
	v_fma_f64 v[30:31], v[30:31], v[32:33], v[30:31]
	v_div_scale_f64 v[32:33], vcc, 1.0, v[24:25], 1.0
	v_mul_f64 v[34:35], v[32:33], v[30:31]
	s_waitcnt vmcnt(2)
	v_mul_f64 v[14:15], v[14:15], v[4:5]
	v_fma_f64 v[26:27], -v[26:27], v[34:35], v[32:33]
	v_div_fmas_f64 v[26:27], v[26:27], v[30:31], v[34:35]
	s_waitcnt vmcnt(0)
	v_mul_f64 v[4:5], v[12:13], v[4:5]
	v_div_fixup_f64 v[24:25], v[26:27], v[24:25], 1.0
	v_lshlrev_b64 v[26:27], 3, v[0:1]
	v_add_u32_e32 v0, s3, v0
	v_add_co_u32_e32 v30, vcc, s10, v26
	v_addc_co_u32_e32 v31, vcc, v51, v27, vcc
	global_load_dwordx2 v[30:31], v[30:31], off
	v_mul_f64 v[24:25], v[6:7], v[24:25]
	v_add_co_u32_e32 v26, vcc, s12, v26
	v_addc_co_u32_e32 v27, vcc, v50, v27, vcc
	v_mul_f64 v[6:7], v[2:3], v[6:7]
	s_mul_i32 s3, s2, 0x8a
	v_min_f64 v[24:25], v[24:25], s[0:1]
	s_waitcnt vmcnt(0)
	v_mul_f64 v[24:25], v[30:31], v[24:25]
	global_store_dwordx2 v[26:27], v[24:25], off
	v_lshlrev_b64 v[24:25], 3, v[0:1]
	v_add_u32_e32 v0, s3, v0
	v_add_co_u32_e32 v24, vcc, s14, v24
	v_addc_co_u32_e32 v25, vcc, v52, v25, vcc
	global_load_dwordx2 v[24:25], v[24:25], off
	s_waitcnt vmcnt(0)
	v_div_scale_f64 v[26:27], s[6:7], v[24:25], v[24:25], 1.0
	v_rcp_f64_e32 v[30:31], v[26:27]
	v_fma_f64 v[32:33], -v[26:27], v[30:31], 1.0
	v_fma_f64 v[30:31], v[30:31], v[32:33], v[30:31]
	v_fma_f64 v[32:33], -v[26:27], v[30:31], 1.0
	v_fma_f64 v[30:31], v[30:31], v[32:33], v[30:31]
	v_div_scale_f64 v[32:33], vcc, 1.0, v[24:25], 1.0
	v_mul_f64 v[34:35], v[32:33], v[30:31]
	v_fma_f64 v[26:27], -v[26:27], v[34:35], v[32:33]
	s_nop 1
	v_div_fmas_f64 v[26:27], v[26:27], v[30:31], v[34:35]
	v_div_fixup_f64 v[24:25], v[26:27], v[24:25], 1.0
	v_mul_f64 v[6:7], v[6:7], v[24:25]
	v_lshlrev_b64 v[24:25], 3, v[0:1]
	v_add_u32_e32 v0, s4, v0
	v_add_co_u32_e32 v26, vcc, s10, v24
	v_addc_co_u32_e32 v27, vcc, v51, v25, vcc
	global_load_dwordx2 v[26:27], v[26:27], off
	v_min_f64 v[6:7], v[6:7], s[0:1]
	v_add_co_u32_e32 v24, vcc, s12, v24
	v_addc_co_u32_e32 v25, vcc, v50, v25, vcc
	s_waitcnt vmcnt(0)
	v_mul_f64 v[6:7], v[26:27], v[6:7]
	global_store_dwordx2 v[24:25], v[6:7], off
	global_load_dwordx2 v[6:7], v[22:23], off
	s_waitcnt vmcnt(0)
	v_mul_f64 v[22:23], v[20:21], v[6:7]
	v_mul_f64 v[8:9], v[8:9], v[6:7]
	;; [unrolled: 1-line block ×3, first 2 shown]
	v_lshlrev_b64 v[2:3], 3, v[0:1]
	v_add_u32_e32 v0, s5, v0
	v_add_co_u32_e32 v2, vcc, s14, v2
	v_addc_co_u32_e32 v3, vcc, v52, v3, vcc
	global_load_dwordx2 v[2:3], v[2:3], off
	s_waitcnt vmcnt(0)
	v_div_scale_f64 v[26:27], s[6:7], v[2:3], v[2:3], 1.0
	v_rcp_f64_e32 v[30:31], v[26:27]
	v_fma_f64 v[32:33], -v[26:27], v[30:31], 1.0
	v_fma_f64 v[30:31], v[30:31], v[32:33], v[30:31]
	v_fma_f64 v[32:33], -v[26:27], v[30:31], 1.0
	v_fma_f64 v[30:31], v[30:31], v[32:33], v[30:31]
	v_div_scale_f64 v[32:33], vcc, 1.0, v[2:3], 1.0
	v_mul_f64 v[34:35], v[32:33], v[30:31]
	v_fma_f64 v[26:27], -v[26:27], v[34:35], v[32:33]
	s_nop 1
	v_div_fmas_f64 v[26:27], v[26:27], v[30:31], v[34:35]
	v_div_fixup_f64 v[26:27], v[26:27], v[2:3], 1.0
	v_mul_f64 v[24:25], v[24:25], v[26:27]
	v_lshlrev_b64 v[26:27], 3, v[0:1]
	v_add_u32_e32 v0, s2, v0
	v_add_co_u32_e32 v30, vcc, s10, v26
	v_addc_co_u32_e32 v31, vcc, v51, v27, vcc
	global_load_dwordx2 v[30:31], v[30:31], off
	v_min_f64 v[24:25], v[24:25], s[0:1]
	v_add_co_u32_e32 v26, vcc, s12, v26
	v_addc_co_u32_e32 v27, vcc, v50, v27, vcc
	s_waitcnt vmcnt(0)
	v_mul_f64 v[24:25], v[30:31], v[24:25]
	global_store_dwordx2 v[26:27], v[24:25], off
	v_div_scale_f64 v[24:25], s[4:5], v[14:15], v[14:15], 1.0
	v_rcp_f64_e32 v[26:27], v[24:25]
	v_fma_f64 v[30:31], -v[24:25], v[26:27], 1.0
	v_fma_f64 v[26:27], v[26:27], v[30:31], v[26:27]
	v_fma_f64 v[30:31], -v[24:25], v[26:27], 1.0
	v_fma_f64 v[26:27], v[26:27], v[30:31], v[26:27]
	v_div_scale_f64 v[30:31], vcc, 1.0, v[14:15], 1.0
	v_mul_f64 v[32:33], v[30:31], v[26:27]
	v_fma_f64 v[24:25], -v[24:25], v[32:33], v[30:31]
	s_nop 1
	v_div_fmas_f64 v[24:25], v[24:25], v[26:27], v[32:33]
	v_div_fixup_f64 v[14:15], v[24:25], v[14:15], 1.0
	v_mul_f64 v[14:15], v[22:23], v[14:15]
	v_lshlrev_b64 v[22:23], 3, v[0:1]
	v_add_u32_e32 v0, s2, v0
	v_add_co_u32_e32 v24, vcc, s10, v22
	v_addc_co_u32_e32 v25, vcc, v51, v23, vcc
	global_load_dwordx2 v[24:25], v[24:25], off
	v_min_f64 v[14:15], v[14:15], s[0:1]
	v_add_co_u32_e32 v22, vcc, s12, v22
	v_addc_co_u32_e32 v23, vcc, v50, v23, vcc
	s_waitcnt vmcnt(0)
	v_mul_f64 v[14:15], v[24:25], v[14:15]
	global_store_dwordx2 v[22:23], v[14:15], off
	global_load_dwordx2 v[14:15], v[16:17], off
	s_waitcnt vmcnt(0)
	v_mul_f64 v[14:15], v[28:29], v[14:15]
	v_div_scale_f64 v[16:17], s[4:5], v[14:15], v[14:15], 1.0
	v_rcp_f64_e32 v[22:23], v[16:17]
	v_fma_f64 v[24:25], -v[16:17], v[22:23], 1.0
	v_fma_f64 v[22:23], v[22:23], v[24:25], v[22:23]
	v_fma_f64 v[24:25], -v[16:17], v[22:23], 1.0
	v_fma_f64 v[22:23], v[22:23], v[24:25], v[22:23]
	v_div_scale_f64 v[24:25], vcc, 1.0, v[14:15], 1.0
	v_mul_f64 v[26:27], v[24:25], v[22:23]
	v_fma_f64 v[16:17], -v[16:17], v[26:27], v[24:25]
	s_nop 1
	v_div_fmas_f64 v[16:17], v[16:17], v[22:23], v[26:27]
	v_div_fixup_f64 v[14:15], v[16:17], v[14:15], 1.0
	v_lshlrev_b64 v[16:17], 3, v[0:1]
	v_add_u32_e32 v0, s2, v0
	v_add_co_u32_e32 v22, vcc, s10, v16
	v_addc_co_u32_e32 v23, vcc, v51, v17, vcc
	global_load_dwordx2 v[22:23], v[22:23], off
	v_mul_f64 v[14:15], v[8:9], v[14:15]
	v_add_co_u32_e32 v16, vcc, s12, v16
	v_addc_co_u32_e32 v17, vcc, v50, v17, vcc
	v_min_f64 v[14:15], v[14:15], s[0:1]
	s_waitcnt vmcnt(0)
	v_mul_f64 v[14:15], v[22:23], v[14:15]
	global_store_dwordx2 v[16:17], v[14:15], off
	global_load_dwordx2 v[14:15], v[18:19], off
	s_waitcnt vmcnt(0)
	v_mul_f64 v[14:15], v[20:21], v[14:15]
	v_div_scale_f64 v[16:17], s[4:5], v[14:15], v[14:15], 1.0
	v_rcp_f64_e32 v[18:19], v[16:17]
	v_fma_f64 v[20:21], -v[16:17], v[18:19], 1.0
	v_fma_f64 v[18:19], v[18:19], v[20:21], v[18:19]
	v_fma_f64 v[20:21], -v[16:17], v[18:19], 1.0
	v_fma_f64 v[18:19], v[18:19], v[20:21], v[18:19]
	v_div_scale_f64 v[20:21], vcc, 1.0, v[14:15], 1.0
	v_mul_f64 v[22:23], v[20:21], v[18:19]
	v_fma_f64 v[16:17], -v[16:17], v[22:23], v[20:21]
	s_nop 1
	v_div_fmas_f64 v[16:17], v[16:17], v[18:19], v[22:23]
	v_div_fixup_f64 v[14:15], v[16:17], v[14:15], 1.0
	v_mul_f64 v[8:9], v[8:9], v[14:15]
	v_lshlrev_b64 v[14:15], 3, v[0:1]
	v_add_u32_e32 v0, s2, v0
	v_add_co_u32_e32 v16, vcc, s10, v14
	v_addc_co_u32_e32 v17, vcc, v51, v15, vcc
	global_load_dwordx2 v[16:17], v[16:17], off
	v_min_f64 v[8:9], v[8:9], s[0:1]
	v_add_co_u32_e32 v14, vcc, s12, v14
	v_addc_co_u32_e32 v15, vcc, v50, v15, vcc
	s_waitcnt vmcnt(0)
	v_mul_f64 v[8:9], v[16:17], v[8:9]
	global_store_dwordx2 v[14:15], v[8:9], off
	v_div_scale_f64 v[14:15], s[4:5], v[4:5], v[4:5], 1.0
	global_load_dwordx2 v[8:9], v[10:11], off
	v_rcp_f64_e32 v[16:17], v[14:15]
	v_fma_f64 v[18:19], -v[14:15], v[16:17], 1.0
	v_fma_f64 v[16:17], v[16:17], v[18:19], v[16:17]
	v_fma_f64 v[18:19], -v[14:15], v[16:17], 1.0
	v_fma_f64 v[16:17], v[16:17], v[18:19], v[16:17]
	v_div_scale_f64 v[18:19], vcc, 1.0, v[4:5], 1.0
	v_mul_f64 v[20:21], v[18:19], v[16:17]
	v_fma_f64 v[14:15], -v[14:15], v[20:21], v[18:19]
	s_waitcnt vmcnt(0)
	v_mul_f64 v[10:11], v[8:9], v[6:7]
	v_mul_f64 v[2:3], v[8:9], v[2:3]
	v_div_fmas_f64 v[14:15], v[14:15], v[16:17], v[20:21]
	v_div_fixup_f64 v[4:5], v[14:15], v[4:5], 1.0
	v_mul_f64 v[4:5], v[10:11], v[4:5]
	v_lshlrev_b64 v[10:11], 3, v[0:1]
	v_add_u32_e32 v0, s2, v0
	v_add_co_u32_e32 v14, vcc, s10, v10
	v_addc_co_u32_e32 v15, vcc, v51, v11, vcc
	global_load_dwordx2 v[14:15], v[14:15], off
	v_min_f64 v[4:5], v[4:5], s[0:1]
	v_add_co_u32_e32 v10, vcc, s12, v10
	v_addc_co_u32_e32 v11, vcc, v50, v11, vcc
	v_lshlrev_b64 v[0:1], 3, v[0:1]
	s_waitcnt vmcnt(0)
	v_mul_f64 v[4:5], v[14:15], v[4:5]
	global_store_dwordx2 v[10:11], v[4:5], off
	v_mul_f64 v[4:5], v[12:13], v[6:7]
	v_div_scale_f64 v[6:7], s[4:5], v[2:3], v[2:3], 1.0
	v_rcp_f64_e32 v[8:9], v[6:7]
	v_fma_f64 v[10:11], -v[6:7], v[8:9], 1.0
	v_fma_f64 v[8:9], v[8:9], v[10:11], v[8:9]
	v_fma_f64 v[10:11], -v[6:7], v[8:9], 1.0
	v_fma_f64 v[8:9], v[8:9], v[10:11], v[8:9]
	v_div_scale_f64 v[10:11], vcc, 1.0, v[2:3], 1.0
	v_mul_f64 v[12:13], v[10:11], v[8:9]
	v_fma_f64 v[6:7], -v[6:7], v[12:13], v[10:11]
	s_nop 1
	v_div_fmas_f64 v[6:7], v[6:7], v[8:9], v[12:13]
	v_div_fixup_f64 v[2:3], v[6:7], v[2:3], 1.0
	v_mul_f64 v[2:3], v[4:5], v[2:3]
	v_add_co_u32_e32 v4, vcc, s10, v0
	v_addc_co_u32_e32 v5, vcc, v51, v1, vcc
	global_load_dwordx2 v[4:5], v[4:5], off
	v_add_co_u32_e32 v0, vcc, s12, v0
	v_min_f64 v[2:3], v[2:3], s[0:1]
	v_addc_co_u32_e32 v1, vcc, v50, v1, vcc
	s_waitcnt vmcnt(0)
	v_mul_f64 v[2:3], v[4:5], v[2:3]
	global_store_dwordx2 v[0:1], v[2:3], off
	s_endpgm
	.section	.rodata,"a",@progbits
	.p2align	6, 0x0
	.amdhsa_kernel _Z12ratt8_kernelIdEvPKT_S2_PS0_S2_S0_
		.amdhsa_group_segment_fixed_size 0
		.amdhsa_private_segment_fixed_size 0
		.amdhsa_kernarg_size 296
		.amdhsa_user_sgpr_count 6
		.amdhsa_user_sgpr_private_segment_buffer 1
		.amdhsa_user_sgpr_dispatch_ptr 0
		.amdhsa_user_sgpr_queue_ptr 0
		.amdhsa_user_sgpr_kernarg_segment_ptr 1
		.amdhsa_user_sgpr_dispatch_id 0
		.amdhsa_user_sgpr_flat_scratch_init 0
		.amdhsa_user_sgpr_private_segment_size 0
		.amdhsa_uses_dynamic_stack 0
		.amdhsa_system_sgpr_private_segment_wavefront_offset 0
		.amdhsa_system_sgpr_workgroup_id_x 1
		.amdhsa_system_sgpr_workgroup_id_y 0
		.amdhsa_system_sgpr_workgroup_id_z 0
		.amdhsa_system_sgpr_workgroup_info 0
		.amdhsa_system_vgpr_workitem_id 0
		.amdhsa_next_free_vgpr 63
		.amdhsa_next_free_sgpr 18
		.amdhsa_reserve_vcc 1
		.amdhsa_reserve_flat_scratch 0
		.amdhsa_float_round_mode_32 0
		.amdhsa_float_round_mode_16_64 0
		.amdhsa_float_denorm_mode_32 3
		.amdhsa_float_denorm_mode_16_64 3
		.amdhsa_dx10_clamp 1
		.amdhsa_ieee_mode 1
		.amdhsa_fp16_overflow 0
		.amdhsa_exception_fp_ieee_invalid_op 0
		.amdhsa_exception_fp_denorm_src 0
		.amdhsa_exception_fp_ieee_div_zero 0
		.amdhsa_exception_fp_ieee_overflow 0
		.amdhsa_exception_fp_ieee_underflow 0
		.amdhsa_exception_fp_ieee_inexact 0
		.amdhsa_exception_int_div_zero 0
	.end_amdhsa_kernel
	.section	.text._Z12ratt8_kernelIdEvPKT_S2_PS0_S2_S0_,"axG",@progbits,_Z12ratt8_kernelIdEvPKT_S2_PS0_S2_S0_,comdat
.Lfunc_end36:
	.size	_Z12ratt8_kernelIdEvPKT_S2_PS0_S2_S0_, .Lfunc_end36-_Z12ratt8_kernelIdEvPKT_S2_PS0_S2_S0_
                                        ; -- End function
	.set _Z12ratt8_kernelIdEvPKT_S2_PS0_S2_S0_.num_vgpr, 63
	.set _Z12ratt8_kernelIdEvPKT_S2_PS0_S2_S0_.num_agpr, 0
	.set _Z12ratt8_kernelIdEvPKT_S2_PS0_S2_S0_.numbered_sgpr, 18
	.set _Z12ratt8_kernelIdEvPKT_S2_PS0_S2_S0_.num_named_barrier, 0
	.set _Z12ratt8_kernelIdEvPKT_S2_PS0_S2_S0_.private_seg_size, 0
	.set _Z12ratt8_kernelIdEvPKT_S2_PS0_S2_S0_.uses_vcc, 1
	.set _Z12ratt8_kernelIdEvPKT_S2_PS0_S2_S0_.uses_flat_scratch, 0
	.set _Z12ratt8_kernelIdEvPKT_S2_PS0_S2_S0_.has_dyn_sized_stack, 0
	.set _Z12ratt8_kernelIdEvPKT_S2_PS0_S2_S0_.has_recursion, 0
	.set _Z12ratt8_kernelIdEvPKT_S2_PS0_S2_S0_.has_indirect_call, 0
	.section	.AMDGPU.csdata,"",@progbits
; Kernel info:
; codeLenInByte = 5716
; TotalNumSgprs: 22
; NumVgprs: 63
; ScratchSize: 0
; MemoryBound: 0
; FloatMode: 240
; IeeeMode: 1
; LDSByteSize: 0 bytes/workgroup (compile time only)
; SGPRBlocks: 2
; VGPRBlocks: 15
; NumSGPRsForWavesPerEU: 22
; NumVGPRsForWavesPerEU: 63
; Occupancy: 4
; WaveLimiterHint : 0
; COMPUTE_PGM_RSRC2:SCRATCH_EN: 0
; COMPUTE_PGM_RSRC2:USER_SGPR: 6
; COMPUTE_PGM_RSRC2:TRAP_HANDLER: 0
; COMPUTE_PGM_RSRC2:TGID_X_EN: 1
; COMPUTE_PGM_RSRC2:TGID_Y_EN: 0
; COMPUTE_PGM_RSRC2:TGID_Z_EN: 0
; COMPUTE_PGM_RSRC2:TIDIG_COMP_CNT: 0
	.section	.text._Z12ratt9_kernelIdEvPKT_S2_PS0_S2_S0_,"axG",@progbits,_Z12ratt9_kernelIdEvPKT_S2_PS0_S2_S0_,comdat
	.protected	_Z12ratt9_kernelIdEvPKT_S2_PS0_S2_S0_ ; -- Begin function _Z12ratt9_kernelIdEvPKT_S2_PS0_S2_S0_
	.globl	_Z12ratt9_kernelIdEvPKT_S2_PS0_S2_S0_
	.p2align	8
	.type	_Z12ratt9_kernelIdEvPKT_S2_PS0_S2_S0_,@function
_Z12ratt9_kernelIdEvPKT_S2_PS0_S2_S0_:  ; @_Z12ratt9_kernelIdEvPKT_S2_PS0_S2_S0_
; %bb.0:
	s_mov_b64 s[18:19], s[2:3]
	s_mov_b64 s[16:17], s[0:1]
	s_load_dwordx8 s[8:15], s[4:5], 0x0
	s_load_dwordx2 s[0:1], s[4:5], 0x20
	s_load_dword s2, s[4:5], 0x28
	s_load_dword s3, s[4:5], 0x34
	s_add_u32 s16, s16, s7
	s_addc_u32 s17, s17, 0
	v_mov_b32_e32 v1, 0
	s_waitcnt lgkmcnt(0)
	v_mov_b32_e32 v3, s9
	s_and_b32 s3, s3, 0xffff
	s_mul_i32 s6, s6, s3
	v_add_u32_e32 v0, s6, v0
	v_lshlrev_b64 v[14:15], 3, v[0:1]
	s_mul_i32 s2, s2, s3
	v_add_co_u32_e32 v2, vcc, s8, v14
	v_addc_co_u32_e32 v3, vcc, v3, v15, vcc
	global_load_dwordx2 v[2:3], v[2:3], off
	v_mov_b32_e32 v56, s15
	s_mul_i32 s4, s2, 0x9a
	v_mov_b32_e32 v16, s11
	v_mov_b32_e32 v63, s13
	s_mul_i32 s3, s2, 0xffffff55
	s_mul_i32 s5, s2, 0xa0
	s_waitcnt vmcnt(0)
	v_mul_f64 v[2:3], s[0:1], v[2:3]
	s_brev_b32 s0, 12
	s_mov_b32 s1, 0x4193d2c6
	v_mul_f64 v[2:3], v[2:3], s[0:1]
	v_div_scale_f64 v[4:5], s[0:1], v[2:3], v[2:3], 1.0
	s_mov_b32 s0, 0
	s_mov_b32 s1, 0x412eec04
	v_rcp_f64_e32 v[6:7], v[4:5]
	v_fma_f64 v[8:9], -v[4:5], v[6:7], 1.0
	v_fma_f64 v[6:7], v[6:7], v[8:9], v[6:7]
	v_fma_f64 v[8:9], -v[4:5], v[6:7], 1.0
	v_fma_f64 v[6:7], v[6:7], v[8:9], v[6:7]
	v_div_scale_f64 v[8:9], vcc, 1.0, v[2:3], 1.0
	v_mul_f64 v[10:11], v[8:9], v[6:7]
	v_fma_f64 v[4:5], -v[4:5], v[10:11], v[8:9]
	s_nop 1
	v_div_fmas_f64 v[4:5], v[4:5], v[6:7], v[10:11]
	v_div_fixup_f64 v[2:3], v[4:5], v[2:3], 1.0
	v_mov_b32_e32 v5, v1
	v_mul_f64 v[17:18], v[2:3], s[0:1]
	v_mad_u64_u32 v[2:3], s[0:1], s2, 6, v[0:1]
	v_mov_b32_e32 v3, v1
	v_add_u32_e32 v0, s2, v0
	v_lshlrev_b64 v[3:4], 3, v[2:3]
	v_add_co_u32_e32 v20, vcc, s14, v3
	v_addc_co_u32_e32 v21, vcc, v56, v4, vcc
	v_lshl_add_u32 v4, s2, 4, v2
	v_lshlrev_b64 v[2:3], 3, v[4:5]
	v_mad_u64_u32 v[4:5], s[0:1], s2, -15, v[4:5]
	v_mov_b32_e32 v5, v1
	v_add_co_u32_e32 v12, vcc, s14, v2
	v_lshlrev_b64 v[10:11], 3, v[4:5]
	v_addc_co_u32_e32 v13, vcc, v56, v3, vcc
	v_add_co_u32_e32 v5, vcc, s14, v10
	v_addc_co_u32_e32 v6, vcc, v56, v11, vcc
	global_load_dwordx2 v[8:9], v[20:21], off
	global_load_dwordx2 v[2:3], v[12:13], off
	s_nop 0
	buffer_store_dword v5, off, s[16:19], 0 ; 4-byte Folded Spill
	s_nop 0
	buffer_store_dword v6, off, s[16:19], 0 offset:4 ; 4-byte Folded Spill
	s_waitcnt vmcnt(2)
	v_mul_f64 v[24:25], v[8:9], v[2:3]
	global_load_dwordx2 v[26:27], v[5:6], off
	v_mad_u64_u32 v[4:5], s[0:1], s2, 14, v[4:5]
	v_mov_b32_e32 v5, v1
	v_lshlrev_b64 v[10:11], 3, v[4:5]
	v_add_u32_e32 v4, s4, v4
	v_add_co_u32_e32 v10, vcc, s14, v10
	v_addc_co_u32_e32 v11, vcc, v56, v11, vcc
	global_load_dwordx2 v[5:6], v[10:11], off
	s_waitcnt vmcnt(0)
	buffer_store_dword v5, off, s[16:19], 0 offset:8 ; 4-byte Folded Spill
	s_nop 0
	buffer_store_dword v6, off, s[16:19], 0 offset:12 ; 4-byte Folded Spill
	v_mul_f64 v[10:11], v[26:27], v[5:6]
	v_mov_b32_e32 v5, v1
	v_div_scale_f64 v[22:23], s[0:1], v[10:11], v[10:11], 1.0
	s_mov_b32 s0, 0x4357691b
	s_mov_b32 s1, 0x479e17b8
	v_rcp_f64_e32 v[28:29], v[22:23]
	v_fma_f64 v[30:31], -v[22:23], v[28:29], 1.0
	v_fma_f64 v[28:29], v[28:29], v[30:31], v[28:29]
	v_fma_f64 v[30:31], -v[22:23], v[28:29], 1.0
	v_fma_f64 v[28:29], v[28:29], v[30:31], v[28:29]
	v_div_scale_f64 v[30:31], vcc, 1.0, v[10:11], 1.0
	v_mul_f64 v[32:33], v[30:31], v[28:29]
	v_fma_f64 v[22:23], -v[22:23], v[32:33], v[30:31]
	s_nop 1
	v_div_fmas_f64 v[22:23], v[22:23], v[28:29], v[32:33]
	v_div_fixup_f64 v[10:11], v[22:23], v[10:11], 1.0
	v_lshlrev_b64 v[22:23], 3, v[4:5]
	v_add_u32_e32 v4, s3, v4
	v_add_co_u32_e32 v28, vcc, s10, v22
	v_addc_co_u32_e32 v29, vcc, v16, v23, vcc
	global_load_dwordx2 v[28:29], v[28:29], off
	v_mul_f64 v[10:11], v[24:25], v[10:11]
	v_add_co_u32_e32 v22, vcc, s12, v22
	v_addc_co_u32_e32 v23, vcc, v63, v23, vcc
	v_min_f64 v[10:11], v[10:11], s[0:1]
	s_waitcnt vmcnt(0)
	v_mul_f64 v[10:11], v[28:29], v[10:11]
	global_store_dwordx2 v[22:23], v[10:11], off
	v_lshlrev_b64 v[10:11], 3, v[4:5]
	v_add_co_u32_e32 v22, vcc, s14, v10
	v_addc_co_u32_e32 v23, vcc, v56, v11, vcc
	v_mad_u64_u32 v[10:11], s[6:7], s2, 7, v[4:5]
	v_mov_b32_e32 v11, v1
	global_load_dwordx2 v[32:33], v[22:23], off
	v_lshlrev_b64 v[4:5], 3, v[10:11]
	v_mad_u64_u32 v[30:31], s[6:7], s2, 5, v[10:11]
	v_add_co_u32_e32 v4, vcc, s14, v4
	v_addc_co_u32_e32 v5, vcc, v56, v5, vcc
	buffer_store_dword v4, off, s[16:19], 0 offset:16 ; 4-byte Folded Spill
	s_nop 0
	buffer_store_dword v5, off, s[16:19], 0 offset:20 ; 4-byte Folded Spill
	v_mov_b32_e32 v31, v1
	v_lshlrev_b64 v[10:11], 3, v[30:31]
	v_add_co_u32_e32 v10, vcc, s14, v10
	v_addc_co_u32_e32 v11, vcc, v56, v11, vcc
	global_load_dwordx2 v[40:41], v[10:11], off
	global_load_dwordx2 v[34:35], v[4:5], off
	s_waitcnt vmcnt(0)
	v_mul_f64 v[28:29], v[32:33], v[34:35]
	v_mul_f64 v[28:29], v[28:29], v[40:41]
	;; [unrolled: 1-line block ×3, first 2 shown]
	v_div_scale_f64 v[36:37], s[6:7], v[28:29], v[28:29], 1.0
	v_rcp_f64_e32 v[38:39], v[36:37]
	v_fma_f64 v[42:43], -v[36:37], v[38:39], 1.0
	v_fma_f64 v[38:39], v[38:39], v[42:43], v[38:39]
	v_fma_f64 v[42:43], -v[36:37], v[38:39], 1.0
	v_fma_f64 v[38:39], v[38:39], v[42:43], v[38:39]
	v_div_scale_f64 v[42:43], vcc, 1.0, v[28:29], 1.0
	v_mul_f64 v[44:45], v[42:43], v[38:39]
	v_fma_f64 v[36:37], -v[36:37], v[44:45], v[42:43]
	s_nop 1
	v_div_fmas_f64 v[36:37], v[36:37], v[38:39], v[44:45]
	v_div_fixup_f64 v[28:29], v[36:37], v[28:29], 1.0
	v_mul_f64 v[24:25], v[24:25], v[28:29]
	v_add_u32_e32 v28, s5, v30
	v_mov_b32_e32 v29, v1
	v_lshlrev_b64 v[29:30], 3, v[28:29]
	s_mul_i32 s5, s2, 0xffffff67
	v_add_co_u32_e32 v36, vcc, s10, v29
	v_addc_co_u32_e32 v37, vcc, v16, v30, vcc
	global_load_dwordx2 v[36:37], v[36:37], off
	v_min_f64 v[24:25], v[24:25], s[0:1]
	v_add_co_u32_e32 v29, vcc, s12, v29
	v_addc_co_u32_e32 v30, vcc, v63, v30, vcc
	s_waitcnt vmcnt(0)
	v_mul_f64 v[24:25], v[36:37], v[24:25]
	global_store_dwordx2 v[29:30], v[24:25], off
	v_mul_f64 v[24:25], v[2:3], v[26:27]
	v_add_u32_e32 v26, s5, v28
	v_mov_b32_e32 v27, v1
	v_lshlrev_b64 v[27:28], 3, v[26:27]
	v_add_u32_e32 v26, s4, v26
	v_add_co_u32_e32 v27, vcc, s14, v27
	v_addc_co_u32_e32 v28, vcc, v56, v28, vcc
	global_load_dwordx2 v[28:29], v[27:28], off
	v_mov_b32_e32 v27, v1
	s_mul_i32 s4, s2, 0xffffff5e
	s_waitcnt vmcnt(0)
	v_mul_f64 v[30:31], v[8:9], v[28:29]
	v_div_scale_f64 v[36:37], s[6:7], v[30:31], v[30:31], 1.0
	s_mul_i32 s6, s2, 0xb2
	v_rcp_f64_e32 v[38:39], v[36:37]
	v_fma_f64 v[42:43], -v[36:37], v[38:39], 1.0
	v_fma_f64 v[38:39], v[38:39], v[42:43], v[38:39]
	v_fma_f64 v[42:43], -v[36:37], v[38:39], 1.0
	v_fma_f64 v[38:39], v[38:39], v[42:43], v[38:39]
	v_div_scale_f64 v[42:43], vcc, 1.0, v[30:31], 1.0
	v_mul_f64 v[44:45], v[42:43], v[38:39]
	v_fma_f64 v[36:37], -v[36:37], v[44:45], v[42:43]
	s_nop 1
	v_div_fmas_f64 v[36:37], v[36:37], v[38:39], v[44:45]
	v_div_fixup_f64 v[30:31], v[36:37], v[30:31], 1.0
	v_mul_f64 v[24:25], v[24:25], v[30:31]
	v_lshlrev_b64 v[30:31], 3, v[26:27]
	v_add_co_u32_e32 v36, vcc, s10, v30
	v_addc_co_u32_e32 v37, vcc, v16, v31, vcc
	global_load_dwordx2 v[36:37], v[36:37], off
	v_min_f64 v[24:25], v[24:25], s[0:1]
	v_add_co_u32_e32 v30, vcc, s12, v30
	v_addc_co_u32_e32 v31, vcc, v63, v31, vcc
	s_waitcnt vmcnt(0)
	v_mul_f64 v[24:25], v[36:37], v[24:25]
	global_store_dwordx2 v[30:31], v[24:25], off
	v_add_u32_e32 v24, s4, v26
	v_mov_b32_e32 v25, v1
	v_lshlrev_b64 v[25:26], 3, v[24:25]
	s_lshl_b32 s4, s2, 1
	v_subrev_u32_e32 v30, s4, v24
	v_mov_b32_e32 v31, v1
	v_add_co_u32_e32 v42, vcc, s14, v25
	v_lshlrev_b64 v[36:37], 3, v[30:31]
	v_addc_co_u32_e32 v43, vcc, v56, v26, vcc
	v_add_co_u32_e32 v36, vcc, s14, v36
	v_addc_co_u32_e32 v37, vcc, v56, v37, vcc
	global_load_dwordx2 v[46:47], v[42:43], off
	global_load_dwordx2 v[48:49], v[36:37], off
	s_waitcnt vmcnt(1)
	v_mul_f64 v[25:26], v[2:3], v[46:47]
	s_waitcnt vmcnt(0)
	v_mul_f64 v[36:37], v[28:29], v[48:49]
	v_div_scale_f64 v[38:39], s[4:5], v[36:37], v[36:37], 1.0
	s_mul_i32 s4, s2, 0xa5
	v_rcp_f64_e32 v[44:45], v[38:39]
	v_fma_f64 v[50:51], -v[38:39], v[44:45], 1.0
	v_fma_f64 v[44:45], v[44:45], v[50:51], v[44:45]
	v_fma_f64 v[50:51], -v[38:39], v[44:45], 1.0
	v_fma_f64 v[44:45], v[44:45], v[50:51], v[44:45]
	v_div_scale_f64 v[50:51], vcc, 1.0, v[36:37], 1.0
	v_mul_f64 v[52:53], v[50:51], v[44:45]
	v_fma_f64 v[38:39], -v[38:39], v[52:53], v[50:51]
	s_nop 1
	v_div_fmas_f64 v[38:39], v[38:39], v[44:45], v[52:53]
	v_div_fixup_f64 v[36:37], v[38:39], v[36:37], 1.0
	v_mul_f64 v[24:25], v[25:26], v[36:37]
	v_add_u32_e32 v26, s4, v30
	v_lshlrev_b64 v[26:27], 3, v[26:27]
	v_add_co_u32_e32 v30, vcc, s10, v26
	v_addc_co_u32_e32 v31, vcc, v16, v27, vcc
	global_load_dwordx2 v[30:31], v[30:31], off
	v_min_f64 v[24:25], v[24:25], s[0:1]
	v_add_co_u32_e32 v26, vcc, s12, v26
	v_addc_co_u32_e32 v27, vcc, v63, v27, vcc
	s_waitcnt vmcnt(0)
	v_mul_f64 v[24:25], v[30:31], v[24:25]
	global_store_dwordx2 v[26:27], v[24:25], off
	v_lshlrev_b64 v[24:25], 3, v[0:1]
	v_add_u32_e32 v0, s6, v0
	v_add_co_u32_e32 v38, vcc, s14, v24
	v_addc_co_u32_e32 v39, vcc, v56, v25, vcc
	v_add_co_u32_e32 v24, vcc, s14, v14
	v_addc_co_u32_e32 v25, vcc, v56, v15, vcc
	global_load_dwordx2 v[36:37], v[38:39], off
	global_load_dwordx2 v[14:15], v[24:25], off
	s_waitcnt vmcnt(1)
	v_mul_f64 v[26:27], v[28:29], v[36:37]
	s_waitcnt vmcnt(0)
	v_mul_f64 v[14:15], v[2:3], v[14:15]
	v_div_scale_f64 v[30:31], s[4:5], v[14:15], v[14:15], 1.0
	s_mul_i32 s4, s2, 0xffffff4f
	v_rcp_f64_e32 v[44:45], v[30:31]
	v_fma_f64 v[50:51], -v[30:31], v[44:45], 1.0
	v_fma_f64 v[44:45], v[44:45], v[50:51], v[44:45]
	v_fma_f64 v[50:51], -v[30:31], v[44:45], 1.0
	v_fma_f64 v[44:45], v[44:45], v[50:51], v[44:45]
	v_div_scale_f64 v[50:51], vcc, 1.0, v[14:15], 1.0
	v_mul_f64 v[52:53], v[50:51], v[44:45]
	v_fma_f64 v[30:31], -v[30:31], v[52:53], v[50:51]
	s_nop 1
	v_div_fmas_f64 v[30:31], v[30:31], v[44:45], v[52:53]
	v_div_fixup_f64 v[14:15], v[30:31], v[14:15], 1.0
	v_mul_f64 v[14:15], v[26:27], v[14:15]
	v_lshlrev_b64 v[26:27], 3, v[0:1]
	v_add_u32_e32 v0, s4, v0
	v_add_co_u32_e32 v30, vcc, s10, v26
	v_addc_co_u32_e32 v31, vcc, v16, v27, vcc
	global_load_dwordx2 v[30:31], v[30:31], off
	v_min_f64 v[14:15], v[14:15], s[0:1]
	v_add_co_u32_e32 v26, vcc, s12, v26
	v_addc_co_u32_e32 v27, vcc, v63, v27, vcc
	s_waitcnt vmcnt(0)
	v_mul_f64 v[14:15], v[30:31], v[14:15]
	v_mul_f64 v[30:31], v[2:3], v[32:33]
	global_store_dwordx2 v[26:27], v[14:15], off
	v_div_scale_f64 v[44:45], s[4:5], v[30:31], v[30:31], 1.0
	v_lshlrev_b64 v[14:15], 3, v[0:1]
	v_add_u32_e32 v0, s6, v0
	v_add_co_u32_e32 v26, vcc, s14, v14
	v_addc_co_u32_e32 v27, vcc, v56, v15, vcc
	global_load_dwordx2 v[14:15], v[26:27], off
	s_mul_i32 s4, s2, 0xffffff51
	s_mul_i32 s6, s2, 0xa7
	v_rcp_f64_e32 v[50:51], v[44:45]
	v_fma_f64 v[52:53], -v[44:45], v[50:51], 1.0
	v_fma_f64 v[50:51], v[50:51], v[52:53], v[50:51]
	v_fma_f64 v[52:53], -v[44:45], v[50:51], 1.0
	v_fma_f64 v[50:51], v[50:51], v[52:53], v[50:51]
	v_div_scale_f64 v[52:53], vcc, 1.0, v[30:31], 1.0
	v_mul_f64 v[57:58], v[52:53], v[50:51]
	v_fma_f64 v[44:45], -v[44:45], v[57:58], v[52:53]
	s_waitcnt vmcnt(0)
	v_mul_f64 v[14:15], v[28:29], v[14:15]
	v_div_fmas_f64 v[44:45], v[44:45], v[50:51], v[57:58]
	v_div_fixup_f64 v[30:31], v[44:45], v[30:31], 1.0
	v_mul_f64 v[14:15], v[30:31], v[14:15]
	v_lshlrev_b64 v[30:31], 3, v[0:1]
	v_add_u32_e32 v0, s4, v0
	v_add_co_u32_e32 v44, vcc, s10, v30
	v_addc_co_u32_e32 v45, vcc, v16, v31, vcc
	global_load_dwordx2 v[44:45], v[44:45], off
	v_min_f64 v[14:15], v[14:15], s[0:1]
	v_add_co_u32_e32 v30, vcc, s12, v30
	v_addc_co_u32_e32 v31, vcc, v63, v31, vcc
	s_waitcnt vmcnt(0)
	v_mul_f64 v[14:15], v[44:45], v[14:15]
	global_store_dwordx2 v[30:31], v[14:15], off
	v_lshlrev_b64 v[30:31], 3, v[0:1]
	v_mul_f64 v[14:15], v[32:33], v[28:29]
	v_add_co_u32_e32 v44, vcc, s14, v30
	v_addc_co_u32_e32 v45, vcc, v56, v31, vcc
	global_load_dwordx2 v[30:31], v[44:45], off
	s_waitcnt vmcnt(0)
	v_mul_f64 v[30:31], v[2:3], v[30:31]
	v_div_scale_f64 v[50:51], s[4:5], v[30:31], v[30:31], 1.0
	s_mul_i32 s4, s2, 0xb0
	v_add_u32_e32 v0, s4, v0
	v_rcp_f64_e32 v[52:53], v[50:51]
	v_fma_f64 v[57:58], -v[50:51], v[52:53], 1.0
	v_fma_f64 v[52:53], v[52:53], v[57:58], v[52:53]
	v_fma_f64 v[57:58], -v[50:51], v[52:53], 1.0
	v_fma_f64 v[52:53], v[52:53], v[57:58], v[52:53]
	v_div_scale_f64 v[57:58], vcc, 1.0, v[30:31], 1.0
	v_mul_f64 v[59:60], v[57:58], v[52:53]
	v_fma_f64 v[50:51], -v[50:51], v[59:60], v[57:58]
	s_nop 1
	v_div_fmas_f64 v[50:51], v[50:51], v[52:53], v[59:60]
	v_div_fixup_f64 v[30:31], v[50:51], v[30:31], 1.0
	v_mul_f64 v[14:15], v[14:15], v[30:31]
	v_lshlrev_b64 v[30:31], 3, v[0:1]
	v_add_u32_e32 v0, s3, v0
	v_add_co_u32_e32 v50, vcc, s10, v30
	v_addc_co_u32_e32 v51, vcc, v16, v31, vcc
	global_load_dwordx2 v[50:51], v[50:51], off
	v_min_f64 v[14:15], v[14:15], s[0:1]
	v_add_co_u32_e32 v30, vcc, s12, v30
	v_addc_co_u32_e32 v31, vcc, v63, v31, vcc
	s_mul_i32 s3, s2, 0xac
	s_waitcnt vmcnt(0)
	v_mul_f64 v[14:15], v[50:51], v[14:15]
	global_store_dwordx2 v[30:31], v[14:15], off
	v_mul_f64 v[30:31], v[2:3], v[34:35]
	v_lshlrev_b64 v[14:15], 3, v[0:1]
	v_add_u32_e32 v0, s3, v0
	v_add_co_u32_e32 v14, vcc, s14, v14
	v_addc_co_u32_e32 v15, vcc, v56, v15, vcc
	global_load_dwordx2 v[14:15], v[14:15], off
	v_div_scale_f64 v[50:51], s[4:5], v[30:31], v[30:31], 1.0
	s_mul_i32 s3, s2, 0xffffff56
	v_rcp_f64_e32 v[52:53], v[50:51]
	v_fma_f64 v[57:58], -v[50:51], v[52:53], 1.0
	v_fma_f64 v[52:53], v[52:53], v[57:58], v[52:53]
	v_fma_f64 v[57:58], -v[50:51], v[52:53], 1.0
	v_fma_f64 v[52:53], v[52:53], v[57:58], v[52:53]
	v_div_scale_f64 v[57:58], vcc, 1.0, v[30:31], 1.0
	v_mul_f64 v[59:60], v[57:58], v[52:53]
	s_waitcnt vmcnt(0)
	v_mul_f64 v[14:15], v[28:29], v[14:15]
	v_fma_f64 v[50:51], -v[50:51], v[59:60], v[57:58]
	v_div_fmas_f64 v[50:51], v[50:51], v[52:53], v[59:60]
	v_div_fixup_f64 v[30:31], v[50:51], v[30:31], 1.0
	v_mul_f64 v[14:15], v[30:31], v[14:15]
	v_lshlrev_b64 v[30:31], 3, v[0:1]
	v_add_u32_e32 v0, s3, v0
	v_add_co_u32_e32 v50, vcc, s10, v30
	v_addc_co_u32_e32 v51, vcc, v16, v31, vcc
	global_load_dwordx2 v[50:51], v[50:51], off
	v_min_f64 v[14:15], v[14:15], s[0:1]
	v_add_co_u32_e32 v30, vcc, s12, v30
	v_addc_co_u32_e32 v31, vcc, v63, v31, vcc
	s_mul_i32 s3, s2, 0xab
	s_waitcnt vmcnt(0)
	v_mul_f64 v[14:15], v[50:51], v[14:15]
	global_store_dwordx2 v[30:31], v[14:15], off
	v_mul_f64 v[14:15], v[34:35], v[28:29]
	v_lshlrev_b64 v[28:29], 3, v[0:1]
	v_add_u32_e32 v0, s3, v0
	v_add_co_u32_e32 v30, vcc, s14, v28
	v_addc_co_u32_e32 v31, vcc, v56, v29, vcc
	global_load_dwordx2 v[57:58], v[30:31], off
	s_mul_i32 s3, s2, 0xffffff65
	s_waitcnt vmcnt(0)
	v_mul_f64 v[2:3], v[2:3], v[57:58]
	v_div_scale_f64 v[28:29], s[4:5], v[2:3], v[2:3], 1.0
	v_rcp_f64_e32 v[50:51], v[28:29]
	v_fma_f64 v[52:53], -v[28:29], v[50:51], 1.0
	v_fma_f64 v[50:51], v[50:51], v[52:53], v[50:51]
	v_fma_f64 v[52:53], -v[28:29], v[50:51], 1.0
	v_fma_f64 v[50:51], v[50:51], v[52:53], v[50:51]
	v_div_scale_f64 v[52:53], vcc, 1.0, v[2:3], 1.0
	v_mul_f64 v[59:60], v[52:53], v[50:51]
	v_fma_f64 v[28:29], -v[28:29], v[59:60], v[52:53]
	s_nop 1
	v_div_fmas_f64 v[28:29], v[28:29], v[50:51], v[59:60]
	v_div_fixup_f64 v[2:3], v[28:29], v[2:3], 1.0
	v_mul_f64 v[2:3], v[14:15], v[2:3]
	v_lshlrev_b64 v[14:15], 3, v[0:1]
	v_add_u32_e32 v0, s3, v0
	v_add_co_u32_e32 v28, vcc, s10, v14
	v_addc_co_u32_e32 v29, vcc, v16, v15, vcc
	global_load_dwordx2 v[28:29], v[28:29], off
	v_min_f64 v[2:3], v[2:3], s[0:1]
	v_add_co_u32_e32 v14, vcc, s12, v14
	v_addc_co_u32_e32 v15, vcc, v63, v15, vcc
	s_mul_i32 s3, s2, 0x9b
	s_waitcnt vmcnt(0)
	v_mul_f64 v[2:3], v[28:29], v[2:3]
	global_store_dwordx2 v[14:15], v[2:3], off
	v_lshlrev_b64 v[2:3], 3, v[0:1]
	v_add_u32_e32 v0, s2, v0
	v_add_co_u32_e32 v4, vcc, s14, v2
	v_lshlrev_b64 v[28:29], 3, v[0:1]
	v_addc_co_u32_e32 v5, vcc, v56, v3, vcc
	v_add_co_u32_e32 v28, vcc, s14, v28
	v_addc_co_u32_e32 v29, vcc, v56, v29, vcc
	global_load_dwordx2 v[52:53], v[4:5], off
	global_load_dwordx2 v[50:51], v[28:29], off
	v_add_u32_e32 v0, s3, v0
	s_mul_i32 s3, s2, 0xffffff5b
	s_waitcnt vmcnt(1)
	v_mul_f64 v[14:15], v[36:37], v[52:53]
	s_waitcnt vmcnt(0)
	v_div_scale_f64 v[61:62], s[4:5], v[50:51], v[50:51], 1.0
	v_mul_f64 v[59:60], v[17:18], v[14:15]
	v_rcp_f64_e32 v[54:55], v[61:62]
	v_fma_f64 v[2:3], -v[61:62], v[54:55], 1.0
	v_fma_f64 v[2:3], v[54:55], v[2:3], v[54:55]
	v_fma_f64 v[54:55], -v[61:62], v[2:3], 1.0
	v_fma_f64 v[2:3], v[2:3], v[54:55], v[2:3]
	v_div_scale_f64 v[54:55], vcc, 1.0, v[50:51], 1.0
	v_mul_f64 v[6:7], v[54:55], v[2:3]
	v_fma_f64 v[54:55], -v[61:62], v[6:7], v[54:55]
	s_nop 1
	v_div_fmas_f64 v[2:3], v[54:55], v[2:3], v[6:7]
	v_lshlrev_b64 v[6:7], 3, v[0:1]
	v_add_u32_e32 v0, s3, v0
	v_add_co_u32_e32 v54, vcc, s10, v6
	v_addc_co_u32_e32 v55, vcc, v16, v7, vcc
	global_load_dwordx2 v[54:55], v[54:55], off
	v_add_co_u32_e32 v6, vcc, s12, v6
	v_addc_co_u32_e32 v7, vcc, v63, v7, vcc
	s_mul_i32 s3, s2, 0xa6
	v_div_fixup_f64 v[2:3], v[2:3], v[50:51], 1.0
	v_mul_f64 v[2:3], v[59:60], v[2:3]
	v_min_f64 v[2:3], v[2:3], s[0:1]
	s_waitcnt vmcnt(0)
	v_mul_f64 v[2:3], v[54:55], v[2:3]
	global_store_dwordx2 v[6:7], v[2:3], off
	v_lshlrev_b64 v[2:3], 3, v[0:1]
	v_add_u32_e32 v0, s3, v0
	v_add_co_u32_e32 v2, vcc, s14, v2
	v_addc_co_u32_e32 v3, vcc, v56, v3, vcc
	global_load_dwordx2 v[2:3], v[2:3], off
	s_mul_i32 s3, s2, 0xffffff4a
	s_waitcnt vmcnt(0)
	v_mul_f64 v[2:3], v[57:58], v[2:3]
	v_div_scale_f64 v[6:7], s[4:5], v[2:3], v[2:3], 1.0
	v_rcp_f64_e32 v[54:55], v[6:7]
	v_fma_f64 v[57:58], -v[6:7], v[54:55], 1.0
	v_fma_f64 v[54:55], v[54:55], v[57:58], v[54:55]
	v_fma_f64 v[57:58], -v[6:7], v[54:55], 1.0
	v_fma_f64 v[54:55], v[54:55], v[57:58], v[54:55]
	v_div_scale_f64 v[57:58], vcc, 1.0, v[2:3], 1.0
	v_mul_f64 v[59:60], v[57:58], v[54:55]
	v_fma_f64 v[6:7], -v[6:7], v[59:60], v[57:58]
	s_nop 1
	v_div_fmas_f64 v[6:7], v[6:7], v[54:55], v[59:60]
	v_div_fixup_f64 v[2:3], v[6:7], v[2:3], 1.0
	v_lshlrev_b64 v[6:7], 3, v[0:1]
	v_add_u32_e32 v0, s3, v0
	s_mul_i32 s3, s2, 0xb7
	v_mul_f64 v[2:3], v[14:15], v[2:3]
	v_add_co_u32_e32 v14, vcc, s10, v6
	v_addc_co_u32_e32 v15, vcc, v16, v7, vcc
	global_load_dwordx2 v[14:15], v[14:15], off
	v_add_co_u32_e32 v6, vcc, s12, v6
	v_min_f64 v[2:3], v[2:3], s[0:1]
	v_addc_co_u32_e32 v7, vcc, v63, v7, vcc
	s_waitcnt vmcnt(0)
	v_mul_f64 v[2:3], v[14:15], v[2:3]
	global_store_dwordx2 v[6:7], v[2:3], off
	v_lshlrev_b64 v[6:7], 3, v[0:1]
	v_mul_f64 v[2:3], v[8:9], v[52:53]
	v_add_co_u32_e32 v14, vcc, s14, v6
	v_addc_co_u32_e32 v15, vcc, v56, v7, vcc
	global_load_dwordx2 v[6:7], v[14:15], off
	v_add_u32_e32 v0, s3, v0
	s_mul_i32 s3, s2, 0xffffff5a
	s_waitcnt vmcnt(0)
	v_mul_f64 v[6:7], v[50:51], v[6:7]
	v_div_scale_f64 v[8:9], s[4:5], v[6:7], v[6:7], 1.0
	v_rcp_f64_e32 v[54:55], v[8:9]
	v_fma_f64 v[57:58], -v[8:9], v[54:55], 1.0
	v_fma_f64 v[54:55], v[54:55], v[57:58], v[54:55]
	v_fma_f64 v[57:58], -v[8:9], v[54:55], 1.0
	v_fma_f64 v[54:55], v[54:55], v[57:58], v[54:55]
	v_div_scale_f64 v[57:58], vcc, 1.0, v[6:7], 1.0
	v_mul_f64 v[59:60], v[57:58], v[54:55]
	v_fma_f64 v[8:9], -v[8:9], v[59:60], v[57:58]
	s_nop 1
	v_div_fmas_f64 v[8:9], v[8:9], v[54:55], v[59:60]
	v_div_fixup_f64 v[6:7], v[8:9], v[6:7], 1.0
	v_lshlrev_b64 v[8:9], 3, v[0:1]
	v_add_u32_e32 v0, s3, v0
	v_add_co_u32_e32 v54, vcc, s10, v8
	v_addc_co_u32_e32 v55, vcc, v16, v9, vcc
	global_load_dwordx2 v[54:55], v[54:55], off
	v_mul_f64 v[6:7], v[2:3], v[6:7]
	v_add_co_u32_e32 v8, vcc, s12, v8
	v_addc_co_u32_e32 v9, vcc, v63, v9, vcc
	v_min_f64 v[6:7], v[6:7], s[0:1]
	s_waitcnt vmcnt(0)
	v_mul_f64 v[6:7], v[54:55], v[6:7]
	global_store_dwordx2 v[8:9], v[6:7], off
	v_lshlrev_b64 v[8:9], 3, v[0:1]
	v_mul_f64 v[6:7], v[32:33], v[40:41]
	v_add_co_u32_e32 v8, vcc, s14, v8
	v_addc_co_u32_e32 v9, vcc, v56, v9, vcc
	global_load_dwordx2 v[32:33], v[8:9], off
	v_add_u32_e32 v0, s6, v0
	s_waitcnt vmcnt(0)
	v_mul_f64 v[6:7], v[6:7], v[32:33]
	v_mul_f64 v[6:7], v[17:18], v[6:7]
	v_div_scale_f64 v[32:33], s[4:5], v[6:7], v[6:7], 1.0
	v_rcp_f64_e32 v[40:41], v[32:33]
	v_fma_f64 v[54:55], -v[32:33], v[40:41], 1.0
	v_fma_f64 v[40:41], v[40:41], v[54:55], v[40:41]
	v_fma_f64 v[54:55], -v[32:33], v[40:41], 1.0
	v_fma_f64 v[40:41], v[40:41], v[54:55], v[40:41]
	v_div_scale_f64 v[54:55], vcc, 1.0, v[6:7], 1.0
	v_mul_f64 v[57:58], v[54:55], v[40:41]
	v_fma_f64 v[32:33], -v[32:33], v[57:58], v[54:55]
	v_mov_b32_e32 v55, v18
	v_mov_b32_e32 v54, v17
	v_div_fmas_f64 v[32:33], v[32:33], v[40:41], v[57:58]
	v_div_fixup_f64 v[6:7], v[32:33], v[6:7], 1.0
	v_mul_f64 v[2:3], v[2:3], v[6:7]
	v_lshlrev_b64 v[6:7], 3, v[0:1]
	v_add_u32_e32 v0, s2, v0
	v_add_co_u32_e32 v32, vcc, s10, v6
	v_addc_co_u32_e32 v33, vcc, v16, v7, vcc
	global_load_dwordx2 v[32:33], v[32:33], off
	v_min_f64 v[2:3], v[2:3], s[0:1]
	v_add_co_u32_e32 v6, vcc, s12, v6
	v_addc_co_u32_e32 v7, vcc, v63, v7, vcc
	s_waitcnt vmcnt(0)
	v_mul_f64 v[2:3], v[32:33], v[2:3]
	global_store_dwordx2 v[6:7], v[2:3], off
	v_mul_f64 v[6:7], v[48:49], v[50:51]
	v_mul_f64 v[2:3], v[46:47], v[52:53]
	v_div_scale_f64 v[32:33], s[4:5], v[6:7], v[6:7], 1.0
	s_mul_i32 s4, s2, 0xffffff62
	v_rcp_f64_e32 v[40:41], v[32:33]
	v_fma_f64 v[46:47], -v[32:33], v[40:41], 1.0
	v_fma_f64 v[40:41], v[40:41], v[46:47], v[40:41]
	v_fma_f64 v[46:47], -v[32:33], v[40:41], 1.0
	v_fma_f64 v[40:41], v[40:41], v[46:47], v[40:41]
	v_div_scale_f64 v[46:47], vcc, 1.0, v[6:7], 1.0
	v_mul_f64 v[48:49], v[46:47], v[40:41]
	v_fma_f64 v[32:33], -v[32:33], v[48:49], v[46:47]
	s_nop 1
	v_div_fmas_f64 v[32:33], v[32:33], v[40:41], v[48:49]
	v_div_fixup_f64 v[6:7], v[32:33], v[6:7], 1.0
	v_mul_f64 v[2:3], v[2:3], v[6:7]
	v_lshlrev_b64 v[6:7], 3, v[0:1]
	v_add_u32_e32 v0, s4, v0
	v_add_co_u32_e32 v32, vcc, s10, v6
	v_addc_co_u32_e32 v33, vcc, v16, v7, vcc
	global_load_dwordx2 v[32:33], v[32:33], off
	v_min_f64 v[2:3], v[2:3], s[0:1]
	v_add_co_u32_e32 v6, vcc, s12, v6
	v_addc_co_u32_e32 v7, vcc, v63, v7, vcc
	s_waitcnt vmcnt(0)
	v_mul_f64 v[2:3], v[2:3], v[32:33]
	v_lshlrev_b64 v[32:33], 3, v[0:1]
	v_add_co_u32_e32 v32, vcc, s14, v32
	v_addc_co_u32_e32 v33, vcc, v56, v33, vcc
	global_load_dwordx2 v[40:41], v[32:33], off
	s_waitcnt vmcnt(0)
	v_div_scale_f64 v[46:47], s[4:5], v[40:41], v[40:41], 1.0
	global_store_dwordx2 v[6:7], v[2:3], off
	v_mul_f64 v[2:3], v[36:37], v[50:51]
	s_mul_i32 s4, s2, 0x9f
	v_add_u32_e32 v0, s4, v0
	v_mul_f64 v[6:7], v[17:18], v[2:3]
	v_rcp_f64_e32 v[48:49], v[46:47]
	v_fma_f64 v[50:51], -v[46:47], v[48:49], 1.0
	v_fma_f64 v[48:49], v[48:49], v[50:51], v[48:49]
	v_fma_f64 v[50:51], -v[46:47], v[48:49], 1.0
	v_fma_f64 v[48:49], v[48:49], v[50:51], v[48:49]
	v_div_scale_f64 v[50:51], vcc, 1.0, v[40:41], 1.0
	v_mul_f64 v[52:53], v[50:51], v[48:49]
	v_fma_f64 v[46:47], -v[46:47], v[52:53], v[50:51]
	s_nop 1
	v_div_fmas_f64 v[46:47], v[46:47], v[48:49], v[52:53]
	v_mov_b32_e32 v53, v5
	v_mov_b32_e32 v52, v4
	v_div_fixup_f64 v[40:41], v[46:47], v[40:41], 1.0
	v_mul_f64 v[6:7], v[6:7], v[40:41]
	v_lshlrev_b64 v[40:41], 3, v[0:1]
	v_add_u32_e32 v0, s2, v0
	v_add_co_u32_e32 v46, vcc, s10, v40
	v_addc_co_u32_e32 v47, vcc, v16, v41, vcc
	global_load_dwordx2 v[46:47], v[46:47], off
	v_min_f64 v[6:7], v[6:7], s[0:1]
	v_add_co_u32_e32 v40, vcc, s12, v40
	v_addc_co_u32_e32 v41, vcc, v63, v41, vcc
	s_waitcnt vmcnt(0)
	v_mul_f64 v[6:7], v[46:47], v[6:7]
	global_store_dwordx2 v[40:41], v[6:7], off
	buffer_load_dword v6, off, s[16:19], 0 offset:8 ; 4-byte Folded Reload
	s_nop 0
	buffer_load_dword v7, off, s[16:19], 0 offset:12 ; 4-byte Folded Reload
	s_waitcnt vmcnt(0)
	v_mul_f64 v[6:7], v[6:7], v[34:35]
	v_div_scale_f64 v[17:18], s[4:5], v[6:7], v[6:7], 1.0
	v_rcp_f64_e32 v[34:35], v[17:18]
	v_fma_f64 v[40:41], -v[17:18], v[34:35], 1.0
	v_fma_f64 v[34:35], v[34:35], v[40:41], v[34:35]
	v_fma_f64 v[40:41], -v[17:18], v[34:35], 1.0
	v_fma_f64 v[34:35], v[34:35], v[40:41], v[34:35]
	v_div_scale_f64 v[40:41], vcc, 1.0, v[6:7], 1.0
	v_mul_f64 v[46:47], v[40:41], v[34:35]
	v_fma_f64 v[17:18], -v[17:18], v[46:47], v[40:41]
	s_nop 1
	v_div_fmas_f64 v[17:18], v[17:18], v[34:35], v[46:47]
	global_load_dwordx2 v[34:35], v[28:29], off
	v_div_fixup_f64 v[6:7], v[17:18], v[6:7], 1.0
	v_mul_f64 v[2:3], v[6:7], v[2:3]
	v_lshlrev_b64 v[6:7], 3, v[0:1]
	v_add_u32_e32 v0, s2, v0
	v_add_co_u32_e32 v17, vcc, s10, v6
	v_addc_co_u32_e32 v18, vcc, v16, v7, vcc
	global_load_dwordx2 v[17:18], v[17:18], off
	v_min_f64 v[2:3], v[2:3], s[0:1]
	v_add_co_u32_e32 v6, vcc, s12, v6
	v_addc_co_u32_e32 v7, vcc, v63, v7, vcc
	s_waitcnt vmcnt(0)
	v_mul_f64 v[2:3], v[2:3], v[17:18]
	global_store_dwordx2 v[6:7], v[2:3], off
	v_mul_f64 v[2:3], v[36:37], v[34:35]
	global_load_dwordx2 v[6:7], v[24:25], off
	global_load_dwordx2 v[36:37], v[4:5], off
	s_waitcnt vmcnt(0)
	v_mul_f64 v[6:7], v[6:7], v[36:37]
	global_load_dwordx2 v[38:39], v[38:39], off
	v_div_scale_f64 v[17:18], s[4:5], v[6:7], v[6:7], 1.0
	v_rcp_f64_e32 v[40:41], v[17:18]
	v_fma_f64 v[46:47], -v[17:18], v[40:41], 1.0
	v_fma_f64 v[40:41], v[40:41], v[46:47], v[40:41]
	v_fma_f64 v[46:47], -v[17:18], v[40:41], 1.0
	v_fma_f64 v[40:41], v[40:41], v[46:47], v[40:41]
	v_div_scale_f64 v[46:47], vcc, 1.0, v[6:7], 1.0
	v_mul_f64 v[48:49], v[46:47], v[40:41]
	v_fma_f64 v[17:18], -v[17:18], v[48:49], v[46:47]
	s_nop 1
	v_div_fmas_f64 v[17:18], v[17:18], v[40:41], v[48:49]
	v_div_fixup_f64 v[6:7], v[17:18], v[6:7], 1.0
	v_mul_f64 v[2:3], v[2:3], v[6:7]
	v_lshlrev_b64 v[6:7], 3, v[0:1]
	v_add_u32_e32 v0, s3, v0
	v_add_co_u32_e32 v17, vcc, s10, v6
	v_addc_co_u32_e32 v18, vcc, v16, v7, vcc
	global_load_dwordx2 v[17:18], v[17:18], off
	v_min_f64 v[2:3], v[2:3], s[0:1]
	v_add_co_u32_e32 v6, vcc, s12, v6
	v_addc_co_u32_e32 v7, vcc, v63, v7, vcc
	s_waitcnt vmcnt(0)
	v_mul_f64 v[2:3], v[17:18], v[2:3]
	v_lshlrev_b64 v[17:18], 3, v[0:1]
	v_add_u32_e32 v0, s6, v0
	v_add_co_u32_e32 v17, vcc, s14, v17
	v_addc_co_u32_e32 v18, vcc, v56, v18, vcc
	global_store_dwordx2 v[6:7], v[2:3], off
	global_load_dwordx2 v[2:3], v[26:27], off
	s_nop 0
	buffer_load_dword v4, off, s[16:19], 0 offset:16 ; 4-byte Folded Reload
	buffer_load_dword v5, off, s[16:19], 0 offset:20 ; 4-byte Folded Reload
	s_waitcnt vmcnt(2)
	v_mul_f64 v[2:3], v[2:3], v[34:35]
	s_waitcnt vmcnt(0)
	global_load_dwordx2 v[40:41], v[4:5], off
	s_nop 0
	global_load_dwordx2 v[17:18], v[17:18], off
	s_waitcnt vmcnt(1)
	v_mul_f64 v[6:7], v[38:39], v[40:41]
	s_waitcnt vmcnt(0)
	v_mul_f64 v[6:7], v[6:7], v[17:18]
	v_mul_f64 v[6:7], v[54:55], v[6:7]
	v_div_scale_f64 v[17:18], s[4:5], v[6:7], v[6:7], 1.0
	v_rcp_f64_e32 v[46:47], v[17:18]
	v_fma_f64 v[48:49], -v[17:18], v[46:47], 1.0
	v_fma_f64 v[46:47], v[46:47], v[48:49], v[46:47]
	v_fma_f64 v[48:49], -v[17:18], v[46:47], 1.0
	v_fma_f64 v[46:47], v[46:47], v[48:49], v[46:47]
	v_div_scale_f64 v[48:49], vcc, 1.0, v[6:7], 1.0
	v_mul_f64 v[50:51], v[48:49], v[46:47]
	v_fma_f64 v[17:18], -v[17:18], v[50:51], v[48:49]
	s_nop 1
	v_div_fmas_f64 v[17:18], v[17:18], v[46:47], v[50:51]
	v_div_fixup_f64 v[6:7], v[17:18], v[6:7], 1.0
	v_lshlrev_b64 v[17:18], 3, v[0:1]
	v_add_u32_e32 v0, s2, v0
	v_add_co_u32_e32 v46, vcc, s10, v17
	v_addc_co_u32_e32 v47, vcc, v16, v18, vcc
	global_load_dwordx2 v[46:47], v[46:47], off
	v_mul_f64 v[6:7], v[2:3], v[6:7]
	v_add_co_u32_e32 v17, vcc, s12, v17
	v_addc_co_u32_e32 v18, vcc, v63, v18, vcc
	v_min_f64 v[6:7], v[6:7], s[0:1]
	s_waitcnt vmcnt(0)
	v_mul_f64 v[6:7], v[46:47], v[6:7]
	global_store_dwordx2 v[17:18], v[6:7], off
	global_load_dwordx2 v[6:7], v[42:43], off
	s_nop 0
	global_load_dwordx2 v[12:13], v[12:13], off
	s_waitcnt vmcnt(0)
	v_mul_f64 v[6:7], v[6:7], v[12:13]
	global_load_dwordx2 v[20:21], v[20:21], off
	v_div_scale_f64 v[17:18], s[4:5], v[6:7], v[6:7], 1.0
	v_rcp_f64_e32 v[42:43], v[17:18]
	v_fma_f64 v[46:47], -v[17:18], v[42:43], 1.0
	v_fma_f64 v[42:43], v[42:43], v[46:47], v[42:43]
	v_fma_f64 v[46:47], -v[17:18], v[42:43], 1.0
	v_fma_f64 v[42:43], v[42:43], v[46:47], v[42:43]
	v_div_scale_f64 v[46:47], vcc, 1.0, v[6:7], 1.0
	v_mul_f64 v[48:49], v[46:47], v[42:43]
	v_fma_f64 v[17:18], -v[17:18], v[48:49], v[46:47]
	s_nop 1
	v_div_fmas_f64 v[17:18], v[17:18], v[42:43], v[48:49]
	v_div_fixup_f64 v[6:7], v[17:18], v[6:7], 1.0
	v_lshlrev_b64 v[17:18], 3, v[0:1]
	v_add_u32_e32 v0, s2, v0
	v_add_co_u32_e32 v42, vcc, s10, v17
	v_addc_co_u32_e32 v43, vcc, v16, v18, vcc
	global_load_dwordx2 v[42:43], v[42:43], off
	v_mul_f64 v[6:7], v[2:3], v[6:7]
	v_add_co_u32_e32 v17, vcc, s12, v17
	v_addc_co_u32_e32 v18, vcc, v63, v18, vcc
	v_min_f64 v[6:7], v[6:7], s[0:1]
	s_waitcnt vmcnt(0)
	v_mul_f64 v[6:7], v[42:43], v[6:7]
	global_store_dwordx2 v[17:18], v[6:7], off
	global_load_dwordx2 v[18:19], v[22:23], off
	s_waitcnt vmcnt(0)
	v_mul_f64 v[6:7], v[18:19], v[36:37]
	v_div_scale_f64 v[22:23], s[4:5], v[6:7], v[6:7], 1.0
	v_rcp_f64_e32 v[42:43], v[22:23]
	v_fma_f64 v[46:47], -v[22:23], v[42:43], 1.0
	v_fma_f64 v[42:43], v[42:43], v[46:47], v[42:43]
	v_fma_f64 v[46:47], -v[22:23], v[42:43], 1.0
	v_fma_f64 v[42:43], v[42:43], v[46:47], v[42:43]
	v_div_scale_f64 v[46:47], vcc, 1.0, v[6:7], 1.0
	v_mul_f64 v[48:49], v[46:47], v[42:43]
	v_fma_f64 v[22:23], -v[22:23], v[48:49], v[46:47]
	s_nop 1
	v_div_fmas_f64 v[22:23], v[22:23], v[42:43], v[48:49]
	v_div_fixup_f64 v[6:7], v[22:23], v[6:7], 1.0
	v_mul_f64 v[2:3], v[2:3], v[6:7]
	v_lshlrev_b64 v[6:7], 3, v[0:1]
	v_add_u32_e32 v0, s2, v0
	v_add_co_u32_e32 v22, vcc, s10, v6
	v_addc_co_u32_e32 v23, vcc, v16, v7, vcc
	global_load_dwordx2 v[22:23], v[22:23], off
	v_min_f64 v[2:3], v[2:3], s[0:1]
	v_add_co_u32_e32 v6, vcc, s12, v6
	v_addc_co_u32_e32 v7, vcc, v63, v7, vcc
	s_waitcnt vmcnt(0)
	v_mul_f64 v[2:3], v[22:23], v[2:3]
	global_load_dwordx2 v[22:23], v[44:45], off
	s_nop 0
	global_store_dwordx2 v[6:7], v[2:3], off
	v_mul_f64 v[2:3], v[18:19], v[34:35]
	s_waitcnt vmcnt(1)
	v_mul_f64 v[6:7], v[22:23], v[36:37]
	v_div_scale_f64 v[42:43], s[4:5], v[6:7], v[6:7], 1.0
	v_rcp_f64_e32 v[44:45], v[42:43]
	v_fma_f64 v[46:47], -v[42:43], v[44:45], 1.0
	v_fma_f64 v[44:45], v[44:45], v[46:47], v[44:45]
	v_fma_f64 v[46:47], -v[42:43], v[44:45], 1.0
	v_fma_f64 v[44:45], v[44:45], v[46:47], v[44:45]
	v_div_scale_f64 v[46:47], vcc, 1.0, v[6:7], 1.0
	v_mul_f64 v[48:49], v[46:47], v[44:45]
	v_fma_f64 v[42:43], -v[42:43], v[48:49], v[46:47]
	s_nop 1
	v_div_fmas_f64 v[42:43], v[42:43], v[44:45], v[48:49]
	v_div_fixup_f64 v[6:7], v[42:43], v[6:7], 1.0
	v_mul_f64 v[2:3], v[2:3], v[6:7]
	v_lshlrev_b64 v[6:7], 3, v[0:1]
	v_add_u32_e32 v0, s2, v0
	v_add_co_u32_e32 v42, vcc, s10, v6
	v_addc_co_u32_e32 v43, vcc, v16, v7, vcc
	global_load_dwordx2 v[42:43], v[42:43], off
	v_min_f64 v[2:3], v[2:3], s[0:1]
	v_add_co_u32_e32 v6, vcc, s12, v6
	v_addc_co_u32_e32 v7, vcc, v63, v7, vcc
	s_waitcnt vmcnt(0)
	v_mul_f64 v[2:3], v[42:43], v[2:3]
	v_mul_f64 v[42:43], v[20:21], v[34:35]
	global_store_dwordx2 v[6:7], v[2:3], off
	buffer_load_dword v2, off, s[16:19], 0  ; 4-byte Folded Reload
	s_nop 0
	buffer_load_dword v3, off, s[16:19], 0 offset:4 ; 4-byte Folded Reload
	s_waitcnt vmcnt(0)
	global_load_dwordx2 v[2:3], v[2:3], off
	s_waitcnt vmcnt(0)
	v_mul_f64 v[2:3], v[2:3], v[36:37]
	v_div_scale_f64 v[6:7], s[4:5], v[2:3], v[2:3], 1.0
	v_rcp_f64_e32 v[44:45], v[6:7]
	v_fma_f64 v[46:47], -v[6:7], v[44:45], 1.0
	v_fma_f64 v[44:45], v[44:45], v[46:47], v[44:45]
	v_fma_f64 v[46:47], -v[6:7], v[44:45], 1.0
	v_fma_f64 v[44:45], v[44:45], v[46:47], v[44:45]
	v_div_scale_f64 v[46:47], vcc, 1.0, v[2:3], 1.0
	v_mul_f64 v[48:49], v[46:47], v[44:45]
	v_fma_f64 v[6:7], -v[6:7], v[48:49], v[46:47]
	s_nop 1
	v_div_fmas_f64 v[6:7], v[6:7], v[44:45], v[48:49]
	v_div_fixup_f64 v[2:3], v[6:7], v[2:3], 1.0
	v_lshlrev_b64 v[6:7], 3, v[0:1]
	v_add_u32_e32 v0, s2, v0
	v_mul_f64 v[2:3], v[42:43], v[2:3]
	v_add_co_u32_e32 v42, vcc, s10, v6
	v_addc_co_u32_e32 v43, vcc, v16, v7, vcc
	global_load_dwordx2 v[42:43], v[42:43], off
	v_add_co_u32_e32 v6, vcc, s12, v6
	v_min_f64 v[2:3], v[2:3], s[0:1]
	v_addc_co_u32_e32 v7, vcc, v63, v7, vcc
	s_waitcnt vmcnt(0)
	v_mul_f64 v[2:3], v[42:43], v[2:3]
	global_store_dwordx2 v[6:7], v[2:3], off
	global_load_dwordx2 v[2:3], v[30:31], off
	v_mul_f64 v[6:7], v[40:41], v[34:35]
	s_waitcnt vmcnt(0)
	v_mul_f64 v[30:31], v[2:3], v[36:37]
	v_div_scale_f64 v[34:35], s[4:5], v[30:31], v[30:31], 1.0
	v_rcp_f64_e32 v[36:37], v[34:35]
	v_fma_f64 v[42:43], -v[34:35], v[36:37], 1.0
	v_fma_f64 v[36:37], v[36:37], v[42:43], v[36:37]
	v_fma_f64 v[42:43], -v[34:35], v[36:37], 1.0
	v_fma_f64 v[36:37], v[36:37], v[42:43], v[36:37]
	v_div_scale_f64 v[42:43], vcc, 1.0, v[30:31], 1.0
	v_mul_f64 v[44:45], v[42:43], v[36:37]
	v_fma_f64 v[34:35], -v[34:35], v[44:45], v[42:43]
	s_nop 1
	v_div_fmas_f64 v[34:35], v[34:35], v[36:37], v[44:45]
	v_div_fixup_f64 v[30:31], v[34:35], v[30:31], 1.0
	v_mul_f64 v[6:7], v[6:7], v[30:31]
	v_lshlrev_b64 v[30:31], 3, v[0:1]
	v_add_u32_e32 v0, s2, v0
	v_add_co_u32_e32 v34, vcc, s10, v30
	v_addc_co_u32_e32 v35, vcc, v16, v31, vcc
	global_load_dwordx2 v[34:35], v[34:35], off
	v_min_f64 v[6:7], v[6:7], s[0:1]
	v_add_co_u32_e32 v30, vcc, s12, v30
	v_addc_co_u32_e32 v31, vcc, v63, v31, vcc
	s_waitcnt vmcnt(0)
	v_mul_f64 v[6:7], v[34:35], v[6:7]
	global_store_dwordx2 v[30:31], v[6:7], off
	global_load_dwordx2 v[30:31], v[32:33], off
	v_mul_f64 v[32:33], v[40:41], v[12:13]
	v_div_scale_f64 v[34:35], s[4:5], v[32:33], v[32:33], 1.0
	v_rcp_f64_e32 v[36:37], v[34:35]
	s_waitcnt vmcnt(0)
	v_mul_f64 v[6:7], v[38:39], v[30:31]
	v_fma_f64 v[38:39], -v[34:35], v[36:37], 1.0
	v_fma_f64 v[36:37], v[36:37], v[38:39], v[36:37]
	v_fma_f64 v[38:39], -v[34:35], v[36:37], 1.0
	v_fma_f64 v[36:37], v[36:37], v[38:39], v[36:37]
	v_div_scale_f64 v[38:39], vcc, 1.0, v[32:33], 1.0
	v_mul_f64 v[40:41], v[38:39], v[36:37]
	v_fma_f64 v[34:35], -v[34:35], v[40:41], v[38:39]
	s_nop 1
	v_div_fmas_f64 v[34:35], v[34:35], v[36:37], v[40:41]
	v_div_fixup_f64 v[32:33], v[34:35], v[32:33], 1.0
	v_lshlrev_b64 v[34:35], 3, v[0:1]
	v_add_u32_e32 v0, s2, v0
	v_add_co_u32_e32 v36, vcc, s10, v34
	v_addc_co_u32_e32 v37, vcc, v16, v35, vcc
	global_load_dwordx2 v[36:37], v[36:37], off
	v_mul_f64 v[32:33], v[6:7], v[32:33]
	v_add_co_u32_e32 v34, vcc, s12, v34
	v_addc_co_u32_e32 v35, vcc, v63, v35, vcc
	v_min_f64 v[32:33], v[32:33], s[0:1]
	s_waitcnt vmcnt(0)
	v_mul_f64 v[32:33], v[36:37], v[32:33]
	global_store_dwordx2 v[34:35], v[32:33], off
	global_load_dwordx2 v[32:33], v[24:25], off
	s_nop 0
	global_load_dwordx2 v[24:25], v[28:29], off
	s_waitcnt vmcnt(0)
	v_mul_f64 v[28:29], v[32:33], v[24:25]
	v_mul_f64 v[22:23], v[22:23], v[24:25]
	;; [unrolled: 1-line block ×3, first 2 shown]
	v_div_scale_f64 v[32:33], s[4:5], v[28:29], v[28:29], 1.0
	v_rcp_f64_e32 v[34:35], v[32:33]
	v_fma_f64 v[36:37], -v[32:33], v[34:35], 1.0
	v_fma_f64 v[34:35], v[34:35], v[36:37], v[34:35]
	v_fma_f64 v[36:37], -v[32:33], v[34:35], 1.0
	v_fma_f64 v[34:35], v[34:35], v[36:37], v[34:35]
	v_div_scale_f64 v[36:37], vcc, 1.0, v[28:29], 1.0
	v_mul_f64 v[38:39], v[36:37], v[34:35]
	v_fma_f64 v[32:33], -v[32:33], v[38:39], v[36:37]
	s_nop 1
	v_div_fmas_f64 v[32:33], v[32:33], v[34:35], v[38:39]
	v_div_fixup_f64 v[28:29], v[32:33], v[28:29], 1.0
	v_mul_f64 v[6:7], v[6:7], v[28:29]
	v_lshlrev_b64 v[28:29], 3, v[0:1]
	v_add_u32_e32 v0, s2, v0
	v_add_co_u32_e32 v32, vcc, s10, v28
	v_addc_co_u32_e32 v33, vcc, v16, v29, vcc
	global_load_dwordx2 v[32:33], v[32:33], off
	v_min_f64 v[6:7], v[6:7], s[0:1]
	v_add_co_u32_e32 v28, vcc, s12, v28
	v_addc_co_u32_e32 v29, vcc, v63, v29, vcc
	s_waitcnt vmcnt(0)
	v_mul_f64 v[6:7], v[32:33], v[6:7]
	global_store_dwordx2 v[28:29], v[6:7], off
	global_load_dwordx2 v[6:7], v[26:27], off
	s_waitcnt vmcnt(0)
	v_mul_f64 v[26:27], v[6:7], v[30:31]
	global_load_dwordx2 v[6:7], v[10:11], off
	s_waitcnt vmcnt(0)
	v_mul_f64 v[10:11], v[6:7], v[12:13]
	v_mul_f64 v[6:7], v[18:19], v[6:7]
	v_div_scale_f64 v[28:29], s[4:5], v[10:11], v[10:11], 1.0
	v_mul_f64 v[6:7], v[6:7], v[12:13]
	v_mul_f64 v[6:7], v[54:55], v[6:7]
	v_rcp_f64_e32 v[32:33], v[28:29]
	v_fma_f64 v[34:35], -v[28:29], v[32:33], 1.0
	v_fma_f64 v[32:33], v[32:33], v[34:35], v[32:33]
	v_fma_f64 v[34:35], -v[28:29], v[32:33], 1.0
	v_fma_f64 v[32:33], v[32:33], v[34:35], v[32:33]
	v_div_scale_f64 v[34:35], vcc, 1.0, v[10:11], 1.0
	v_mul_f64 v[36:37], v[34:35], v[32:33]
	v_fma_f64 v[28:29], -v[28:29], v[36:37], v[34:35]
	s_nop 1
	v_div_fmas_f64 v[28:29], v[28:29], v[32:33], v[36:37]
	v_div_fixup_f64 v[10:11], v[28:29], v[10:11], 1.0
	v_mul_f64 v[10:11], v[26:27], v[10:11]
	v_lshlrev_b64 v[26:27], 3, v[0:1]
	v_add_u32_e32 v0, s2, v0
	v_add_co_u32_e32 v28, vcc, s10, v26
	v_addc_co_u32_e32 v29, vcc, v16, v27, vcc
	global_load_dwordx2 v[28:29], v[28:29], off
	v_min_f64 v[10:11], v[10:11], s[0:1]
	v_add_co_u32_e32 v26, vcc, s12, v26
	v_addc_co_u32_e32 v27, vcc, v63, v27, vcc
	s_waitcnt vmcnt(0)
	v_mul_f64 v[10:11], v[28:29], v[10:11]
	global_store_dwordx2 v[26:27], v[10:11], off
	v_div_scale_f64 v[26:27], s[4:5], v[22:23], v[22:23], 1.0
	v_mul_f64 v[10:11], v[18:19], v[30:31]
	v_rcp_f64_e32 v[28:29], v[26:27]
	v_fma_f64 v[32:33], -v[26:27], v[28:29], 1.0
	v_fma_f64 v[28:29], v[28:29], v[32:33], v[28:29]
	v_fma_f64 v[32:33], -v[26:27], v[28:29], 1.0
	v_fma_f64 v[28:29], v[28:29], v[32:33], v[28:29]
	v_div_scale_f64 v[32:33], vcc, 1.0, v[22:23], 1.0
	v_mul_f64 v[34:35], v[32:33], v[28:29]
	v_fma_f64 v[26:27], -v[26:27], v[34:35], v[32:33]
	s_nop 1
	v_div_fmas_f64 v[26:27], v[26:27], v[28:29], v[34:35]
	v_div_fixup_f64 v[22:23], v[26:27], v[22:23], 1.0
	v_mul_f64 v[10:11], v[10:11], v[22:23]
	v_lshlrev_b64 v[22:23], 3, v[0:1]
	v_add_u32_e32 v0, s2, v0
	v_add_co_u32_e32 v26, vcc, s10, v22
	v_addc_co_u32_e32 v27, vcc, v16, v23, vcc
	global_load_dwordx2 v[26:27], v[26:27], off
	v_min_f64 v[10:11], v[10:11], s[0:1]
	v_add_co_u32_e32 v22, vcc, s12, v22
	v_addc_co_u32_e32 v23, vcc, v63, v23, vcc
	s_waitcnt vmcnt(0)
	v_mul_f64 v[10:11], v[26:27], v[10:11]
	global_store_dwordx2 v[22:23], v[10:11], off
	global_load_dwordx2 v[10:11], v[14:15], off
	v_mul_f64 v[14:15], v[20:21], v[24:25]
	v_div_scale_f64 v[22:23], s[4:5], v[14:15], v[14:15], 1.0
	v_rcp_f64_e32 v[26:27], v[22:23]
	v_fma_f64 v[28:29], -v[22:23], v[26:27], 1.0
	v_fma_f64 v[26:27], v[26:27], v[28:29], v[26:27]
	v_fma_f64 v[28:29], -v[22:23], v[26:27], 1.0
	v_fma_f64 v[26:27], v[26:27], v[28:29], v[26:27]
	v_div_scale_f64 v[28:29], vcc, 1.0, v[14:15], 1.0
	s_waitcnt vmcnt(0)
	v_mul_f64 v[10:11], v[10:11], v[30:31]
	v_mul_f64 v[32:33], v[28:29], v[26:27]
	v_fma_f64 v[22:23], -v[22:23], v[32:33], v[28:29]
	v_div_fmas_f64 v[22:23], v[22:23], v[26:27], v[32:33]
	v_div_fixup_f64 v[14:15], v[22:23], v[14:15], 1.0
	v_mul_f64 v[10:11], v[10:11], v[14:15]
	v_lshlrev_b64 v[14:15], 3, v[0:1]
	v_add_u32_e32 v0, s2, v0
	v_add_co_u32_e32 v22, vcc, s10, v14
	v_addc_co_u32_e32 v23, vcc, v16, v15, vcc
	global_load_dwordx2 v[22:23], v[22:23], off
	v_min_f64 v[10:11], v[10:11], s[0:1]
	v_add_co_u32_e32 v14, vcc, s12, v14
	v_addc_co_u32_e32 v15, vcc, v63, v15, vcc
	s_waitcnt vmcnt(0)
	v_mul_f64 v[10:11], v[22:23], v[10:11]
	global_store_dwordx2 v[14:15], v[10:11], off
	v_div_scale_f64 v[14:15], s[4:5], v[6:7], v[6:7], 1.0
	v_mul_f64 v[10:11], v[20:21], v[30:31]
	v_rcp_f64_e32 v[17:18], v[14:15]
	v_fma_f64 v[19:20], -v[14:15], v[17:18], 1.0
	v_fma_f64 v[17:18], v[17:18], v[19:20], v[17:18]
	v_fma_f64 v[19:20], -v[14:15], v[17:18], 1.0
	v_fma_f64 v[17:18], v[17:18], v[19:20], v[17:18]
	v_div_scale_f64 v[19:20], vcc, 1.0, v[6:7], 1.0
	v_mul_f64 v[21:22], v[19:20], v[17:18]
	v_fma_f64 v[14:15], -v[14:15], v[21:22], v[19:20]
	s_nop 1
	v_div_fmas_f64 v[14:15], v[14:15], v[17:18], v[21:22]
	v_div_fixup_f64 v[6:7], v[14:15], v[6:7], 1.0
	v_mul_f64 v[6:7], v[10:11], v[6:7]
	v_lshlrev_b64 v[10:11], 3, v[0:1]
	v_add_u32_e32 v0, s2, v0
	v_add_co_u32_e32 v14, vcc, s10, v10
	v_addc_co_u32_e32 v15, vcc, v16, v11, vcc
	global_load_dwordx2 v[14:15], v[14:15], off
	v_min_f64 v[6:7], v[6:7], s[0:1]
	v_add_co_u32_e32 v10, vcc, s12, v10
	v_addc_co_u32_e32 v11, vcc, v63, v11, vcc
	s_waitcnt vmcnt(0)
	v_mul_f64 v[6:7], v[14:15], v[6:7]
	global_store_dwordx2 v[10:11], v[6:7], off
	v_div_scale_f64 v[6:7], s[4:5], v[2:3], v[2:3], 1.0
	global_load_dwordx2 v[10:11], v[4:5], off
	v_rcp_f64_e32 v[14:15], v[6:7]
	v_fma_f64 v[17:18], -v[6:7], v[14:15], 1.0
	v_fma_f64 v[14:15], v[14:15], v[17:18], v[14:15]
	v_fma_f64 v[17:18], -v[6:7], v[14:15], 1.0
	v_fma_f64 v[14:15], v[14:15], v[17:18], v[14:15]
	v_div_scale_f64 v[17:18], vcc, 1.0, v[2:3], 1.0
	v_mul_f64 v[19:20], v[17:18], v[14:15]
	v_fma_f64 v[6:7], -v[6:7], v[19:20], v[17:18]
	s_waitcnt vmcnt(0)
	v_mul_f64 v[4:5], v[10:11], v[30:31]
	v_div_fmas_f64 v[6:7], v[6:7], v[14:15], v[19:20]
	v_div_fixup_f64 v[2:3], v[6:7], v[2:3], 1.0
	v_mul_f64 v[2:3], v[4:5], v[2:3]
	v_lshlrev_b64 v[4:5], 3, v[0:1]
	v_add_u32_e32 v0, s2, v0
	v_add_co_u32_e32 v6, vcc, s10, v4
	v_addc_co_u32_e32 v7, vcc, v16, v5, vcc
	global_load_dwordx2 v[6:7], v[6:7], off
	v_min_f64 v[2:3], v[2:3], s[0:1]
	v_add_co_u32_e32 v4, vcc, s12, v4
	v_addc_co_u32_e32 v5, vcc, v63, v5, vcc
	v_lshlrev_b64 v[0:1], 3, v[0:1]
	s_waitcnt vmcnt(0)
	v_mul_f64 v[2:3], v[6:7], v[2:3]
	global_store_dwordx2 v[4:5], v[2:3], off
	global_load_dwordx2 v[2:3], v[8:9], off
	s_waitcnt vmcnt(0)
	v_mul_f64 v[4:5], v[2:3], v[12:13]
	global_load_dwordx2 v[2:3], v[52:53], off
	s_waitcnt vmcnt(0)
	v_mul_f64 v[2:3], v[10:11], v[2:3]
	v_div_scale_f64 v[6:7], s[4:5], v[2:3], v[2:3], 1.0
	v_rcp_f64_e32 v[8:9], v[6:7]
	v_fma_f64 v[10:11], -v[6:7], v[8:9], 1.0
	v_fma_f64 v[8:9], v[8:9], v[10:11], v[8:9]
	v_fma_f64 v[10:11], -v[6:7], v[8:9], 1.0
	v_fma_f64 v[8:9], v[8:9], v[10:11], v[8:9]
	v_div_scale_f64 v[10:11], vcc, 1.0, v[2:3], 1.0
	v_mul_f64 v[12:13], v[10:11], v[8:9]
	v_fma_f64 v[6:7], -v[6:7], v[12:13], v[10:11]
	s_nop 1
	v_div_fmas_f64 v[6:7], v[6:7], v[8:9], v[12:13]
	v_div_fixup_f64 v[2:3], v[6:7], v[2:3], 1.0
	v_mul_f64 v[2:3], v[4:5], v[2:3]
	v_add_co_u32_e32 v4, vcc, s10, v0
	v_addc_co_u32_e32 v5, vcc, v16, v1, vcc
	global_load_dwordx2 v[4:5], v[4:5], off
	v_add_co_u32_e32 v0, vcc, s12, v0
	v_min_f64 v[2:3], v[2:3], s[0:1]
	v_addc_co_u32_e32 v1, vcc, v63, v1, vcc
	s_waitcnt vmcnt(0)
	v_mul_f64 v[2:3], v[4:5], v[2:3]
	global_store_dwordx2 v[0:1], v[2:3], off
	s_endpgm
	.section	.rodata,"a",@progbits
	.p2align	6, 0x0
	.amdhsa_kernel _Z12ratt9_kernelIdEvPKT_S2_PS0_S2_S0_
		.amdhsa_group_segment_fixed_size 0
		.amdhsa_private_segment_fixed_size 28
		.amdhsa_kernarg_size 296
		.amdhsa_user_sgpr_count 6
		.amdhsa_user_sgpr_private_segment_buffer 1
		.amdhsa_user_sgpr_dispatch_ptr 0
		.amdhsa_user_sgpr_queue_ptr 0
		.amdhsa_user_sgpr_kernarg_segment_ptr 1
		.amdhsa_user_sgpr_dispatch_id 0
		.amdhsa_user_sgpr_flat_scratch_init 0
		.amdhsa_user_sgpr_private_segment_size 0
		.amdhsa_uses_dynamic_stack 0
		.amdhsa_system_sgpr_private_segment_wavefront_offset 1
		.amdhsa_system_sgpr_workgroup_id_x 1
		.amdhsa_system_sgpr_workgroup_id_y 0
		.amdhsa_system_sgpr_workgroup_id_z 0
		.amdhsa_system_sgpr_workgroup_info 0
		.amdhsa_system_vgpr_workitem_id 0
		.amdhsa_next_free_vgpr 64
		.amdhsa_next_free_sgpr 20
		.amdhsa_reserve_vcc 1
		.amdhsa_reserve_flat_scratch 0
		.amdhsa_float_round_mode_32 0
		.amdhsa_float_round_mode_16_64 0
		.amdhsa_float_denorm_mode_32 3
		.amdhsa_float_denorm_mode_16_64 3
		.amdhsa_dx10_clamp 1
		.amdhsa_ieee_mode 1
		.amdhsa_fp16_overflow 0
		.amdhsa_exception_fp_ieee_invalid_op 0
		.amdhsa_exception_fp_denorm_src 0
		.amdhsa_exception_fp_ieee_div_zero 0
		.amdhsa_exception_fp_ieee_overflow 0
		.amdhsa_exception_fp_ieee_underflow 0
		.amdhsa_exception_fp_ieee_inexact 0
		.amdhsa_exception_int_div_zero 0
	.end_amdhsa_kernel
	.section	.text._Z12ratt9_kernelIdEvPKT_S2_PS0_S2_S0_,"axG",@progbits,_Z12ratt9_kernelIdEvPKT_S2_PS0_S2_S0_,comdat
.Lfunc_end37:
	.size	_Z12ratt9_kernelIdEvPKT_S2_PS0_S2_S0_, .Lfunc_end37-_Z12ratt9_kernelIdEvPKT_S2_PS0_S2_S0_
                                        ; -- End function
	.set _Z12ratt9_kernelIdEvPKT_S2_PS0_S2_S0_.num_vgpr, 64
	.set _Z12ratt9_kernelIdEvPKT_S2_PS0_S2_S0_.num_agpr, 0
	.set _Z12ratt9_kernelIdEvPKT_S2_PS0_S2_S0_.numbered_sgpr, 20
	.set _Z12ratt9_kernelIdEvPKT_S2_PS0_S2_S0_.num_named_barrier, 0
	.set _Z12ratt9_kernelIdEvPKT_S2_PS0_S2_S0_.private_seg_size, 28
	.set _Z12ratt9_kernelIdEvPKT_S2_PS0_S2_S0_.uses_vcc, 1
	.set _Z12ratt9_kernelIdEvPKT_S2_PS0_S2_S0_.uses_flat_scratch, 0
	.set _Z12ratt9_kernelIdEvPKT_S2_PS0_S2_S0_.has_dyn_sized_stack, 0
	.set _Z12ratt9_kernelIdEvPKT_S2_PS0_S2_S0_.has_recursion, 0
	.set _Z12ratt9_kernelIdEvPKT_S2_PS0_S2_S0_.has_indirect_call, 0
	.section	.AMDGPU.csdata,"",@progbits
; Kernel info:
; codeLenInByte = 7096
; TotalNumSgprs: 24
; NumVgprs: 64
; ScratchSize: 28
; MemoryBound: 0
; FloatMode: 240
; IeeeMode: 1
; LDSByteSize: 0 bytes/workgroup (compile time only)
; SGPRBlocks: 2
; VGPRBlocks: 15
; NumSGPRsForWavesPerEU: 24
; NumVGPRsForWavesPerEU: 64
; Occupancy: 4
; WaveLimiterHint : 0
; COMPUTE_PGM_RSRC2:SCRATCH_EN: 1
; COMPUTE_PGM_RSRC2:USER_SGPR: 6
; COMPUTE_PGM_RSRC2:TRAP_HANDLER: 0
; COMPUTE_PGM_RSRC2:TGID_X_EN: 1
; COMPUTE_PGM_RSRC2:TGID_Y_EN: 0
; COMPUTE_PGM_RSRC2:TGID_Z_EN: 0
; COMPUTE_PGM_RSRC2:TIDIG_COMP_CNT: 0
	.section	.text._Z13ratt10_kernelIdEvPKT_PS0_S0_,"axG",@progbits,_Z13ratt10_kernelIdEvPKT_PS0_S0_,comdat
	.protected	_Z13ratt10_kernelIdEvPKT_PS0_S0_ ; -- Begin function _Z13ratt10_kernelIdEvPKT_PS0_S0_
	.globl	_Z13ratt10_kernelIdEvPKT_PS0_S0_
	.p2align	8
	.type	_Z13ratt10_kernelIdEvPKT_PS0_S0_,@function
_Z13ratt10_kernelIdEvPKT_PS0_S0_:       ; @_Z13ratt10_kernelIdEvPKT_PS0_S0_
; %bb.0:
	s_load_dwordx4 s[0:3], s[4:5], 0x0
	s_load_dwordx2 s[8:9], s[4:5], 0x10
	s_load_dword s33, s[4:5], 0x18
	s_load_dword s7, s[4:5], 0x24
	v_mov_b32_e32 v1, 0
	s_waitcnt lgkmcnt(0)
	v_mov_b32_e32 v3, s1
	s_mov_b32 s1, 0x3fe55555
	s_mov_b32 s4, 0xbf559e2b
	s_and_b32 s34, s7, 0xffff
	s_mul_i32 s6, s6, s34
	v_add_u32_e32 v0, s6, v0
	v_lshlrev_b64 v[8:9], 3, v[0:1]
	s_mov_b32 s5, 0x3fc3ab76
	v_add_co_u32_e32 v2, vcc, s0, v8
	v_addc_co_u32_e32 v3, vcc, v3, v9, vcc
	global_load_dwordx2 v[2:3], v[2:3], off
	s_mov_b32 s0, 0x55555555
	s_mov_b32 s7, 0x3c7abc9e
	;; [unrolled: 1-line block ×32, first 2 shown]
	s_waitcnt vmcnt(0)
	v_mul_f64 v[4:5], s[8:9], v[2:3]
	s_mov_b32 s8, 0x652b82fe
	s_mov_b32 s9, 0x3ff71547
	v_frexp_mant_f64_e32 v[2:3], v[4:5]
	v_frexp_exp_i32_f64_e32 v6, v[4:5]
	v_cmp_gt_f64_e32 vcc, s[0:1], v[2:3]
	s_mov_b32 s0, 0x55555780
	v_cndmask_b32_e64 v7, 0, 1, vcc
	v_ldexp_f64 v[2:3], v[2:3], v7
	v_subbrev_co_u32_e32 v20, vcc, 0, v6, vcc
	v_add_f64 v[10:11], v[2:3], 1.0
	v_add_f64 v[6:7], v[2:3], -1.0
	v_add_f64 v[12:13], v[10:11], -1.0
	v_add_f64 v[2:3], v[2:3], -v[12:13]
	v_rcp_f64_e32 v[12:13], v[10:11]
	v_fma_f64 v[14:15], -v[10:11], v[12:13], 1.0
	v_fma_f64 v[12:13], v[14:15], v[12:13], v[12:13]
	v_fma_f64 v[14:15], -v[10:11], v[12:13], 1.0
	v_fma_f64 v[12:13], v[14:15], v[12:13], v[12:13]
	v_mul_f64 v[14:15], v[6:7], v[12:13]
	v_mul_f64 v[16:17], v[10:11], v[14:15]
	v_fma_f64 v[10:11], v[14:15], v[10:11], -v[16:17]
	v_fma_f64 v[2:3], v[14:15], v[2:3], v[10:11]
	v_add_f64 v[10:11], v[16:17], v[2:3]
	v_add_f64 v[18:19], v[6:7], -v[10:11]
	v_add_f64 v[16:17], v[10:11], -v[16:17]
	;; [unrolled: 1-line block ×5, first 2 shown]
	v_add_f64 v[2:3], v[2:3], v[6:7]
	v_add_f64 v[2:3], v[18:19], v[2:3]
	v_mul_f64 v[2:3], v[12:13], v[2:3]
	v_mov_b32_e32 v12, 0x6b47b09a
	v_mov_b32_e32 v13, 0x3fc38538
	v_add_f64 v[6:7], v[14:15], v[2:3]
	v_add_f64 v[10:11], v[6:7], -v[14:15]
	v_ldexp_f64 v[14:15], v[6:7], 1
	v_add_f64 v[2:3], v[2:3], -v[10:11]
	v_mul_f64 v[10:11], v[6:7], v[6:7]
	v_ldexp_f64 v[2:3], v[2:3], 1
	v_fma_f64 v[12:13], v[10:11], s[4:5], v[12:13]
	s_mov_b32 s4, 0xd7f4df2e
	s_mov_b32 s5, 0x3fc7474d
	v_mul_f64 v[6:7], v[6:7], v[10:11]
	v_fma_f64 v[12:13], v[10:11], v[12:13], s[4:5]
	s_mov_b32 s4, 0x16291751
	s_mov_b32 s5, 0x3fcc71c0
	v_fma_f64 v[12:13], v[10:11], v[12:13], s[4:5]
	s_mov_b32 s4, 0x9b27acf1
	s_mov_b32 s5, 0x3fd24924
	;; [unrolled: 3-line block ×4, first 2 shown]
	v_fma_f64 v[12:13], v[10:11], v[12:13], s[0:1]
	s_movk_i32 s0, 0x204
	v_cmp_class_f64_e64 vcc, v[4:5], s0
	s_mov_b32 s0, 0xcccccccd
	s_mov_b32 s1, 0xbfeccccc
	v_mul_f64 v[6:7], v[6:7], v[12:13]
	v_add_f64 v[10:11], v[14:15], v[6:7]
	v_add_f64 v[12:13], v[10:11], -v[14:15]
	v_add_f64 v[6:7], v[6:7], -v[12:13]
	v_add_f64 v[2:3], v[2:3], v[6:7]
	v_add_f64 v[6:7], v[10:11], v[2:3]
	v_add_f64 v[10:11], v[6:7], -v[10:11]
	v_add_f64 v[2:3], v[2:3], -v[10:11]
	v_cvt_f64_i32_e32 v[10:11], v20
	v_mul_f64 v[12:13], v[10:11], s[4:5]
	v_fma_f64 v[14:15], v[10:11], s[4:5], -v[12:13]
	s_mov_b32 s5, 0xbfe62e42
	v_fma_f64 v[10:11], v[10:11], s[6:7], v[14:15]
	s_mov_b32 s7, 0xbc7abc9e
	v_add_f64 v[14:15], v[12:13], v[10:11]
	v_add_f64 v[12:13], v[14:15], -v[12:13]
	v_add_f64 v[10:11], v[10:11], -v[12:13]
	v_add_f64 v[12:13], v[14:15], v[6:7]
	v_add_f64 v[16:17], v[12:13], -v[14:15]
	v_add_f64 v[18:19], v[12:13], -v[16:17]
	;; [unrolled: 1-line block ×4, first 2 shown]
	v_add_f64 v[6:7], v[6:7], v[14:15]
	v_add_f64 v[14:15], v[10:11], v[2:3]
	v_add_f64 v[16:17], v[14:15], -v[10:11]
	v_add_f64 v[6:7], v[14:15], v[6:7]
	v_add_f64 v[18:19], v[14:15], -v[16:17]
	v_add_f64 v[2:3], v[2:3], -v[16:17]
	;; [unrolled: 1-line block ×3, first 2 shown]
	v_add_f64 v[2:3], v[2:3], v[10:11]
	v_add_f64 v[10:11], v[12:13], v[6:7]
	v_add_f64 v[12:13], v[10:11], -v[12:13]
	v_add_f64 v[6:7], v[6:7], -v[12:13]
	v_add_f64 v[2:3], v[2:3], v[6:7]
	v_mov_b32_e32 v6, 0x7ff80000
	v_mov_b32_e32 v7, 0x404523c4
	v_add_f64 v[2:3], v[10:11], v[2:3]
	v_cndmask_b32_e32 v2, v2, v4, vcc
	v_cndmask_b32_e32 v3, v3, v5, vcc
	v_cmp_ngt_f64_e32 vcc, 0, v[4:5]
	v_cndmask_b32_e32 v3, v6, v3, vcc
	v_cmp_nge_f64_e32 vcc, 0, v[4:5]
	v_mov_b32_e32 v6, 0xfff00000
	v_cndmask_b32_e32 v2, 0, v2, vcc
	v_cmp_neq_f64_e32 vcc, 0, v[4:5]
	v_cndmask_b32_e32 v3, v6, v3, vcc
	v_mov_b32_e32 v6, 0xb7549584
	v_fma_f64 v[6:7], v[2:3], s[0:1], v[6:7]
	v_div_scale_f64 v[10:11], s[0:1], v[4:5], v[4:5], 1.0
	s_mov_b32 s0, 0x266ba494
	s_mov_b32 s1, 0x408abbbf
	v_rcp_f64_e32 v[12:13], v[10:11]
	v_fma_f64 v[14:15], -v[10:11], v[12:13], 1.0
	v_fma_f64 v[12:13], v[12:13], v[14:15], v[12:13]
	v_fma_f64 v[14:15], -v[10:11], v[12:13], 1.0
	v_fma_f64 v[12:13], v[12:13], v[14:15], v[12:13]
	v_div_scale_f64 v[14:15], vcc, 1.0, v[4:5], 1.0
	v_mul_f64 v[16:17], v[14:15], v[12:13]
	v_fma_f64 v[10:11], -v[10:11], v[16:17], v[14:15]
	s_nop 1
	v_div_fmas_f64 v[10:11], v[10:11], v[12:13], v[16:17]
	v_div_fixup_f64 v[4:5], v[10:11], v[4:5], 1.0
	v_fma_f64 v[11:12], v[4:5], s[0:1], v[6:7]
	s_mov_b32 s0, 0xfca7ab0c
	s_mov_b32 s1, 0x3e928af3
	v_mul_f64 v[6:7], v[11:12], s[8:9]
	v_cmp_nlt_f64_e32 vcc, s[22:23], v[11:12]
	v_rndne_f64_e32 v[13:14], v[6:7]
	v_fma_f64 v[6:7], v[13:14], s[4:5], v[11:12]
	v_cvt_i32_f64_e32 v10, v[13:14]
	v_fma_f64 v[15:16], v[13:14], s[6:7], v[6:7]
	v_mov_b32_e32 v7, s1
	v_mov_b32_e32 v6, s0
	v_cmp_ngt_f64_e64 s[0:1], s[24:25], v[11:12]
	v_fma_f64 v[17:18], v[15:16], s[10:11], v[6:7]
	v_fma_f64 v[17:18], v[15:16], v[17:18], s[12:13]
	;; [unrolled: 1-line block ×9, first 2 shown]
	v_fma_f64 v[17:18], v[15:16], v[17:18], 1.0
	v_fma_f64 v[15:16], v[15:16], v[17:18], 1.0
	v_ldexp_f64 v[13:14], v[15:16], v10
	v_mov_b32_e32 v10, 0x7ff00000
	v_cndmask_b32_e32 v14, v10, v14, vcc
	s_and_b64 vcc, s[0:1], vcc
	v_cndmask_b32_e32 v11, 0, v13, vcc
	v_add_co_u32_e32 v13, vcc, s2, v8
	v_mov_b32_e32 v8, s3
	v_cndmask_b32_e64 v12, 0, v14, s[0:1]
	v_addc_co_u32_e32 v14, vcc, v8, v9, vcc
	s_mov_b32 s0, 0xf5c28f5c
	global_store_dwordx2 v[13:14], v[11:12], off
	v_mov_b32_e32 v11, 0x8e49da3f
	v_mov_b32_e32 v12, 0x404fe585
	s_mov_b32 s1, 0xc00b5c28
	v_fma_f64 v[11:12], v[2:3], s[0:1], v[11:12]
	s_mov_b32 s0, 0x6dc5d639
	s_mov_b32 s1, 0xc0e4b9ca
	s_mul_i32 s3, s33, s34
	v_add_u32_e32 v0, s3, v0
	s_mov_b32 s34, 0x51eb851f
	v_fma_f64 v[11:12], v[4:5], s[0:1], v[11:12]
	v_mul_f64 v[13:14], v[11:12], s[8:9]
	v_cmp_nlt_f64_e32 vcc, s[22:23], v[11:12]
	v_cmp_ngt_f64_e64 s[0:1], s[24:25], v[11:12]
	v_rndne_f64_e32 v[13:14], v[13:14]
	v_fma_f64 v[15:16], v[13:14], s[4:5], v[11:12]
	v_cvt_i32_f64_e32 v9, v[13:14]
	v_fma_f64 v[15:16], v[13:14], s[6:7], v[15:16]
	v_fma_f64 v[17:18], v[15:16], s[10:11], v[6:7]
	;; [unrolled: 1-line block ×10, first 2 shown]
	v_fma_f64 v[17:18], v[15:16], v[17:18], 1.0
	v_fma_f64 v[15:16], v[15:16], v[17:18], 1.0
	v_ldexp_f64 v[13:14], v[15:16], v9
	v_cndmask_b32_e32 v9, v10, v14, vcc
	s_and_b64 vcc, s[0:1], vcc
	v_cndmask_b32_e32 v11, 0, v13, vcc
	v_lshlrev_b64 v[13:14], 3, v[0:1]
	v_cndmask_b32_e64 v12, 0, v9, s[0:1]
	v_add_co_u32_e32 v13, vcc, s2, v13
	v_addc_co_u32_e32 v14, vcc, v8, v14, vcc
	s_mov_b32 s0, 0x1eb851ec
	global_store_dwordx2 v[13:14], v[11:12], off
	v_mov_b32_e32 v11, 0x28d78f9e
	v_mov_b32_e32 v12, 0x40505d90
	s_mov_b32 s1, 0xc00deb85
	v_fma_f64 v[11:12], v[2:3], s[0:1], v[11:12]
	s_mov_b32 s0, 0xdb445ed5
	s_mov_b32 s1, 0xc08e71d1
	v_add_u32_e32 v0, s3, v0
	v_fma_f64 v[11:12], v[4:5], s[0:1], v[11:12]
	v_mul_f64 v[13:14], v[11:12], s[8:9]
	v_cmp_nlt_f64_e32 vcc, s[22:23], v[11:12]
	v_cmp_ngt_f64_e64 s[0:1], s[24:25], v[11:12]
	v_rndne_f64_e32 v[13:14], v[13:14]
	v_fma_f64 v[15:16], v[13:14], s[4:5], v[11:12]
	v_cvt_i32_f64_e32 v9, v[13:14]
	v_fma_f64 v[15:16], v[13:14], s[6:7], v[15:16]
	v_fma_f64 v[17:18], v[15:16], s[10:11], v[6:7]
	;; [unrolled: 1-line block ×10, first 2 shown]
	v_fma_f64 v[17:18], v[15:16], v[17:18], 1.0
	v_fma_f64 v[15:16], v[15:16], v[17:18], 1.0
	v_ldexp_f64 v[13:14], v[15:16], v9
	v_cndmask_b32_e32 v9, v10, v14, vcc
	s_and_b64 vcc, s[0:1], vcc
	v_cndmask_b32_e32 v11, 0, v13, vcc
	v_lshlrev_b64 v[13:14], 3, v[0:1]
	v_cndmask_b32_e64 v12, 0, v9, s[0:1]
	v_add_co_u32_e32 v13, vcc, s2, v13
	v_addc_co_u32_e32 v14, vcc, v8, v14, vcc
	global_store_dwordx2 v[13:14], v[11:12], off
	v_mov_b32_e32 v11, 0x6d24c689
	v_mov_b32_e32 v12, 0x404bc7f4
	v_fma_f64 v[11:12], v[2:3], s[36:37], v[11:12]
	s_mov_b32 s0, 0x85a4f00f
	s_mov_b32 s1, 0xc08668ab
	v_add_u32_e32 v0, s3, v0
	s_mov_b32 s37, 0xc01e8f5c
	v_fma_f64 v[11:12], v[4:5], s[0:1], v[11:12]
	v_mul_f64 v[13:14], v[11:12], s[8:9]
	v_cmp_nlt_f64_e32 vcc, s[22:23], v[11:12]
	v_cmp_ngt_f64_e64 s[0:1], s[24:25], v[11:12]
	v_rndne_f64_e32 v[13:14], v[13:14]
	v_fma_f64 v[15:16], v[13:14], s[4:5], v[11:12]
	v_cvt_i32_f64_e32 v9, v[13:14]
	v_fma_f64 v[15:16], v[13:14], s[6:7], v[15:16]
	v_fma_f64 v[17:18], v[15:16], s[10:11], v[6:7]
	;; [unrolled: 1-line block ×10, first 2 shown]
	v_fma_f64 v[17:18], v[15:16], v[17:18], 1.0
	v_fma_f64 v[15:16], v[15:16], v[17:18], 1.0
	v_ldexp_f64 v[13:14], v[15:16], v9
	v_cndmask_b32_e32 v9, v10, v14, vcc
	s_and_b64 vcc, s[0:1], vcc
	v_cndmask_b32_e32 v11, 0, v13, vcc
	v_lshlrev_b64 v[13:14], 3, v[0:1]
	v_cndmask_b32_e64 v12, 0, v9, s[0:1]
	v_add_co_u32_e32 v13, vcc, s2, v13
	v_addc_co_u32_e32 v14, vcc, v8, v14, vcc
	global_store_dwordx2 v[13:14], v[11:12], off
	v_mov_b32_e32 v11, 0xcc5e120
	v_mov_b32_e32 v12, 0x404faa9e
	v_fma_f64 v[11:12], v[2:3], s[34:35], v[11:12]
	s_mov_b32 s0, 0xe9ff0cbb
	s_mov_b32 s1, 0xc08357a6
	v_add_u32_e32 v0, s3, v0
	s_mov_b32 s35, 0xc0229eb8
	v_fma_f64 v[11:12], v[4:5], s[0:1], v[11:12]
	v_mul_f64 v[13:14], v[11:12], s[8:9]
	v_cmp_nlt_f64_e32 vcc, s[22:23], v[11:12]
	v_cmp_ngt_f64_e64 s[0:1], s[24:25], v[11:12]
	v_rndne_f64_e32 v[13:14], v[13:14]
	v_fma_f64 v[15:16], v[13:14], s[4:5], v[11:12]
	v_cvt_i32_f64_e32 v9, v[13:14]
	v_fma_f64 v[15:16], v[13:14], s[6:7], v[15:16]
	v_fma_f64 v[17:18], v[15:16], s[10:11], v[6:7]
	;; [unrolled: 1-line block ×10, first 2 shown]
	v_fma_f64 v[17:18], v[15:16], v[17:18], 1.0
	v_fma_f64 v[15:16], v[15:16], v[17:18], 1.0
	v_ldexp_f64 v[13:14], v[15:16], v9
	v_cndmask_b32_e32 v9, v10, v14, vcc
	s_and_b64 vcc, s[0:1], vcc
	v_cndmask_b32_e32 v11, 0, v13, vcc
	v_lshlrev_b64 v[13:14], 3, v[0:1]
	v_cndmask_b32_e64 v12, 0, v9, s[0:1]
	v_add_co_u32_e32 v13, vcc, s2, v13
	v_addc_co_u32_e32 v14, vcc, v8, v14, vcc
	s_mov_b32 s0, 0xd70a3d71
	global_store_dwordx2 v[13:14], v[11:12], off
	v_mov_b32_e32 v11, 0xee5181d3
	v_mov_b32_e32 v12, 0x40533e63
	s_mov_b32 s1, 0xc01470a3
	v_fma_f64 v[11:12], v[2:3], s[0:1], v[11:12]
	s_mov_b32 s0, 0xff43419e
	s_mov_b32 s1, 0xc0abe4a4
	v_add_u32_e32 v0, s3, v0
	v_fma_f64 v[11:12], v[4:5], s[0:1], v[11:12]
	v_mul_f64 v[13:14], v[11:12], s[8:9]
	v_cmp_nlt_f64_e32 vcc, s[22:23], v[11:12]
	v_cmp_ngt_f64_e64 s[0:1], s[24:25], v[11:12]
	v_rndne_f64_e32 v[13:14], v[13:14]
	v_fma_f64 v[15:16], v[13:14], s[4:5], v[11:12]
	v_cvt_i32_f64_e32 v9, v[13:14]
	v_fma_f64 v[15:16], v[13:14], s[6:7], v[15:16]
	v_fma_f64 v[17:18], v[15:16], s[10:11], v[6:7]
	;; [unrolled: 1-line block ×10, first 2 shown]
	v_fma_f64 v[17:18], v[15:16], v[17:18], 1.0
	v_fma_f64 v[15:16], v[15:16], v[17:18], 1.0
	v_ldexp_f64 v[13:14], v[15:16], v9
	v_cndmask_b32_e32 v9, v10, v14, vcc
	s_and_b64 vcc, s[0:1], vcc
	v_cndmask_b32_e32 v11, 0, v13, vcc
	v_lshlrev_b64 v[13:14], 3, v[0:1]
	v_cndmask_b32_e64 v12, 0, v9, s[0:1]
	v_add_co_u32_e32 v13, vcc, s2, v13
	v_addc_co_u32_e32 v14, vcc, v8, v14, vcc
	global_store_dwordx2 v[13:14], v[11:12], off
	v_mov_b32_e32 v11, 0xb60bc028
	v_mov_b32_e32 v12, 0x4051776c
	v_fma_f64 v[11:12], v[2:3], s[40:41], v[11:12]
	s_mov_b32 s0, 0xf3775b81
	s_mov_b32 s1, 0xc0a5dbc4
	v_add_u32_e32 v0, s3, v0
	s_mov_b32 s41, 0xc00b3333
	v_fma_f64 v[11:12], v[4:5], s[0:1], v[11:12]
	v_mul_f64 v[13:14], v[11:12], s[8:9]
	v_cmp_nlt_f64_e32 vcc, s[22:23], v[11:12]
	v_cmp_ngt_f64_e64 s[0:1], s[24:25], v[11:12]
	v_rndne_f64_e32 v[13:14], v[13:14]
	v_fma_f64 v[15:16], v[13:14], s[4:5], v[11:12]
	v_cvt_i32_f64_e32 v9, v[13:14]
	v_fma_f64 v[15:16], v[13:14], s[6:7], v[15:16]
	v_fma_f64 v[17:18], v[15:16], s[10:11], v[6:7]
	v_fma_f64 v[17:18], v[15:16], v[17:18], s[12:13]
	v_fma_f64 v[17:18], v[15:16], v[17:18], s[14:15]
	v_fma_f64 v[17:18], v[15:16], v[17:18], s[16:17]
	v_fma_f64 v[17:18], v[15:16], v[17:18], s[18:19]
	v_fma_f64 v[17:18], v[15:16], v[17:18], s[20:21]
	v_fma_f64 v[17:18], v[15:16], v[17:18], s[26:27]
	v_fma_f64 v[17:18], v[15:16], v[17:18], s[28:29]
	v_fma_f64 v[17:18], v[15:16], v[17:18], s[30:31]
	v_fma_f64 v[17:18], v[15:16], v[17:18], 1.0
	v_fma_f64 v[15:16], v[15:16], v[17:18], 1.0
	v_ldexp_f64 v[13:14], v[15:16], v9
	v_cndmask_b32_e32 v9, v10, v14, vcc
	s_and_b64 vcc, s[0:1], vcc
	v_cndmask_b32_e32 v11, 0, v13, vcc
	v_lshlrev_b64 v[13:14], 3, v[0:1]
	v_cndmask_b32_e64 v12, 0, v9, s[0:1]
	v_add_co_u32_e32 v13, vcc, s2, v13
	v_addc_co_u32_e32 v14, vcc, v8, v14, vcc
	s_mov_b32 s0, 0x70a3d70a
	global_store_dwordx2 v[13:14], v[11:12], off
	v_mov_b32_e32 v11, 0x5d2dd880
	v_mov_b32_e32 v12, 0x4053391c
	s_mov_b32 s1, 0xc0130a3d
	v_fma_f64 v[11:12], v[2:3], s[0:1], v[11:12]
	s_mov_b32 s0, 0x9bf9c63
	s_mov_b32 s1, 0xc0932f65
	v_add_u32_e32 v0, s3, v0
	v_fma_f64 v[11:12], v[4:5], s[0:1], v[11:12]
	v_mul_f64 v[13:14], v[11:12], s[8:9]
	v_cmp_nlt_f64_e32 vcc, s[22:23], v[11:12]
	v_cmp_ngt_f64_e64 s[0:1], s[24:25], v[11:12]
	v_rndne_f64_e32 v[13:14], v[13:14]
	v_fma_f64 v[15:16], v[13:14], s[4:5], v[11:12]
	v_cvt_i32_f64_e32 v9, v[13:14]
	v_fma_f64 v[15:16], v[13:14], s[6:7], v[15:16]
	v_fma_f64 v[17:18], v[15:16], s[10:11], v[6:7]
	v_fma_f64 v[17:18], v[15:16], v[17:18], s[12:13]
	v_fma_f64 v[17:18], v[15:16], v[17:18], s[14:15]
	v_fma_f64 v[17:18], v[15:16], v[17:18], s[16:17]
	v_fma_f64 v[17:18], v[15:16], v[17:18], s[18:19]
	v_fma_f64 v[17:18], v[15:16], v[17:18], s[20:21]
	v_fma_f64 v[17:18], v[15:16], v[17:18], s[26:27]
	v_fma_f64 v[17:18], v[15:16], v[17:18], s[28:29]
	v_fma_f64 v[17:18], v[15:16], v[17:18], s[30:31]
	v_fma_f64 v[17:18], v[15:16], v[17:18], 1.0
	v_fma_f64 v[15:16], v[15:16], v[17:18], 1.0
	v_ldexp_f64 v[13:14], v[15:16], v9
	v_cndmask_b32_e32 v9, v10, v14, vcc
	s_and_b64 vcc, s[0:1], vcc
	v_cndmask_b32_e32 v11, 0, v13, vcc
	v_lshlrev_b64 v[13:14], 3, v[0:1]
	v_cndmask_b32_e64 v12, 0, v9, s[0:1]
	v_add_co_u32_e32 v13, vcc, s2, v13
	v_addc_co_u32_e32 v14, vcc, v8, v14, vcc
	s_mov_b32 s0, 0x56041893
	global_store_dwordx2 v[13:14], v[11:12], off
	v_mov_b32_e32 v11, 0xb0292817
	v_mov_b32_e32 v12, 0x405bd400
	s_mov_b32 s1, 0xc0232d0e
	v_fma_f64 v[11:12], v[2:3], s[0:1], v[11:12]
	s_mov_b32 s0, 0x5c28f5c3
	s_mov_b32 s1, 0xc0a40ccf
	v_add_u32_e32 v0, s3, v0
	;; [unrolled: 36-line block ×3, first 2 shown]
	v_fma_f64 v[11:12], v[4:5], s[0:1], v[11:12]
	v_mul_f64 v[13:14], v[11:12], s[8:9]
	v_cmp_nlt_f64_e32 vcc, s[22:23], v[11:12]
	v_cmp_ngt_f64_e64 s[0:1], s[24:25], v[11:12]
	v_rndne_f64_e32 v[13:14], v[13:14]
	v_fma_f64 v[15:16], v[13:14], s[4:5], v[11:12]
	v_cvt_i32_f64_e32 v9, v[13:14]
	v_fma_f64 v[15:16], v[13:14], s[6:7], v[15:16]
	v_fma_f64 v[17:18], v[15:16], s[10:11], v[6:7]
	;; [unrolled: 1-line block ×10, first 2 shown]
	v_fma_f64 v[17:18], v[15:16], v[17:18], 1.0
	v_fma_f64 v[15:16], v[15:16], v[17:18], 1.0
	v_ldexp_f64 v[13:14], v[15:16], v9
	v_cndmask_b32_e32 v9, v10, v14, vcc
	s_and_b64 vcc, s[0:1], vcc
	v_cndmask_b32_e32 v11, 0, v13, vcc
	v_lshlrev_b64 v[13:14], 3, v[0:1]
	v_cndmask_b32_e64 v12, 0, v9, s[0:1]
	v_add_co_u32_e32 v13, vcc, s2, v13
	v_addc_co_u32_e32 v14, vcc, v8, v14, vcc
	global_store_dwordx2 v[13:14], v[11:12], off
	v_mov_b32_e32 v11, 0xa2fc18eb
	v_mov_b32_e32 v12, 0x4041b7a9
	v_fma_f64 v[11:12], v[2:3], s[38:39], v[11:12]
	s_mov_b32 s0, 0x93dd97f6
	s_mov_b32 s1, 0xc0d86c77
	v_add_u32_e32 v0, s3, v0
	s_mov_b32 s39, 0xc01e7ae1
	v_fma_f64 v[11:12], v[4:5], s[0:1], v[11:12]
	v_mul_f64 v[13:14], v[11:12], s[8:9]
	v_cmp_nlt_f64_e32 vcc, s[22:23], v[11:12]
	v_cmp_ngt_f64_e64 s[0:1], s[24:25], v[11:12]
	v_rndne_f64_e32 v[13:14], v[13:14]
	v_fma_f64 v[15:16], v[13:14], s[4:5], v[11:12]
	v_cvt_i32_f64_e32 v9, v[13:14]
	v_fma_f64 v[15:16], v[13:14], s[6:7], v[15:16]
	v_fma_f64 v[17:18], v[15:16], s[10:11], v[6:7]
	;; [unrolled: 1-line block ×10, first 2 shown]
	v_fma_f64 v[17:18], v[15:16], v[17:18], 1.0
	v_fma_f64 v[15:16], v[15:16], v[17:18], 1.0
	v_ldexp_f64 v[13:14], v[15:16], v9
	v_cndmask_b32_e32 v9, v10, v14, vcc
	s_and_b64 vcc, s[0:1], vcc
	v_cndmask_b32_e32 v11, 0, v13, vcc
	v_lshlrev_b64 v[13:14], 3, v[0:1]
	v_cndmask_b32_e64 v12, 0, v9, s[0:1]
	v_add_co_u32_e32 v13, vcc, s2, v13
	v_addc_co_u32_e32 v14, vcc, v8, v14, vcc
	global_store_dwordx2 v[13:14], v[11:12], off
	v_mov_b32_e32 v11, 0x54690de
	v_mov_b32_e32 v12, 0x404f8e4e
	v_fma_f64 v[11:12], v[2:3], s[40:41], v[11:12]
	s_mov_b32 s0, 0xce703afb
	s_mov_b32 s1, 0xc0d197a0
	v_add_u32_e32 v0, s3, v0
	v_fma_f64 v[11:12], v[4:5], s[0:1], v[11:12]
	v_mul_f64 v[13:14], v[11:12], s[8:9]
	v_cmp_nlt_f64_e32 vcc, s[22:23], v[11:12]
	v_cmp_ngt_f64_e64 s[0:1], s[24:25], v[11:12]
	v_rndne_f64_e32 v[13:14], v[13:14]
	v_fma_f64 v[15:16], v[13:14], s[4:5], v[11:12]
	v_cvt_i32_f64_e32 v9, v[13:14]
	v_fma_f64 v[15:16], v[13:14], s[6:7], v[15:16]
	v_fma_f64 v[17:18], v[15:16], s[10:11], v[6:7]
	;; [unrolled: 1-line block ×10, first 2 shown]
	v_fma_f64 v[17:18], v[15:16], v[17:18], 1.0
	v_fma_f64 v[15:16], v[15:16], v[17:18], 1.0
	v_ldexp_f64 v[13:14], v[15:16], v9
	v_cndmask_b32_e32 v9, v10, v14, vcc
	s_and_b64 vcc, s[0:1], vcc
	v_cndmask_b32_e32 v11, 0, v13, vcc
	v_lshlrev_b64 v[13:14], 3, v[0:1]
	v_cndmask_b32_e64 v12, 0, v9, s[0:1]
	v_add_co_u32_e32 v13, vcc, s2, v13
	v_addc_co_u32_e32 v14, vcc, v8, v14, vcc
	global_store_dwordx2 v[13:14], v[11:12], off
	v_mov_b32_e32 v11, 0x60e6caa5
	v_mov_b32_e32 v12, 0x4057ef6c
	v_fma_f64 v[11:12], v[2:3], s[36:37], v[11:12]
	s_mov_b32 s0, 0x414a4d2b
	s_mov_b32 s1, 0xc0b76447
	v_add_u32_e32 v0, s3, v0
	s_mov_b32 s37, 0xc00ee147
	s_mov_b32 s36, 0xae147ae1
	v_fma_f64 v[11:12], v[4:5], s[0:1], v[11:12]
	v_mul_f64 v[13:14], v[11:12], s[8:9]
	v_cmp_nlt_f64_e32 vcc, s[22:23], v[11:12]
	v_cmp_ngt_f64_e64 s[0:1], s[24:25], v[11:12]
	v_rndne_f64_e32 v[13:14], v[13:14]
	v_fma_f64 v[15:16], v[13:14], s[4:5], v[11:12]
	v_cvt_i32_f64_e32 v9, v[13:14]
	v_fma_f64 v[15:16], v[13:14], s[6:7], v[15:16]
	v_fma_f64 v[17:18], v[15:16], s[10:11], v[6:7]
	;; [unrolled: 1-line block ×10, first 2 shown]
	v_fma_f64 v[17:18], v[15:16], v[17:18], 1.0
	v_fma_f64 v[15:16], v[15:16], v[17:18], 1.0
	v_ldexp_f64 v[13:14], v[15:16], v9
	v_cndmask_b32_e32 v9, v10, v14, vcc
	s_and_b64 vcc, s[0:1], vcc
	v_cndmask_b32_e32 v11, 0, v13, vcc
	v_lshlrev_b64 v[13:14], 3, v[0:1]
	v_cndmask_b32_e64 v12, 0, v9, s[0:1]
	v_add_co_u32_e32 v13, vcc, s2, v13
	v_addc_co_u32_e32 v14, vcc, v8, v14, vcc
	global_store_dwordx2 v[13:14], v[11:12], off
	v_mov_b32_e32 v11, 0x62b6ae7d
	v_mov_b32_e32 v12, 0x40515a7f
	v_fma_f64 v[11:12], v[2:3], s[36:37], v[11:12]
	s_mov_b32 s0, 0xa4e7ab75
	s_mov_b32 s1, 0xc09a1ab7
	v_add_u32_e32 v0, s3, v0
	s_mov_b32 s37, 0xc027e147
	v_fma_f64 v[11:12], v[4:5], s[0:1], v[11:12]
	v_mul_f64 v[13:14], v[11:12], s[8:9]
	v_cmp_nlt_f64_e32 vcc, s[22:23], v[11:12]
	v_cmp_ngt_f64_e64 s[0:1], s[24:25], v[11:12]
	v_rndne_f64_e32 v[13:14], v[13:14]
	v_fma_f64 v[15:16], v[13:14], s[4:5], v[11:12]
	v_cvt_i32_f64_e32 v9, v[13:14]
	v_fma_f64 v[15:16], v[13:14], s[6:7], v[15:16]
	v_fma_f64 v[17:18], v[15:16], s[10:11], v[6:7]
	;; [unrolled: 1-line block ×10, first 2 shown]
	v_fma_f64 v[17:18], v[15:16], v[17:18], 1.0
	v_fma_f64 v[15:16], v[15:16], v[17:18], 1.0
	v_ldexp_f64 v[13:14], v[15:16], v9
	v_cndmask_b32_e32 v9, v10, v14, vcc
	s_and_b64 vcc, s[0:1], vcc
	v_cndmask_b32_e32 v11, 0, v13, vcc
	v_lshlrev_b64 v[13:14], 3, v[0:1]
	v_cndmask_b32_e64 v12, 0, v9, s[0:1]
	v_add_co_u32_e32 v13, vcc, s2, v13
	v_addc_co_u32_e32 v14, vcc, v8, v14, vcc
	global_store_dwordx2 v[13:14], v[11:12], off
	v_mov_b32_e32 v11, 0xb07d0aee
	v_mov_b32_e32 v12, 0x4060e00c
	v_fma_f64 v[11:12], v[2:3], s[36:37], v[11:12]
	s_mov_b32 s0, 0x81d7dbf5
	s_mov_b32 s1, 0xc0b33453
	v_add_u32_e32 v0, s3, v0
	v_fma_f64 v[11:12], v[4:5], s[0:1], v[11:12]
	v_mul_f64 v[13:14], v[11:12], s[8:9]
	v_cmp_nlt_f64_e32 vcc, s[22:23], v[11:12]
	v_cmp_ngt_f64_e64 s[0:1], s[24:25], v[11:12]
	v_rndne_f64_e32 v[13:14], v[13:14]
	v_fma_f64 v[15:16], v[13:14], s[4:5], v[11:12]
	v_cvt_i32_f64_e32 v9, v[13:14]
	v_fma_f64 v[15:16], v[13:14], s[6:7], v[15:16]
	v_fma_f64 v[17:18], v[15:16], s[10:11], v[6:7]
	;; [unrolled: 1-line block ×10, first 2 shown]
	v_fma_f64 v[17:18], v[15:16], v[17:18], 1.0
	v_fma_f64 v[15:16], v[15:16], v[17:18], 1.0
	v_ldexp_f64 v[13:14], v[15:16], v9
	v_cndmask_b32_e32 v9, v10, v14, vcc
	s_and_b64 vcc, s[0:1], vcc
	v_cndmask_b32_e32 v11, 0, v13, vcc
	v_lshlrev_b64 v[13:14], 3, v[0:1]
	v_cndmask_b32_e64 v12, 0, v9, s[0:1]
	v_add_co_u32_e32 v13, vcc, s2, v13
	v_addc_co_u32_e32 v14, vcc, v8, v14, vcc
	s_mov_b32 s0, 0xc49ba5e3
	global_store_dwordx2 v[13:14], v[11:12], off
	v_mov_b32_e32 v11, 0x3c6ff2d7
	v_mov_b32_e32 v12, 0x4056dcc4
	s_mov_b32 s1, 0xc01d3020
	v_fma_f64 v[11:12], v[2:3], s[0:1], v[11:12]
	s_mov_b32 s0, 0x970f7b9e
	s_mov_b32 s1, 0xc0a27a3c
	v_add_u32_e32 v0, s3, v0
	v_fma_f64 v[11:12], v[4:5], s[0:1], v[11:12]
	v_mul_f64 v[13:14], v[11:12], s[8:9]
	v_cmp_nlt_f64_e32 vcc, s[22:23], v[11:12]
	v_cmp_ngt_f64_e64 s[0:1], s[24:25], v[11:12]
	v_rndne_f64_e32 v[13:14], v[13:14]
	v_fma_f64 v[15:16], v[13:14], s[4:5], v[11:12]
	v_cvt_i32_f64_e32 v9, v[13:14]
	v_fma_f64 v[15:16], v[13:14], s[6:7], v[15:16]
	v_fma_f64 v[17:18], v[15:16], s[10:11], v[6:7]
	v_fma_f64 v[17:18], v[15:16], v[17:18], s[12:13]
	v_fma_f64 v[17:18], v[15:16], v[17:18], s[14:15]
	v_fma_f64 v[17:18], v[15:16], v[17:18], s[16:17]
	v_fma_f64 v[17:18], v[15:16], v[17:18], s[18:19]
	v_fma_f64 v[17:18], v[15:16], v[17:18], s[20:21]
	v_fma_f64 v[17:18], v[15:16], v[17:18], s[26:27]
	v_fma_f64 v[17:18], v[15:16], v[17:18], s[28:29]
	v_fma_f64 v[17:18], v[15:16], v[17:18], s[30:31]
	v_fma_f64 v[17:18], v[15:16], v[17:18], 1.0
	v_fma_f64 v[15:16], v[15:16], v[17:18], 1.0
	v_ldexp_f64 v[13:14], v[15:16], v9
	v_cndmask_b32_e32 v9, v10, v14, vcc
	s_and_b64 vcc, s[0:1], vcc
	v_cndmask_b32_e32 v11, 0, v13, vcc
	v_lshlrev_b64 v[13:14], 3, v[0:1]
	v_cndmask_b32_e64 v12, 0, v9, s[0:1]
	v_add_co_u32_e32 v13, vcc, s2, v13
	v_addc_co_u32_e32 v14, vcc, v8, v14, vcc
	global_store_dwordx2 v[13:14], v[11:12], off
	v_mov_b32_e32 v11, 0x80dc3372
	v_mov_b32_e32 v12, 0x405d44cf
	v_fma_f64 v[11:12], v[2:3], s[34:35], v[11:12]
	s_mov_b32 s0, 0xecbfb15b
	s_mov_b32 s1, 0xc0e88966
	v_add_u32_e32 v0, s3, v0
	v_fma_f64 v[11:12], v[4:5], s[0:1], v[11:12]
	v_mul_f64 v[13:14], v[11:12], s[8:9]
	v_cmp_nlt_f64_e32 vcc, s[22:23], v[11:12]
	v_cmp_ngt_f64_e64 s[0:1], s[24:25], v[11:12]
	v_rndne_f64_e32 v[13:14], v[13:14]
	v_fma_f64 v[15:16], v[13:14], s[4:5], v[11:12]
	v_cvt_i32_f64_e32 v9, v[13:14]
	v_fma_f64 v[15:16], v[13:14], s[6:7], v[15:16]
	v_fma_f64 v[17:18], v[15:16], s[10:11], v[6:7]
	;; [unrolled: 1-line block ×10, first 2 shown]
	v_fma_f64 v[17:18], v[15:16], v[17:18], 1.0
	v_fma_f64 v[15:16], v[15:16], v[17:18], 1.0
	v_ldexp_f64 v[13:14], v[15:16], v9
	v_cndmask_b32_e32 v9, v10, v14, vcc
	s_and_b64 vcc, s[0:1], vcc
	v_cndmask_b32_e32 v11, 0, v13, vcc
	v_lshlrev_b64 v[13:14], 3, v[0:1]
	v_cndmask_b32_e64 v12, 0, v9, s[0:1]
	v_add_co_u32_e32 v13, vcc, s2, v13
	v_addc_co_u32_e32 v14, vcc, v8, v14, vcc
	global_store_dwordx2 v[13:14], v[11:12], off
	v_mov_b32_e32 v11, 0x6e8f29d4
	v_mov_b32_e32 v12, 0x40583904
	v_fma_f64 v[11:12], v[2:3], s[38:39], v[11:12]
	s_mov_b32 s0, 0x2085b185
	s_mov_b32 s1, 0xc0ab66d7
	v_add_u32_e32 v0, s3, v0
	v_fma_f64 v[11:12], v[4:5], s[0:1], v[11:12]
	v_mul_f64 v[13:14], v[11:12], s[8:9]
	v_cmp_nlt_f64_e32 vcc, s[22:23], v[11:12]
	v_cmp_ngt_f64_e64 s[0:1], s[24:25], v[11:12]
	v_rndne_f64_e32 v[13:14], v[13:14]
	v_fma_f64 v[15:16], v[13:14], s[4:5], v[11:12]
	v_cvt_i32_f64_e32 v9, v[13:14]
	v_fma_f64 v[15:16], v[13:14], s[6:7], v[15:16]
	v_fma_f64 v[17:18], v[15:16], s[10:11], v[6:7]
	v_fma_f64 v[17:18], v[15:16], v[17:18], s[12:13]
	v_fma_f64 v[17:18], v[15:16], v[17:18], s[14:15]
	v_fma_f64 v[17:18], v[15:16], v[17:18], s[16:17]
	v_fma_f64 v[17:18], v[15:16], v[17:18], s[18:19]
	v_fma_f64 v[17:18], v[15:16], v[17:18], s[20:21]
	v_fma_f64 v[17:18], v[15:16], v[17:18], s[26:27]
	v_fma_f64 v[17:18], v[15:16], v[17:18], s[28:29]
	v_fma_f64 v[17:18], v[15:16], v[17:18], s[30:31]
	v_fma_f64 v[17:18], v[15:16], v[17:18], 1.0
	v_fma_f64 v[15:16], v[15:16], v[17:18], 1.0
	v_ldexp_f64 v[13:14], v[15:16], v9
	v_cndmask_b32_e32 v9, v10, v14, vcc
	s_and_b64 vcc, s[0:1], vcc
	v_cndmask_b32_e32 v11, 0, v13, vcc
	v_lshlrev_b64 v[13:14], 3, v[0:1]
	v_cndmask_b32_e64 v12, 0, v9, s[0:1]
	v_add_co_u32_e32 v13, vcc, s2, v13
	v_addc_co_u32_e32 v14, vcc, v8, v14, vcc
	s_mov_b32 s0, 0x851eb852
	global_store_dwordx2 v[13:14], v[11:12], off
	v_mov_b32_e32 v11, 0x1e92923e
	v_mov_b32_e32 v12, 0x4057c606
	s_mov_b32 s1, 0xc01c51eb
	v_fma_f64 v[11:12], v[2:3], s[0:1], v[11:12]
	s_mov_b32 s0, 0xc044284e
	s_mov_b32 s1, 0xc0aa4801
	v_add_u32_e32 v0, s3, v0
	v_fma_f64 v[11:12], v[4:5], s[0:1], v[11:12]
	v_mul_f64 v[13:14], v[11:12], s[8:9]
	v_cmp_nlt_f64_e32 vcc, s[22:23], v[11:12]
	v_cmp_ngt_f64_e64 s[0:1], s[24:25], v[11:12]
	v_rndne_f64_e32 v[13:14], v[13:14]
	v_fma_f64 v[15:16], v[13:14], s[4:5], v[11:12]
	v_cvt_i32_f64_e32 v9, v[13:14]
	v_fma_f64 v[15:16], v[13:14], s[6:7], v[15:16]
	v_fma_f64 v[17:18], v[15:16], s[10:11], v[6:7]
	v_fma_f64 v[17:18], v[15:16], v[17:18], s[12:13]
	v_fma_f64 v[17:18], v[15:16], v[17:18], s[14:15]
	v_fma_f64 v[17:18], v[15:16], v[17:18], s[16:17]
	v_fma_f64 v[17:18], v[15:16], v[17:18], s[18:19]
	v_fma_f64 v[17:18], v[15:16], v[17:18], s[20:21]
	v_fma_f64 v[17:18], v[15:16], v[17:18], s[26:27]
	v_fma_f64 v[17:18], v[15:16], v[17:18], s[28:29]
	v_fma_f64 v[17:18], v[15:16], v[17:18], s[30:31]
	v_fma_f64 v[17:18], v[15:16], v[17:18], 1.0
	v_fma_f64 v[15:16], v[15:16], v[17:18], 1.0
	v_ldexp_f64 v[13:14], v[15:16], v9
	v_cndmask_b32_e32 v9, v10, v14, vcc
	s_and_b64 vcc, s[0:1], vcc
	v_cndmask_b32_e32 v11, 0, v13, vcc
	v_lshlrev_b64 v[13:14], 3, v[0:1]
	v_cndmask_b32_e64 v12, 0, v9, s[0:1]
	v_add_co_u32_e32 v13, vcc, s2, v13
	v_addc_co_u32_e32 v14, vcc, v8, v14, vcc
	s_mov_b32 s0, 0
	global_store_dwordx2 v[13:14], v[11:12], off
	v_mov_b32_e32 v11, 0xd0917d6b
	v_mov_b32_e32 v12, 0x40614e16
	s_mov_b32 s1, 0xc0280000
	;; [unrolled: 36-line block ×3, first 2 shown]
	v_fma_f64 v[2:3], v[2:3], s[0:1], v[11:12]
	s_mov_b32 s0, 0x88f861a6
	s_mov_b32 s1, 0xc0ab8508
	v_add_u32_e32 v0, s3, v0
	v_lshlrev_b64 v[0:1], 3, v[0:1]
	v_fma_f64 v[2:3], v[4:5], s[0:1], v[2:3]
	v_mul_f64 v[4:5], v[2:3], s[8:9]
	v_cmp_nlt_f64_e32 vcc, s[22:23], v[2:3]
	v_cmp_ngt_f64_e64 s[0:1], s[24:25], v[2:3]
	v_rndne_f64_e32 v[4:5], v[4:5]
	v_fma_f64 v[11:12], v[4:5], s[4:5], v[2:3]
	v_fma_f64 v[11:12], v[4:5], s[6:7], v[11:12]
	v_cvt_i32_f64_e32 v4, v[4:5]
	v_fma_f64 v[6:7], v[11:12], s[10:11], v[6:7]
	v_fma_f64 v[6:7], v[11:12], v[6:7], s[12:13]
	v_fma_f64 v[6:7], v[11:12], v[6:7], s[14:15]
	v_fma_f64 v[6:7], v[11:12], v[6:7], s[16:17]
	v_fma_f64 v[6:7], v[11:12], v[6:7], s[18:19]
	v_fma_f64 v[6:7], v[11:12], v[6:7], s[20:21]
	v_fma_f64 v[6:7], v[11:12], v[6:7], s[26:27]
	v_fma_f64 v[6:7], v[11:12], v[6:7], s[28:29]
	v_fma_f64 v[6:7], v[11:12], v[6:7], s[30:31]
	v_fma_f64 v[6:7], v[11:12], v[6:7], 1.0
	v_fma_f64 v[6:7], v[11:12], v[6:7], 1.0
	v_ldexp_f64 v[4:5], v[6:7], v4
	v_cndmask_b32_e32 v5, v10, v5, vcc
	s_and_b64 vcc, s[0:1], vcc
	v_cndmask_b32_e32 v2, 0, v4, vcc
	v_add_co_u32_e32 v0, vcc, s2, v0
	v_cndmask_b32_e64 v3, 0, v5, s[0:1]
	v_addc_co_u32_e32 v1, vcc, v8, v1, vcc
	global_store_dwordx2 v[0:1], v[2:3], off
	s_endpgm
	.section	.rodata,"a",@progbits
	.p2align	6, 0x0
	.amdhsa_kernel _Z13ratt10_kernelIdEvPKT_PS0_S0_
		.amdhsa_group_segment_fixed_size 0
		.amdhsa_private_segment_fixed_size 0
		.amdhsa_kernarg_size 280
		.amdhsa_user_sgpr_count 6
		.amdhsa_user_sgpr_private_segment_buffer 1
		.amdhsa_user_sgpr_dispatch_ptr 0
		.amdhsa_user_sgpr_queue_ptr 0
		.amdhsa_user_sgpr_kernarg_segment_ptr 1
		.amdhsa_user_sgpr_dispatch_id 0
		.amdhsa_user_sgpr_flat_scratch_init 0
		.amdhsa_user_sgpr_private_segment_size 0
		.amdhsa_uses_dynamic_stack 0
		.amdhsa_system_sgpr_private_segment_wavefront_offset 0
		.amdhsa_system_sgpr_workgroup_id_x 1
		.amdhsa_system_sgpr_workgroup_id_y 0
		.amdhsa_system_sgpr_workgroup_id_z 0
		.amdhsa_system_sgpr_workgroup_info 0
		.amdhsa_system_vgpr_workitem_id 0
		.amdhsa_next_free_vgpr 21
		.amdhsa_next_free_sgpr 42
		.amdhsa_reserve_vcc 1
		.amdhsa_reserve_flat_scratch 0
		.amdhsa_float_round_mode_32 0
		.amdhsa_float_round_mode_16_64 0
		.amdhsa_float_denorm_mode_32 3
		.amdhsa_float_denorm_mode_16_64 3
		.amdhsa_dx10_clamp 1
		.amdhsa_ieee_mode 1
		.amdhsa_fp16_overflow 0
		.amdhsa_exception_fp_ieee_invalid_op 0
		.amdhsa_exception_fp_denorm_src 0
		.amdhsa_exception_fp_ieee_div_zero 0
		.amdhsa_exception_fp_ieee_overflow 0
		.amdhsa_exception_fp_ieee_underflow 0
		.amdhsa_exception_fp_ieee_inexact 0
		.amdhsa_exception_int_div_zero 0
	.end_amdhsa_kernel
	.section	.text._Z13ratt10_kernelIdEvPKT_PS0_S0_,"axG",@progbits,_Z13ratt10_kernelIdEvPKT_PS0_S0_,comdat
.Lfunc_end38:
	.size	_Z13ratt10_kernelIdEvPKT_PS0_S0_, .Lfunc_end38-_Z13ratt10_kernelIdEvPKT_PS0_S0_
                                        ; -- End function
	.set _Z13ratt10_kernelIdEvPKT_PS0_S0_.num_vgpr, 21
	.set _Z13ratt10_kernelIdEvPKT_PS0_S0_.num_agpr, 0
	.set _Z13ratt10_kernelIdEvPKT_PS0_S0_.numbered_sgpr, 42
	.set _Z13ratt10_kernelIdEvPKT_PS0_S0_.num_named_barrier, 0
	.set _Z13ratt10_kernelIdEvPKT_PS0_S0_.private_seg_size, 0
	.set _Z13ratt10_kernelIdEvPKT_PS0_S0_.uses_vcc, 1
	.set _Z13ratt10_kernelIdEvPKT_PS0_S0_.uses_flat_scratch, 0
	.set _Z13ratt10_kernelIdEvPKT_PS0_S0_.has_dyn_sized_stack, 0
	.set _Z13ratt10_kernelIdEvPKT_PS0_S0_.has_recursion, 0
	.set _Z13ratt10_kernelIdEvPKT_PS0_S0_.has_indirect_call, 0
	.section	.AMDGPU.csdata,"",@progbits
; Kernel info:
; codeLenInByte = 6440
; TotalNumSgprs: 46
; NumVgprs: 21
; ScratchSize: 0
; MemoryBound: 0
; FloatMode: 240
; IeeeMode: 1
; LDSByteSize: 0 bytes/workgroup (compile time only)
; SGPRBlocks: 5
; VGPRBlocks: 5
; NumSGPRsForWavesPerEU: 46
; NumVGPRsForWavesPerEU: 21
; Occupancy: 10
; WaveLimiterHint : 0
; COMPUTE_PGM_RSRC2:SCRATCH_EN: 0
; COMPUTE_PGM_RSRC2:USER_SGPR: 6
; COMPUTE_PGM_RSRC2:TRAP_HANDLER: 0
; COMPUTE_PGM_RSRC2:TGID_X_EN: 1
; COMPUTE_PGM_RSRC2:TGID_Y_EN: 0
; COMPUTE_PGM_RSRC2:TGID_Z_EN: 0
; COMPUTE_PGM_RSRC2:TIDIG_COMP_CNT: 0
	.section	.text._Z11ratx_kernelIdEvPKT_S2_PS0_S3_S2_S0_,"axG",@progbits,_Z11ratx_kernelIdEvPKT_S2_PS0_S3_S2_S0_,comdat
	.protected	_Z11ratx_kernelIdEvPKT_S2_PS0_S3_S2_S0_ ; -- Begin function _Z11ratx_kernelIdEvPKT_S2_PS0_S3_S2_S0_
	.globl	_Z11ratx_kernelIdEvPKT_S2_PS0_S3_S2_S0_
	.p2align	8
	.type	_Z11ratx_kernelIdEvPKT_S2_PS0_S3_S2_S0_,@function
_Z11ratx_kernelIdEvPKT_S2_PS0_S3_S2_S0_: ; @_Z11ratx_kernelIdEvPKT_S2_PS0_S3_S2_S0_
; %bb.0:
	s_mov_b64 s[82:83], s[2:3]
	s_mov_b64 s[80:81], s[0:1]
	s_load_dwordx8 s[8:15], s[4:5], 0x0
	s_load_dwordx4 s[16:19], s[4:5], 0x20
	s_load_dword s33, s[4:5], 0x30
	s_load_dword s0, s[4:5], 0x3c
	s_add_u32 s80, s80, s7
	s_addc_u32 s81, s81, 0
	v_mov_b32_e32 v7, 0
	s_waitcnt lgkmcnt(0)
	v_mov_b32_e32 v3, s9
	s_and_b32 s0, s0, 0xffff
	s_mul_i32 s6, s6, s0
	v_add_u32_e32 v6, s6, v0
	v_lshlrev_b64 v[0:1], 3, v[6:7]
	v_mov_b32_e32 v28, s11
	v_add_co_u32_e32 v2, vcc, s8, v0
	v_addc_co_u32_e32 v3, vcc, v3, v1, vcc
	v_add_co_u32_e32 v4, vcc, s10, v0
	v_addc_co_u32_e32 v5, vcc, v28, v1, vcc
	global_load_dwordx2 v[4:5], v[4:5], off
	s_mul_i32 s33, s33, s0
	v_add_u32_e32 v6, s33, v6
	v_lshlrev_b64 v[34:35], 3, v[6:7]
	v_add_u32_e32 v6, s33, v6
	v_add_co_u32_e32 v10, vcc, s10, v34
	v_addc_co_u32_e32 v11, vcc, v28, v35, vcc
	global_load_dwordx2 v[10:11], v[10:11], off
	s_mov_b32 s0, 0
	global_load_dwordx2 v[2:3], v[2:3], off
	s_mov_b32 s1, 0x40140000
	v_mov_b32_e32 v63, s17
	s_mov_b32 s56, 0
	s_mov_b32 s57, 0x38100000
	;; [unrolled: 1-line block ×26, first 2 shown]
	v_mov_b32_e32 v55, 0x7ff00000
	s_mov_b32 s58, 0x652b82fe
	s_mov_b32 s59, 0x3ff71547
	;; [unrolled: 1-line block ×39, first 2 shown]
	s_waitcnt vmcnt(2)
	v_add_f64 v[8:9], v[4:5], 0
	s_mov_b32 s75, 0x40026bb1
	s_waitcnt vmcnt(1)
	v_add_f64 v[8:9], v[8:9], v[10:11]
	v_lshlrev_b64 v[10:11], 3, v[6:7]
	v_add_u32_e32 v6, s33, v6
	v_add_co_u32_e32 v10, vcc, s10, v10
	v_addc_co_u32_e32 v11, vcc, v28, v11, vcc
	global_load_dwordx2 v[10:11], v[10:11], off
	v_lshlrev_b64 v[32:33], 3, v[6:7]
	v_add_u32_e32 v6, s33, v6
	s_waitcnt vmcnt(1)
	v_mul_f64 v[2:3], s[18:19], v[2:3]
	s_mov_b32 s18, 0x1852b7b0
	s_mov_b32 s19, 0x3f56c16c
	s_waitcnt vmcnt(0)
	v_add_f64 v[8:9], v[8:9], v[10:11]
	v_add_co_u32_e32 v10, vcc, s10, v32
	v_addc_co_u32_e32 v11, vcc, v28, v33, vcc
	global_load_dwordx2 v[10:11], v[10:11], off
	s_waitcnt vmcnt(0)
	v_add_f64 v[8:9], v[8:9], v[10:11]
	v_lshlrev_b64 v[10:11], 3, v[6:7]
	v_add_u32_e32 v6, s33, v6
	v_add_co_u32_e32 v10, vcc, s10, v10
	v_addc_co_u32_e32 v11, vcc, v28, v11, vcc
	global_load_dwordx2 v[10:11], v[10:11], off
	v_lshlrev_b64 v[30:31], 3, v[6:7]
	v_add_u32_e32 v6, s33, v6
	v_lshlrev_b64 v[26:27], 3, v[6:7]
	v_add_u32_e32 v6, s33, v6
	;; [unrolled: 2-line block ×3, first 2 shown]
	s_waitcnt vmcnt(0)
	v_add_f64 v[8:9], v[8:9], v[10:11]
	v_add_co_u32_e32 v10, vcc, s10, v30
	v_addc_co_u32_e32 v11, vcc, v28, v31, vcc
	global_load_dwordx2 v[12:13], v[10:11], off
	v_add_co_u32_e32 v10, vcc, s10, v26
	v_addc_co_u32_e32 v11, vcc, v28, v27, vcc
	global_load_dwordx2 v[10:11], v[10:11], off
	s_waitcnt vmcnt(1)
	v_add_f64 v[8:9], v[8:9], v[12:13]
	s_waitcnt vmcnt(0)
	v_add_f64 v[8:9], v[8:9], v[10:11]
	v_add_co_u32_e32 v10, vcc, s10, v24
	v_addc_co_u32_e32 v11, vcc, v28, v25, vcc
	global_load_dwordx2 v[10:11], v[10:11], off
	s_waitcnt vmcnt(0)
	v_add_f64 v[8:9], v[8:9], v[10:11]
	v_lshlrev_b64 v[10:11], 3, v[6:7]
	v_add_u32_e32 v6, s33, v6
	v_add_co_u32_e32 v10, vcc, s10, v10
	v_addc_co_u32_e32 v11, vcc, v28, v11, vcc
	global_load_dwordx2 v[10:11], v[10:11], off
	v_lshlrev_b64 v[22:23], 3, v[6:7]
	v_add_u32_e32 v6, s33, v6
	s_waitcnt vmcnt(0)
	v_add_f64 v[8:9], v[8:9], v[10:11]
	v_add_co_u32_e32 v10, vcc, s10, v22
	v_addc_co_u32_e32 v11, vcc, v28, v23, vcc
	global_load_dwordx2 v[14:15], v[10:11], off
	v_lshlrev_b64 v[10:11], 3, v[6:7]
	v_add_u32_e32 v6, s33, v6
	v_add_co_u32_e32 v16, vcc, s10, v10
	v_addc_co_u32_e32 v17, vcc, v28, v11, vcc
	global_load_dwordx2 v[16:17], v[16:17], off
	s_waitcnt vmcnt(1)
	v_add_f64 v[8:9], v[8:9], v[14:15]
	s_waitcnt vmcnt(0)
	v_add_f64 v[20:21], v[8:9], v[16:17]
	v_lshlrev_b64 v[8:9], 3, v[6:7]
	buffer_store_dword v8, off, s[80:83], 0 ; 4-byte Folded Spill
	s_nop 0
	buffer_store_dword v9, off, s[80:83], 0 offset:4 ; 4-byte Folded Spill
	v_add_u32_e32 v6, s33, v6
	v_lshlrev_b64 v[36:37], 3, v[6:7]
	v_add_u32_e32 v6, s33, v6
	v_add_co_u32_e32 v18, vcc, s10, v8
	v_addc_co_u32_e32 v19, vcc, v28, v9, vcc
	global_load_dwordx2 v[18:19], v[18:19], off
	v_add_co_u32_e32 v36, vcc, s10, v36
	v_addc_co_u32_e32 v37, vcc, v28, v37, vcc
	global_load_dwordx2 v[36:37], v[36:37], off
	v_mov_b32_e32 v9, s13
	s_waitcnt vmcnt(1)
	v_add_f64 v[20:21], v[20:21], v[18:19]
	s_waitcnt vmcnt(0)
	v_add_f64 v[36:37], v[20:21], v[36:37]
	v_lshlrev_b64 v[20:21], 3, v[6:7]
	v_add_u32_e32 v6, s33, v6
	v_add_co_u32_e32 v20, vcc, s10, v20
	v_addc_co_u32_e32 v21, vcc, v28, v21, vcc
	global_load_dwordx2 v[20:21], v[20:21], off
	v_lshlrev_b64 v[38:39], 3, v[6:7]
	v_add_u32_e32 v6, s33, v6
	v_add_co_u32_e32 v38, vcc, s10, v38
	v_addc_co_u32_e32 v39, vcc, v28, v39, vcc
	global_load_dwordx2 v[38:39], v[38:39], off
	s_waitcnt vmcnt(1)
	v_add_f64 v[36:37], v[36:37], v[20:21]
	s_waitcnt vmcnt(0)
	v_add_f64 v[40:41], v[36:37], v[38:39]
	v_lshlrev_b64 v[36:37], 3, v[6:7]
	v_add_u32_e32 v6, s33, v6
	v_add_co_u32_e32 v42, vcc, s10, v36
	v_addc_co_u32_e32 v43, vcc, v28, v37, vcc
	global_load_dwordx2 v[42:43], v[42:43], off
	v_lshlrev_b64 v[44:45], 3, v[6:7]
	v_add_u32_e32 v6, s33, v6
	v_add_co_u32_e32 v44, vcc, s10, v44
	v_addc_co_u32_e32 v45, vcc, v28, v45, vcc
	global_load_dwordx2 v[44:45], v[44:45], off
	s_waitcnt vmcnt(1)
	v_add_f64 v[40:41], v[40:41], v[42:43]
	s_waitcnt vmcnt(0)
	v_add_f64 v[40:41], v[40:41], v[44:45]
	v_lshlrev_b64 v[44:45], 3, v[6:7]
	v_add_u32_e32 v6, s33, v6
	v_add_co_u32_e32 v44, vcc, s10, v44
	v_addc_co_u32_e32 v45, vcc, v28, v45, vcc
	global_load_dwordx2 v[44:45], v[44:45], off
	s_waitcnt vmcnt(0)
	v_add_f64 v[40:41], v[40:41], v[44:45]
	v_lshlrev_b64 v[44:45], 3, v[6:7]
	v_add_u32_e32 v6, s33, v6
	v_add_co_u32_e32 v44, vcc, s10, v44
	v_addc_co_u32_e32 v45, vcc, v28, v45, vcc
	global_load_dwordx2 v[44:45], v[44:45], off
	;; [unrolled: 7-line block ×4, first 2 shown]
	s_waitcnt vmcnt(0)
	v_add_f64 v[40:41], v[40:41], v[44:45]
	v_lshlrev_b64 v[44:45], 3, v[6:7]
	v_add_co_u32_e32 v44, vcc, s10, v44
	v_addc_co_u32_e32 v45, vcc, v28, v45, vcc
	global_load_dwordx2 v[28:29], v[44:45], off
	v_add_co_u32_e32 v0, vcc, s16, v0
	v_addc_co_u32_e32 v1, vcc, v63, v1, vcc
	global_load_dwordx2 v[0:1], v[0:1], off
	s_mov_b32 s10, 0x14761f6e
	s_mov_b32 s11, 0x3f2a01a0
	s_waitcnt vmcnt(1)
	v_add_f64 v[28:29], v[40:41], v[28:29]
	v_add_f64 v[4:5], v[28:29], v[4:5]
	v_fma_f64 v[4:5], v[12:13], s[0:1], v[4:5]
	s_mov_b32 s0, 0
	s_mov_b32 s1, 0x3ff80000
	v_add_f64 v[4:5], v[14:15], v[4:5]
	v_fma_f64 v[4:5], v[16:17], 0.5, v[4:5]
	v_add_f64 v[4:5], v[18:19], v[4:5]
	v_fma_f64 v[4:5], v[42:43], 2.0, v[4:5]
	v_fma_f64 v[12:13], v[20:21], 2.0, v[4:5]
	v_fma_f64 v[4:5], v[20:21], s[0:1], v[4:5]
	v_fma_f64 v[12:13], v[38:39], 2.0, v[12:13]
	v_fma_f64 v[14:15], v[38:39], s[0:1], v[4:5]
	v_add_co_u32_e32 v38, vcc, s12, v36
	v_addc_co_u32_e32 v39, vcc, v9, v37, vcc
	global_load_dwordx2 v[40:41], v[38:39], off
	s_waitcnt vmcnt(0)
	v_div_scale_f64 v[4:5], s[0:1], v[40:41], v[40:41], 1.0
	v_rcp_f64_e32 v[16:17], v[4:5]
	v_fma_f64 v[18:19], -v[4:5], v[16:17], 1.0
	v_fma_f64 v[16:17], v[16:17], v[18:19], v[16:17]
	v_fma_f64 v[18:19], -v[4:5], v[16:17], 1.0
	v_fma_f64 v[16:17], v[16:17], v[18:19], v[16:17]
	v_div_scale_f64 v[18:19], vcc, 1.0, v[40:41], 1.0
	v_mul_f64 v[20:21], v[18:19], v[16:17]
	v_fma_f64 v[4:5], -v[4:5], v[20:21], v[18:19]
	s_nop 1
	v_div_fmas_f64 v[4:5], v[4:5], v[16:17], v[20:21]
	v_div_fixup_f64 v[4:5], v[4:5], v[40:41], 1.0
	v_mul_f64 v[4:5], v[12:13], v[4:5]
	v_mul_f64 v[16:17], v[0:1], v[4:5]
	v_fma_f64 v[0:1], v[0:1], v[4:5], 1.0
	v_div_scale_f64 v[4:5], s[0:1], v[0:1], v[0:1], 1.0
	s_mov_b32 s0, 0x6b47b09a
	s_mov_b32 s1, 0x3fc38538
	v_rcp_f64_e32 v[18:19], v[4:5]
	v_fma_f64 v[20:21], -v[4:5], v[18:19], 1.0
	v_fma_f64 v[18:19], v[18:19], v[20:21], v[18:19]
	v_fma_f64 v[20:21], -v[4:5], v[18:19], 1.0
	v_fma_f64 v[18:19], v[18:19], v[20:21], v[18:19]
	v_div_scale_f64 v[20:21], vcc, 1.0, v[0:1], 1.0
	v_mul_f64 v[28:29], v[20:21], v[18:19]
	v_fma_f64 v[4:5], -v[4:5], v[28:29], v[20:21]
	s_nop 1
	v_div_fmas_f64 v[4:5], v[4:5], v[18:19], v[28:29]
	v_div_fixup_f64 v[0:1], v[4:5], v[0:1], 1.0
	v_mul_f64 v[42:43], v[16:17], v[0:1]
	v_max_f64 v[0:1], v[16:17], s[56:57]
	v_frexp_mant_f64_e32 v[4:5], v[0:1]
	v_frexp_exp_i32_f64_e32 v8, v[0:1]
	v_cmp_gt_f64_e32 vcc, s[54:55], v[4:5]
	v_cndmask_b32_e64 v16, 0, 1, vcc
	v_ldexp_f64 v[4:5], v[4:5], v16
	v_subbrev_co_u32_e32 v8, vcc, 0, v8, vcc
	v_cmp_neq_f64_e32 vcc, s[2:3], v[0:1]
	v_add_f64 v[18:19], v[4:5], 1.0
	v_add_f64 v[16:17], v[4:5], -1.0
	v_add_f64 v[20:21], v[18:19], -1.0
	v_add_f64 v[4:5], v[4:5], -v[20:21]
	v_rcp_f64_e32 v[20:21], v[18:19]
	v_fma_f64 v[28:29], -v[18:19], v[20:21], 1.0
	v_fma_f64 v[20:21], v[28:29], v[20:21], v[20:21]
	v_fma_f64 v[28:29], -v[18:19], v[20:21], 1.0
	v_fma_f64 v[20:21], v[28:29], v[20:21], v[20:21]
	v_mul_f64 v[28:29], v[16:17], v[20:21]
	v_mul_f64 v[44:45], v[18:19], v[28:29]
	v_fma_f64 v[18:19], v[28:29], v[18:19], -v[44:45]
	v_fma_f64 v[4:5], v[28:29], v[4:5], v[18:19]
	v_add_f64 v[18:19], v[44:45], v[4:5]
	v_add_f64 v[46:47], v[16:17], -v[18:19]
	v_add_f64 v[44:45], v[18:19], -v[44:45]
	;; [unrolled: 1-line block ×5, first 2 shown]
	v_add_f64 v[4:5], v[4:5], v[16:17]
	v_add_f64 v[4:5], v[46:47], v[4:5]
	v_mul_f64 v[4:5], v[20:21], v[4:5]
	v_add_f64 v[16:17], v[28:29], v[4:5]
	v_add_f64 v[18:19], v[16:17], -v[28:29]
	v_mul_f64 v[20:21], v[16:17], v[16:17]
	v_ldexp_f64 v[44:45], v[16:17], 1
	v_add_f64 v[18:19], v[4:5], -v[18:19]
	v_mov_b32_e32 v5, s1
	v_mov_b32_e32 v4, s0
	v_fma_f64 v[28:29], v[20:21], s[42:43], v[4:5]
	v_mul_f64 v[16:17], v[16:17], v[20:21]
	s_mov_b32 s0, 0x2b931057
	s_mov_b32 s1, 0xbf85c988
	v_ldexp_f64 v[18:19], v[18:19], 1
	v_fma_f64 v[28:29], v[20:21], v[28:29], s[44:45]
	v_fma_f64 v[28:29], v[20:21], v[28:29], s[46:47]
	;; [unrolled: 1-line block ×5, first 2 shown]
	v_mul_f64 v[16:17], v[16:17], v[28:29]
	v_add_f64 v[20:21], v[44:45], v[16:17]
	v_add_f64 v[28:29], v[20:21], -v[44:45]
	v_add_f64 v[16:17], v[16:17], -v[28:29]
	v_add_f64 v[16:17], v[18:19], v[16:17]
	v_add_f64 v[18:19], v[20:21], v[16:17]
	v_add_f64 v[20:21], v[18:19], -v[20:21]
	v_add_f64 v[16:17], v[16:17], -v[20:21]
	v_cvt_f64_i32_e32 v[20:21], v8
	v_mul_f64 v[28:29], v[20:21], s[38:39]
	v_fma_f64 v[44:45], v[20:21], s[38:39], -v[28:29]
	v_fma_f64 v[20:21], v[20:21], s[40:41], v[44:45]
	v_add_f64 v[44:45], v[28:29], v[20:21]
	v_add_f64 v[28:29], v[44:45], -v[28:29]
	v_add_f64 v[20:21], v[20:21], -v[28:29]
	v_mul_f64 v[28:29], v[18:19], s[36:37]
	v_fma_f64 v[46:47], v[18:19], s[36:37], -v[28:29]
	v_fma_f64 v[16:17], v[16:17], s[36:37], v[46:47]
	v_fma_f64 v[16:17], v[18:19], s[34:35], v[16:17]
	v_add_f64 v[18:19], v[28:29], v[16:17]
	v_add_f64 v[28:29], v[18:19], -v[28:29]
	v_add_f64 v[16:17], v[16:17], -v[28:29]
	v_add_f64 v[28:29], v[44:45], v[18:19]
	v_add_f64 v[46:47], v[28:29], -v[44:45]
	v_add_f64 v[48:49], v[28:29], -v[46:47]
	;; [unrolled: 1-line block ×4, first 2 shown]
	v_add_f64 v[18:19], v[18:19], v[44:45]
	v_add_f64 v[44:45], v[20:21], v[16:17]
	v_add_f64 v[46:47], v[44:45], -v[20:21]
	v_add_f64 v[18:19], v[44:45], v[18:19]
	v_add_f64 v[48:49], v[44:45], -v[46:47]
	v_add_f64 v[16:17], v[16:17], -v[46:47]
	;; [unrolled: 1-line block ×3, first 2 shown]
	v_add_f64 v[16:17], v[16:17], v[20:21]
	v_add_f64 v[20:21], v[28:29], v[18:19]
	v_add_f64 v[28:29], v[20:21], -v[28:29]
	v_add_f64 v[18:19], v[18:19], -v[28:29]
	v_add_f64 v[16:17], v[16:17], v[18:19]
	v_add_f64 v[16:17], v[20:21], v[16:17]
	v_cndmask_b32_e32 v45, v55, v17, vcc
	v_cndmask_b32_e32 v44, 0, v16, vcc
	v_mul_f64 v[16:17], v[2:3], s[0:1]
	s_mov_b32 s0, 0xfca7ab0c
	s_mov_b32 s1, 0x3e928af3
	v_mul_f64 v[0:1], v[16:17], s[58:59]
	v_cmp_nlt_f64_e32 vcc, s[28:29], v[16:17]
	v_rndne_f64_e32 v[18:19], v[0:1]
	v_fma_f64 v[0:1], v[18:19], s[60:61], v[16:17]
	v_cvt_i32_f64_e32 v8, v[18:19]
	v_fma_f64 v[20:21], v[18:19], s[62:63], v[0:1]
	v_mov_b32_e32 v0, s0
	v_mov_b32_e32 v1, s1
	v_cmp_ngt_f64_e64 s[0:1], s[30:31], v[16:17]
	v_fma_f64 v[28:29], v[20:21], s[4:5], v[0:1]
	v_fma_f64 v[28:29], v[20:21], v[28:29], s[6:7]
	v_fma_f64 v[28:29], v[20:21], v[28:29], s[8:9]
	v_fma_f64 v[28:29], v[20:21], v[28:29], s[10:11]
	v_fma_f64 v[28:29], v[20:21], v[28:29], s[18:19]
	v_fma_f64 v[28:29], v[20:21], v[28:29], s[20:21]
	v_fma_f64 v[28:29], v[20:21], v[28:29], s[22:23]
	v_fma_f64 v[28:29], v[20:21], v[28:29], s[24:25]
	v_fma_f64 v[28:29], v[20:21], v[28:29], s[26:27]
	v_fma_f64 v[28:29], v[20:21], v[28:29], 1.0
	v_fma_f64 v[20:21], v[20:21], v[28:29], 1.0
	v_ldexp_f64 v[18:19], v[20:21], v8
	v_cndmask_b32_e32 v8, v55, v19, vcc
	s_and_b64 vcc, s[0:1], vcc
	v_cndmask_b32_e64 v29, 0, v8, s[0:1]
	s_mov_b32 s0, 0x92f3c105
	s_mov_b32 s1, 0xbf42a91c
	v_mul_f64 v[16:17], v[2:3], s[0:1]
	v_cndmask_b32_e32 v28, 0, v18, vcc
	s_mov_b32 s0, 0xdbf487fd
	s_mov_b32 s1, 0x3fe781d7
	v_mul_f64 v[18:19], v[16:17], s[58:59]
	v_cmp_nlt_f64_e32 vcc, s[28:29], v[16:17]
	v_rndne_f64_e32 v[18:19], v[18:19]
	v_fma_f64 v[20:21], v[18:19], s[60:61], v[16:17]
	v_cvt_i32_f64_e32 v8, v[18:19]
	v_fma_f64 v[20:21], v[18:19], s[62:63], v[20:21]
	v_fma_f64 v[46:47], v[20:21], s[4:5], v[0:1]
	;; [unrolled: 1-line block ×10, first 2 shown]
	v_fma_f64 v[46:47], v[20:21], v[46:47], 1.0
	v_fma_f64 v[20:21], v[20:21], v[46:47], 1.0
	v_ldexp_f64 v[18:19], v[20:21], v8
	v_mul_f64 v[18:19], v[18:19], s[0:1]
	v_cmp_ngt_f64_e64 s[0:1], s[30:31], v[16:17]
	v_cndmask_b32_e32 v8, v55, v19, vcc
	s_and_b64 vcc, s[0:1], vcc
	v_cndmask_b32_e64 v17, 0, v8, s[0:1]
	s_mov_b32 s0, 0x4816f007
	v_cndmask_b32_e32 v16, 0, v18, vcc
	s_mov_b32 s1, 0x3fd0fc50
	v_fma_f64 v[16:17], v[28:29], s[0:1], v[16:17]
	v_div_scale_f64 v[18:19], s[0:1], v[2:3], v[2:3], 1.0
	s_mov_b32 s0, 0
	s_mov_b32 s1, 0xc0b43e00
	v_rcp_f64_e32 v[20:21], v[18:19]
	v_fma_f64 v[46:47], -v[18:19], v[20:21], 1.0
	v_fma_f64 v[20:21], v[20:21], v[46:47], v[20:21]
	v_fma_f64 v[46:47], -v[18:19], v[20:21], 1.0
	v_fma_f64 v[20:21], v[20:21], v[46:47], v[20:21]
	v_div_scale_f64 v[46:47], vcc, 1.0, v[2:3], 1.0
	v_mul_f64 v[48:49], v[46:47], v[20:21]
	v_fma_f64 v[18:19], -v[18:19], v[48:49], v[46:47]
	s_nop 1
	v_div_fmas_f64 v[18:19], v[18:19], v[20:21], v[48:49]
	v_div_fixup_f64 v[18:19], v[18:19], v[2:3], 1.0
	v_mul_f64 v[20:21], v[18:19], s[0:1]
	v_mul_f64 v[46:47], v[20:21], s[58:59]
	v_cmp_nlt_f64_e64 s[0:1], s[28:29], v[20:21]
	v_cmp_ngt_f64_e32 vcc, s[30:31], v[20:21]
	v_rndne_f64_e32 v[46:47], v[46:47]
	v_fma_f64 v[48:49], v[46:47], s[60:61], v[20:21]
	v_cvt_i32_f64_e32 v8, v[46:47]
	v_fma_f64 v[48:49], v[46:47], s[62:63], v[48:49]
	v_fma_f64 v[50:51], v[48:49], s[4:5], v[0:1]
	v_fma_f64 v[50:51], v[48:49], v[50:51], s[6:7]
	v_fma_f64 v[50:51], v[48:49], v[50:51], s[8:9]
	v_fma_f64 v[50:51], v[48:49], v[50:51], s[10:11]
	v_fma_f64 v[50:51], v[48:49], v[50:51], s[18:19]
	v_fma_f64 v[50:51], v[48:49], v[50:51], s[20:21]
	v_fma_f64 v[50:51], v[48:49], v[50:51], s[22:23]
	v_fma_f64 v[50:51], v[48:49], v[50:51], s[24:25]
	v_fma_f64 v[50:51], v[48:49], v[50:51], s[26:27]
	v_fma_f64 v[50:51], v[48:49], v[50:51], 1.0
	v_fma_f64 v[48:49], v[48:49], v[50:51], 1.0
	v_ldexp_f64 v[46:47], v[48:49], v8
	v_cndmask_b32_e64 v8, v55, v47, s[0:1]
	s_and_b64 s[0:1], vcc, s[0:1]
	v_cndmask_b32_e64 v20, 0, v46, s[0:1]
	v_cndmask_b32_e32 v21, 0, v8, vcc
	v_add_f64 v[16:17], v[20:21], v[16:17]
	s_mov_b32 s1, s51
	s_mov_b32 s0, 0x9999999a
	v_max_f64 v[16:17], v[16:17], s[56:57]
	v_frexp_mant_f64_e32 v[20:21], v[16:17]
	v_frexp_exp_i32_f64_e32 v8, v[16:17]
	v_cmp_gt_f64_e32 vcc, s[54:55], v[20:21]
	v_cndmask_b32_e64 v46, 0, 1, vcc
	v_ldexp_f64 v[20:21], v[20:21], v46
	v_subbrev_co_u32_e32 v48, vcc, 0, v8, vcc
	v_cmp_neq_f64_e32 vcc, s[2:3], v[16:17]
	v_mov_b32_e32 v16, 0
	v_mov_b32_e32 v17, 0x3fe80000
	v_add_f64 v[49:50], v[20:21], 1.0
	v_add_f64 v[46:47], v[20:21], -1.0
	v_add_f64 v[51:52], v[49:50], -1.0
	v_add_f64 v[20:21], v[20:21], -v[51:52]
	v_rcp_f64_e32 v[51:52], v[49:50]
	v_fma_f64 v[53:54], -v[49:50], v[51:52], 1.0
	v_fma_f64 v[51:52], v[53:54], v[51:52], v[51:52]
	v_fma_f64 v[53:54], -v[49:50], v[51:52], 1.0
	v_fma_f64 v[51:52], v[53:54], v[51:52], v[51:52]
	v_mul_f64 v[53:54], v[46:47], v[51:52]
	v_mul_f64 v[58:59], v[49:50], v[53:54]
	v_fma_f64 v[49:50], v[53:54], v[49:50], -v[58:59]
	v_fma_f64 v[20:21], v[53:54], v[20:21], v[49:50]
	v_add_f64 v[49:50], v[58:59], v[20:21]
	v_add_f64 v[60:61], v[46:47], -v[49:50]
	v_add_f64 v[58:59], v[49:50], -v[58:59]
	;; [unrolled: 1-line block ×5, first 2 shown]
	v_add_f64 v[20:21], v[20:21], v[46:47]
	v_add_f64 v[20:21], v[60:61], v[20:21]
	v_mul_f64 v[20:21], v[51:52], v[20:21]
	v_add_f64 v[46:47], v[53:54], v[20:21]
	v_add_f64 v[49:50], v[46:47], -v[53:54]
	v_ldexp_f64 v[53:54], v[46:47], 1
	v_add_f64 v[20:21], v[20:21], -v[49:50]
	v_mul_f64 v[49:50], v[46:47], v[46:47]
	v_ldexp_f64 v[20:21], v[20:21], 1
	v_fma_f64 v[51:52], v[49:50], s[42:43], v[4:5]
	v_mul_f64 v[46:47], v[46:47], v[49:50]
	v_fma_f64 v[51:52], v[49:50], v[51:52], s[44:45]
	v_fma_f64 v[51:52], v[49:50], v[51:52], s[46:47]
	;; [unrolled: 1-line block ×5, first 2 shown]
	v_mul_f64 v[46:47], v[46:47], v[51:52]
	v_add_f64 v[49:50], v[53:54], v[46:47]
	v_add_f64 v[51:52], v[49:50], -v[53:54]
	v_add_f64 v[46:47], v[46:47], -v[51:52]
	v_add_f64 v[46:47], v[20:21], v[46:47]
	v_add_f64 v[20:21], v[49:50], v[46:47]
	v_add_f64 v[49:50], v[20:21], -v[49:50]
	v_add_f64 v[46:47], v[46:47], -v[49:50]
	v_cvt_f64_i32_e32 v[48:49], v48
	v_mul_f64 v[52:53], v[48:49], s[38:39]
	v_fma_f64 v[50:51], v[48:49], s[38:39], -v[52:53]
	v_fma_f64 v[48:49], v[48:49], s[40:41], v[50:51]
	v_add_f64 v[50:51], v[52:53], v[48:49]
	v_add_f64 v[52:53], v[50:51], -v[52:53]
	v_add_f64 v[48:49], v[48:49], -v[52:53]
	v_mul_f64 v[52:53], v[20:21], s[36:37]
	v_fma_f64 v[58:59], v[20:21], s[36:37], -v[52:53]
	v_fma_f64 v[46:47], v[46:47], s[36:37], v[58:59]
	v_fma_f64 v[20:21], v[20:21], s[34:35], v[46:47]
	v_add_f64 v[46:47], v[52:53], v[20:21]
	v_add_f64 v[52:53], v[46:47], -v[52:53]
	v_add_f64 v[20:21], v[20:21], -v[52:53]
	v_add_f64 v[52:53], v[50:51], v[46:47]
	v_add_f64 v[58:59], v[52:53], -v[50:51]
	v_add_f64 v[60:61], v[52:53], -v[58:59]
	;; [unrolled: 1-line block ×4, first 2 shown]
	v_add_f64 v[46:47], v[46:47], v[50:51]
	v_add_f64 v[50:51], v[48:49], v[20:21]
	v_add_f64 v[58:59], v[50:51], -v[48:49]
	v_add_f64 v[46:47], v[50:51], v[46:47]
	v_add_f64 v[60:61], v[50:51], -v[58:59]
	v_add_f64 v[20:21], v[20:21], -v[58:59]
	;; [unrolled: 1-line block ×3, first 2 shown]
	v_add_f64 v[20:21], v[20:21], v[48:49]
	v_add_f64 v[48:49], v[52:53], v[46:47]
	v_add_f64 v[50:51], v[48:49], -v[52:53]
	v_add_f64 v[46:47], v[46:47], -v[50:51]
	v_add_f64 v[20:21], v[20:21], v[46:47]
	v_add_f64 v[20:21], v[48:49], v[20:21]
	v_cndmask_b32_e32 v47, v55, v21, vcc
	v_cndmask_b32_e32 v46, 0, v20, vcc
	v_mov_b32_e32 v21, s1
	v_mov_b32_e32 v20, s0
	v_fma_f64 v[50:51], v[46:47], s[76:77], v[20:21]
	v_fma_f64 v[48:49], v[46:47], s[70:71], v[16:17]
	v_add_f64 v[44:45], v[44:45], -v[50:51]
	v_fma_f64 v[48:49], v[44:45], s[78:79], v[48:49]
	v_div_scale_f64 v[50:51], s[0:1], v[48:49], v[48:49], 1.0
	v_rcp_f64_e32 v[52:53], v[50:51]
	v_fma_f64 v[58:59], -v[50:51], v[52:53], 1.0
	v_fma_f64 v[52:53], v[52:53], v[58:59], v[52:53]
	v_fma_f64 v[58:59], -v[50:51], v[52:53], 1.0
	v_fma_f64 v[52:53], v[52:53], v[58:59], v[52:53]
	v_div_scale_f64 v[58:59], vcc, 1.0, v[48:49], 1.0
	v_mul_f64 v[60:61], v[58:59], v[52:53]
	v_fma_f64 v[50:51], -v[50:51], v[60:61], v[58:59]
	s_nop 1
	v_div_fmas_f64 v[50:51], v[50:51], v[52:53], v[60:61]
	v_div_fixup_f64 v[48:49], v[50:51], v[48:49], 1.0
	v_mul_f64 v[44:45], v[44:45], v[48:49]
	v_fma_f64 v[44:45], v[44:45], v[44:45], 1.0
	v_div_scale_f64 v[48:49], s[0:1], v[44:45], v[44:45], 1.0
	v_rcp_f64_e32 v[50:51], v[48:49]
	v_fma_f64 v[52:53], -v[48:49], v[50:51], 1.0
	v_fma_f64 v[50:51], v[50:51], v[52:53], v[50:51]
	v_fma_f64 v[52:53], -v[48:49], v[50:51], 1.0
	v_fma_f64 v[50:51], v[50:51], v[52:53], v[50:51]
	v_div_scale_f64 v[52:53], vcc, 1.0, v[44:45], 1.0
	v_mul_f64 v[58:59], v[52:53], v[50:51]
	v_fma_f64 v[48:49], -v[48:49], v[58:59], v[52:53]
	s_nop 1
	v_div_fmas_f64 v[48:49], v[48:49], v[50:51], v[58:59]
	v_mov_b32_e32 v58, s15
	v_div_fixup_f64 v[44:45], v[48:49], v[44:45], 1.0
	v_mul_f64 v[44:45], v[46:47], v[44:45]
	v_mul_f64 v[46:47], v[44:45], s[64:65]
	v_cmp_nlt_f64_e32 vcc, s[28:29], v[44:45]
	v_cmp_ngt_f64_e64 s[0:1], s[30:31], v[44:45]
	v_rndne_f64_e32 v[46:47], v[46:47]
	v_fma_f64 v[48:49], v[46:47], s[66:67], v[44:45]
	v_cvt_i32_f64_e32 v8, v[46:47]
	v_fma_f64 v[48:49], v[46:47], s[68:69], v[48:49]
	v_mul_f64 v[50:51], v[48:49], s[72:73]
	v_fma_f64 v[48:49], v[48:49], s[74:75], v[50:51]
	v_fma_f64 v[50:51], v[48:49], s[4:5], v[0:1]
	;; [unrolled: 1-line block ×10, first 2 shown]
	v_fma_f64 v[50:51], v[48:49], v[50:51], 1.0
	v_fma_f64 v[48:49], v[48:49], v[50:51], 1.0
	v_ldexp_f64 v[46:47], v[48:49], v8
	v_cndmask_b32_e32 v8, v55, v47, vcc
	s_and_b64 vcc, s[0:1], vcc
	v_cndmask_b32_e32 v44, 0, v46, vcc
	v_cndmask_b32_e64 v45, 0, v8, s[0:1]
	v_mul_f64 v[42:43], v[42:43], v[44:45]
	v_add_co_u32_e32 v36, vcc, s14, v36
	v_addc_co_u32_e32 v37, vcc, v58, v37, vcc
	v_add_co_u32_e32 v34, vcc, s16, v34
	v_addc_co_u32_e32 v35, vcc, v63, v35, vcc
	v_mul_f64 v[40:41], v[40:41], v[42:43]
	global_store_dwordx2 v[38:39], v[40:41], off
	global_load_dwordx2 v[38:39], v[36:37], off
	s_waitcnt vmcnt(0)
	v_mul_f64 v[38:39], v[38:39], v[42:43]
	global_load_dwordx2 v[41:42], v[34:35], off
	v_mad_u64_u32 v[34:35], s[0:1], s33, 9, v[6:7]
	v_mov_b32_e32 v35, v7
	global_store_dwordx2 v[36:37], v[38:39], off
	v_lshlrev_b64 v[35:36], 3, v[34:35]
	v_add_co_u32_e32 v37, vcc, s12, v35
	v_addc_co_u32_e32 v38, vcc, v9, v36, vcc
	global_load_dwordx2 v[39:40], v[37:38], off
	s_waitcnt vmcnt(0)
	v_div_scale_f64 v[43:44], s[0:1], v[39:40], v[39:40], 1.0
	v_rcp_f64_e32 v[45:46], v[43:44]
	v_fma_f64 v[47:48], -v[43:44], v[45:46], 1.0
	v_fma_f64 v[45:46], v[45:46], v[47:48], v[45:46]
	v_fma_f64 v[47:48], -v[43:44], v[45:46], 1.0
	v_fma_f64 v[45:46], v[45:46], v[47:48], v[45:46]
	v_div_scale_f64 v[47:48], vcc, 1.0, v[39:40], 1.0
	v_mul_f64 v[49:50], v[47:48], v[45:46]
	v_fma_f64 v[43:44], -v[43:44], v[49:50], v[47:48]
	s_nop 1
	v_div_fmas_f64 v[43:44], v[43:44], v[45:46], v[49:50]
	v_div_fixup_f64 v[43:44], v[43:44], v[39:40], 1.0
	v_mul_f64 v[43:44], v[12:13], v[43:44]
	v_mul_f64 v[45:46], v[41:42], v[43:44]
	v_fma_f64 v[41:42], v[41:42], v[43:44], 1.0
	v_div_scale_f64 v[43:44], s[0:1], v[41:42], v[41:42], 1.0
	s_mov_b32 s0, 0x8725af6e
	s_mov_b32 s1, 0xbf74cab8
	v_rcp_f64_e32 v[47:48], v[43:44]
	v_fma_f64 v[49:50], -v[43:44], v[47:48], 1.0
	v_fma_f64 v[47:48], v[47:48], v[49:50], v[47:48]
	v_fma_f64 v[49:50], -v[43:44], v[47:48], 1.0
	v_fma_f64 v[47:48], v[47:48], v[49:50], v[47:48]
	v_div_scale_f64 v[49:50], vcc, 1.0, v[41:42], 1.0
	v_mul_f64 v[51:52], v[49:50], v[47:48]
	v_fma_f64 v[43:44], -v[43:44], v[51:52], v[49:50]
	s_nop 1
	v_div_fmas_f64 v[43:44], v[43:44], v[47:48], v[51:52]
	v_div_fixup_f64 v[41:42], v[43:44], v[41:42], 1.0
	v_max_f64 v[43:44], v[45:46], s[56:57]
	v_mul_f64 v[41:42], v[45:46], v[41:42]
	v_frexp_mant_f64_e32 v[45:46], v[43:44]
	v_frexp_exp_i32_f64_e32 v6, v[43:44]
	v_cmp_gt_f64_e32 vcc, s[54:55], v[45:46]
	v_cndmask_b32_e64 v8, 0, 1, vcc
	v_ldexp_f64 v[45:46], v[45:46], v8
	v_subbrev_co_u32_e32 v6, vcc, 0, v6, vcc
	v_cmp_neq_f64_e32 vcc, s[2:3], v[43:44]
	v_add_f64 v[49:50], v[45:46], 1.0
	v_add_f64 v[47:48], v[45:46], -1.0
	v_add_f64 v[51:52], v[49:50], -1.0
	v_add_f64 v[45:46], v[45:46], -v[51:52]
	v_rcp_f64_e32 v[51:52], v[49:50]
	v_fma_f64 v[53:54], -v[49:50], v[51:52], 1.0
	v_fma_f64 v[51:52], v[53:54], v[51:52], v[51:52]
	v_fma_f64 v[53:54], -v[49:50], v[51:52], 1.0
	v_fma_f64 v[51:52], v[53:54], v[51:52], v[51:52]
	v_mul_f64 v[53:54], v[47:48], v[51:52]
	v_mul_f64 v[59:60], v[49:50], v[53:54]
	v_fma_f64 v[49:50], v[53:54], v[49:50], -v[59:60]
	v_fma_f64 v[45:46], v[53:54], v[45:46], v[49:50]
	v_add_f64 v[49:50], v[59:60], v[45:46]
	v_add_f64 v[61:62], v[47:48], -v[49:50]
	v_add_f64 v[59:60], v[49:50], -v[59:60]
	;; [unrolled: 1-line block ×5, first 2 shown]
	v_add_f64 v[45:46], v[45:46], v[47:48]
	v_add_f64 v[45:46], v[61:62], v[45:46]
	v_mul_f64 v[45:46], v[51:52], v[45:46]
	v_add_f64 v[47:48], v[53:54], v[45:46]
	v_add_f64 v[49:50], v[47:48], -v[53:54]
	v_ldexp_f64 v[53:54], v[47:48], 1
	v_add_f64 v[45:46], v[45:46], -v[49:50]
	v_mul_f64 v[49:50], v[47:48], v[47:48]
	v_ldexp_f64 v[45:46], v[45:46], 1
	v_fma_f64 v[51:52], v[49:50], s[42:43], v[4:5]
	v_mul_f64 v[47:48], v[47:48], v[49:50]
	v_fma_f64 v[51:52], v[49:50], v[51:52], s[44:45]
	v_fma_f64 v[51:52], v[49:50], v[51:52], s[46:47]
	;; [unrolled: 1-line block ×5, first 2 shown]
	v_mul_f64 v[47:48], v[47:48], v[51:52]
	v_add_f64 v[49:50], v[53:54], v[47:48]
	v_add_f64 v[51:52], v[49:50], -v[53:54]
	v_add_f64 v[47:48], v[47:48], -v[51:52]
	v_add_f64 v[45:46], v[45:46], v[47:48]
	v_add_f64 v[47:48], v[49:50], v[45:46]
	v_add_f64 v[49:50], v[47:48], -v[49:50]
	v_add_f64 v[45:46], v[45:46], -v[49:50]
	v_cvt_f64_i32_e32 v[49:50], v6
	v_mul_f64 v[51:52], v[49:50], s[38:39]
	v_fma_f64 v[53:54], v[49:50], s[38:39], -v[51:52]
	v_fma_f64 v[49:50], v[49:50], s[40:41], v[53:54]
	v_add_f64 v[53:54], v[51:52], v[49:50]
	v_add_f64 v[51:52], v[53:54], -v[51:52]
	v_add_f64 v[49:50], v[49:50], -v[51:52]
	v_mul_f64 v[51:52], v[47:48], s[36:37]
	v_fma_f64 v[59:60], v[47:48], s[36:37], -v[51:52]
	v_fma_f64 v[45:46], v[45:46], s[36:37], v[59:60]
	v_fma_f64 v[45:46], v[47:48], s[34:35], v[45:46]
	v_add_f64 v[47:48], v[51:52], v[45:46]
	v_add_f64 v[51:52], v[47:48], -v[51:52]
	v_add_f64 v[45:46], v[45:46], -v[51:52]
	v_add_f64 v[51:52], v[53:54], v[47:48]
	v_add_f64 v[59:60], v[51:52], -v[53:54]
	v_add_f64 v[61:62], v[51:52], -v[59:60]
	;; [unrolled: 1-line block ×4, first 2 shown]
	v_add_f64 v[47:48], v[47:48], v[53:54]
	v_add_f64 v[53:54], v[49:50], v[45:46]
	v_add_f64 v[59:60], v[53:54], -v[49:50]
	v_add_f64 v[47:48], v[53:54], v[47:48]
	v_add_f64 v[61:62], v[53:54], -v[59:60]
	v_add_f64 v[45:46], v[45:46], -v[59:60]
	v_add_f64 v[49:50], v[49:50], -v[61:62]
	v_add_f64 v[45:46], v[45:46], v[49:50]
	v_add_f64 v[49:50], v[51:52], v[47:48]
	v_add_f64 v[51:52], v[49:50], -v[51:52]
	v_add_f64 v[47:48], v[47:48], -v[51:52]
	v_add_f64 v[45:46], v[45:46], v[47:48]
	v_add_f64 v[45:46], v[49:50], v[45:46]
	v_cndmask_b32_e32 v44, v55, v46, vcc
	v_cndmask_b32_e32 v43, 0, v45, vcc
	v_mul_f64 v[45:46], v[2:3], s[0:1]
	s_mov_b32 s0, 0xb020c49c
	s_mov_b32 s1, 0x3fb16872
	v_mul_f64 v[47:48], v[45:46], s[58:59]
	v_cmp_nlt_f64_e32 vcc, s[28:29], v[45:46]
	v_rndne_f64_e32 v[47:48], v[47:48]
	v_fma_f64 v[49:50], v[47:48], s[60:61], v[45:46]
	v_cvt_i32_f64_e32 v6, v[47:48]
	v_fma_f64 v[49:50], v[47:48], s[62:63], v[49:50]
	v_fma_f64 v[51:52], v[49:50], s[4:5], v[0:1]
	v_fma_f64 v[51:52], v[49:50], v[51:52], s[6:7]
	v_fma_f64 v[51:52], v[49:50], v[51:52], s[8:9]
	v_fma_f64 v[51:52], v[49:50], v[51:52], s[10:11]
	v_fma_f64 v[51:52], v[49:50], v[51:52], s[18:19]
	v_fma_f64 v[51:52], v[49:50], v[51:52], s[20:21]
	v_fma_f64 v[51:52], v[49:50], v[51:52], s[22:23]
	v_fma_f64 v[51:52], v[49:50], v[51:52], s[24:25]
	v_fma_f64 v[51:52], v[49:50], v[51:52], s[26:27]
	v_fma_f64 v[51:52], v[49:50], v[51:52], 1.0
	v_fma_f64 v[49:50], v[49:50], v[51:52], 1.0
	v_ldexp_f64 v[47:48], v[49:50], v6
	v_mul_f64 v[47:48], v[47:48], s[0:1]
	v_cmp_ngt_f64_e64 s[0:1], s[30:31], v[45:46]
	v_cndmask_b32_e32 v6, v55, v48, vcc
	s_and_b64 vcc, s[0:1], vcc
	v_cndmask_b32_e64 v46, 0, v6, s[0:1]
	s_mov_b32 s0, 0xe6bb82fe
	s_mov_b32 s1, 0xbf454725
	v_cndmask_b32_e32 v45, 0, v47, vcc
	v_mul_f64 v[47:48], v[2:3], s[0:1]
	s_mov_b32 s0, 0xa9fbe76d
	s_mov_b32 s1, 0x3fedd2f1
	v_mul_f64 v[49:50], v[47:48], s[58:59]
	v_cmp_nlt_f64_e32 vcc, s[28:29], v[47:48]
	v_rndne_f64_e32 v[49:50], v[49:50]
	v_fma_f64 v[51:52], v[49:50], s[60:61], v[47:48]
	v_cvt_i32_f64_e32 v6, v[49:50]
	v_fma_f64 v[51:52], v[49:50], s[62:63], v[51:52]
	v_fma_f64 v[53:54], v[51:52], s[4:5], v[0:1]
	;; [unrolled: 1-line block ×10, first 2 shown]
	v_fma_f64 v[53:54], v[51:52], v[53:54], 1.0
	v_fma_f64 v[51:52], v[51:52], v[53:54], 1.0
	v_ldexp_f64 v[49:50], v[51:52], v6
	v_mul_f64 v[49:50], v[49:50], s[0:1]
	v_cmp_ngt_f64_e64 s[0:1], s[30:31], v[47:48]
	v_cndmask_b32_e32 v6, v55, v50, vcc
	s_and_b64 vcc, s[0:1], vcc
	v_cndmask_b32_e64 v48, 0, v6, s[0:1]
	s_mov_b32 s0, 0
	v_cndmask_b32_e32 v47, 0, v49, vcc
	s_mov_b32 s1, 0xc0c41e00
	v_add_f64 v[45:46], v[45:46], v[47:48]
	v_mul_f64 v[47:48], v[18:19], s[0:1]
	v_mul_f64 v[49:50], v[47:48], s[58:59]
	v_cmp_nlt_f64_e32 vcc, s[28:29], v[47:48]
	v_cmp_ngt_f64_e64 s[0:1], s[30:31], v[47:48]
	v_rndne_f64_e32 v[49:50], v[49:50]
	v_fma_f64 v[51:52], v[49:50], s[60:61], v[47:48]
	v_cvt_i32_f64_e32 v6, v[49:50]
	v_fma_f64 v[51:52], v[49:50], s[62:63], v[51:52]
	v_fma_f64 v[53:54], v[51:52], s[4:5], v[0:1]
	;; [unrolled: 1-line block ×10, first 2 shown]
	v_fma_f64 v[53:54], v[51:52], v[53:54], 1.0
	v_fma_f64 v[51:52], v[51:52], v[53:54], 1.0
	v_ldexp_f64 v[49:50], v[51:52], v6
	v_cndmask_b32_e32 v6, v55, v50, vcc
	s_and_b64 vcc, s[0:1], vcc
	v_cndmask_b32_e32 v47, 0, v49, vcc
	v_cndmask_b32_e64 v48, 0, v6, s[0:1]
	v_add_f64 v[45:46], v[47:48], v[45:46]
	v_max_f64 v[45:46], v[45:46], s[56:57]
	v_frexp_mant_f64_e32 v[47:48], v[45:46]
	v_frexp_exp_i32_f64_e32 v6, v[45:46]
	v_cmp_gt_f64_e32 vcc, s[54:55], v[47:48]
	v_cndmask_b32_e64 v8, 0, 1, vcc
	v_ldexp_f64 v[47:48], v[47:48], v8
	v_subbrev_co_u32_e32 v6, vcc, 0, v6, vcc
	v_cmp_neq_f64_e32 vcc, s[2:3], v[45:46]
	v_add_f64 v[51:52], v[47:48], 1.0
	v_add_f64 v[49:50], v[47:48], -1.0
	v_add_f64 v[53:54], v[51:52], -1.0
	v_add_f64 v[47:48], v[47:48], -v[53:54]
	v_rcp_f64_e32 v[53:54], v[51:52]
	v_fma_f64 v[59:60], -v[51:52], v[53:54], 1.0
	v_fma_f64 v[53:54], v[59:60], v[53:54], v[53:54]
	v_fma_f64 v[59:60], -v[51:52], v[53:54], 1.0
	v_fma_f64 v[53:54], v[59:60], v[53:54], v[53:54]
	v_mul_f64 v[59:60], v[49:50], v[53:54]
	v_mul_f64 v[61:62], v[51:52], v[59:60]
	v_fma_f64 v[51:52], v[59:60], v[51:52], -v[61:62]
	v_fma_f64 v[47:48], v[59:60], v[47:48], v[51:52]
	v_add_f64 v[51:52], v[61:62], v[47:48]
	v_add_f64 v[56:57], v[49:50], -v[51:52]
	v_add_f64 v[61:62], v[51:52], -v[61:62]
	;; [unrolled: 1-line block ×5, first 2 shown]
	v_add_f64 v[47:48], v[47:48], v[49:50]
	v_add_f64 v[47:48], v[56:57], v[47:48]
	v_mul_f64 v[47:48], v[53:54], v[47:48]
	v_add_f64 v[49:50], v[59:60], v[47:48]
	v_add_f64 v[51:52], v[49:50], -v[59:60]
	v_ldexp_f64 v[56:57], v[49:50], 1
	v_add_f64 v[47:48], v[47:48], -v[51:52]
	v_mul_f64 v[51:52], v[49:50], v[49:50]
	v_ldexp_f64 v[47:48], v[47:48], 1
	v_fma_f64 v[53:54], v[51:52], s[42:43], v[4:5]
	v_mul_f64 v[49:50], v[49:50], v[51:52]
	v_fma_f64 v[53:54], v[51:52], v[53:54], s[44:45]
	v_fma_f64 v[53:54], v[51:52], v[53:54], s[46:47]
	;; [unrolled: 1-line block ×5, first 2 shown]
	v_mul_f64 v[49:50], v[49:50], v[53:54]
	v_add_f64 v[51:52], v[56:57], v[49:50]
	v_add_f64 v[53:54], v[51:52], -v[56:57]
	v_add_f64 v[49:50], v[49:50], -v[53:54]
	v_add_f64 v[47:48], v[47:48], v[49:50]
	v_add_f64 v[49:50], v[51:52], v[47:48]
	v_add_f64 v[51:52], v[49:50], -v[51:52]
	v_add_f64 v[51:52], v[47:48], -v[51:52]
	v_cvt_f64_i32_e32 v[47:48], v6
	v_mul_f64 v[53:54], v[47:48], s[38:39]
	v_fma_f64 v[56:57], v[47:48], s[38:39], -v[53:54]
	v_fma_f64 v[47:48], v[47:48], s[40:41], v[56:57]
	v_add_f64 v[56:57], v[53:54], v[47:48]
	v_add_f64 v[53:54], v[56:57], -v[53:54]
	v_add_f64 v[47:48], v[47:48], -v[53:54]
	v_mul_f64 v[53:54], v[49:50], s[36:37]
	v_fma_f64 v[59:60], v[49:50], s[36:37], -v[53:54]
	v_fma_f64 v[51:52], v[51:52], s[36:37], v[59:60]
	v_fma_f64 v[49:50], v[49:50], s[34:35], v[51:52]
	v_add_f64 v[51:52], v[53:54], v[49:50]
	v_add_f64 v[53:54], v[51:52], -v[53:54]
	v_add_f64 v[53:54], v[49:50], -v[53:54]
	v_add_f64 v[49:50], v[56:57], v[51:52]
	v_add_f64 v[59:60], v[49:50], -v[56:57]
	v_add_f64 v[61:62], v[49:50], -v[59:60]
	;; [unrolled: 1-line block ×4, first 2 shown]
	v_add_f64 v[51:52], v[51:52], v[56:57]
	v_add_f64 v[56:57], v[47:48], v[53:54]
	v_add_f64 v[59:60], v[56:57], -v[47:48]
	v_add_f64 v[51:52], v[56:57], v[51:52]
	v_add_f64 v[61:62], v[56:57], -v[59:60]
	v_add_f64 v[53:54], v[53:54], -v[59:60]
	;; [unrolled: 1-line block ×3, first 2 shown]
	v_add_f64 v[47:48], v[53:54], v[47:48]
	v_add_f64 v[53:54], v[49:50], v[51:52]
	v_add_f64 v[49:50], v[53:54], -v[49:50]
	v_add_f64 v[49:50], v[51:52], -v[49:50]
	v_add_f64 v[47:48], v[47:48], v[49:50]
	v_add_f64 v[47:48], v[53:54], v[47:48]
	v_cndmask_b32_e32 v46, v55, v48, vcc
	v_cndmask_b32_e32 v45, 0, v47, vcc
	v_fma_f64 v[49:50], v[45:46], s[76:77], v[20:21]
	v_fma_f64 v[47:48], v[45:46], s[70:71], v[16:17]
	v_add_f64 v[43:44], v[43:44], -v[49:50]
	v_fma_f64 v[47:48], v[43:44], s[78:79], v[47:48]
	v_div_scale_f64 v[49:50], s[0:1], v[47:48], v[47:48], 1.0
	v_rcp_f64_e32 v[51:52], v[49:50]
	v_fma_f64 v[53:54], -v[49:50], v[51:52], 1.0
	v_fma_f64 v[51:52], v[51:52], v[53:54], v[51:52]
	v_fma_f64 v[53:54], -v[49:50], v[51:52], 1.0
	v_fma_f64 v[51:52], v[51:52], v[53:54], v[51:52]
	v_div_scale_f64 v[53:54], vcc, 1.0, v[47:48], 1.0
	v_mul_f64 v[56:57], v[53:54], v[51:52]
	v_fma_f64 v[49:50], -v[49:50], v[56:57], v[53:54]
	s_nop 1
	v_div_fmas_f64 v[49:50], v[49:50], v[51:52], v[56:57]
	v_div_fixup_f64 v[47:48], v[49:50], v[47:48], 1.0
	v_mul_f64 v[43:44], v[43:44], v[47:48]
	v_fma_f64 v[43:44], v[43:44], v[43:44], 1.0
	v_div_scale_f64 v[47:48], s[0:1], v[43:44], v[43:44], 1.0
	v_rcp_f64_e32 v[49:50], v[47:48]
	v_fma_f64 v[51:52], -v[47:48], v[49:50], 1.0
	v_fma_f64 v[49:50], v[49:50], v[51:52], v[49:50]
	v_fma_f64 v[51:52], -v[47:48], v[49:50], 1.0
	v_fma_f64 v[49:50], v[49:50], v[51:52], v[49:50]
	v_div_scale_f64 v[51:52], vcc, 1.0, v[43:44], 1.0
	v_mul_f64 v[53:54], v[51:52], v[49:50]
	v_fma_f64 v[47:48], -v[47:48], v[53:54], v[51:52]
	s_nop 1
	v_div_fmas_f64 v[47:48], v[47:48], v[49:50], v[53:54]
	v_div_fixup_f64 v[43:44], v[47:48], v[43:44], 1.0
	v_mul_f64 v[43:44], v[45:46], v[43:44]
	v_mul_f64 v[45:46], v[43:44], s[64:65]
	v_cmp_nlt_f64_e32 vcc, s[28:29], v[43:44]
	v_cmp_ngt_f64_e64 s[0:1], s[30:31], v[43:44]
	v_rndne_f64_e32 v[45:46], v[45:46]
	v_fma_f64 v[47:48], v[45:46], s[66:67], v[43:44]
	v_cvt_i32_f64_e32 v6, v[45:46]
	v_fma_f64 v[47:48], v[45:46], s[68:69], v[47:48]
	v_mul_f64 v[49:50], v[47:48], s[72:73]
	v_fma_f64 v[47:48], v[47:48], s[74:75], v[49:50]
	v_fma_f64 v[49:50], v[47:48], s[4:5], v[0:1]
	;; [unrolled: 1-line block ×10, first 2 shown]
	v_fma_f64 v[49:50], v[47:48], v[49:50], 1.0
	v_fma_f64 v[47:48], v[47:48], v[49:50], 1.0
	v_ldexp_f64 v[45:46], v[47:48], v6
	v_cndmask_b32_e32 v6, v55, v46, vcc
	s_and_b64 vcc, s[0:1], vcc
	v_cndmask_b32_e32 v43, 0, v45, vcc
	v_cndmask_b32_e64 v44, 0, v6, s[0:1]
	v_mul_f64 v[41:42], v[41:42], v[43:44]
	v_add_co_u32_e32 v35, vcc, s14, v35
	v_addc_co_u32_e32 v36, vcc, v58, v36, vcc
	s_mul_i32 s0, s33, 0xffffffe4
	v_add_u32_e32 v6, s0, v34
	v_mul_f64 v[39:40], v[39:40], v[41:42]
	global_store_dwordx2 v[37:38], v[39:40], off
	global_load_dwordx2 v[37:38], v[35:36], off
	s_waitcnt vmcnt(0)
	v_mul_f64 v[37:38], v[37:38], v[41:42]
	global_store_dwordx2 v[35:36], v[37:38], off
	v_lshlrev_b64 v[34:35], 3, v[6:7]
	v_add_co_u32_e32 v34, vcc, s16, v34
	v_addc_co_u32_e32 v35, vcc, v63, v35, vcc
	global_load_dwordx2 v[41:42], v[34:35], off
	v_mad_u64_u32 v[34:35], s[0:1], s33, 36, v[6:7]
	v_mov_b32_e32 v35, v7
	v_lshlrev_b64 v[35:36], 3, v[34:35]
	v_add_co_u32_e32 v37, vcc, s12, v35
	v_addc_co_u32_e32 v38, vcc, v9, v36, vcc
	global_load_dwordx2 v[39:40], v[37:38], off
	s_waitcnt vmcnt(0)
	v_div_scale_f64 v[43:44], s[0:1], v[39:40], v[39:40], 1.0
	v_rcp_f64_e32 v[45:46], v[43:44]
	v_fma_f64 v[47:48], -v[43:44], v[45:46], 1.0
	v_fma_f64 v[45:46], v[45:46], v[47:48], v[45:46]
	v_fma_f64 v[47:48], -v[43:44], v[45:46], 1.0
	v_fma_f64 v[45:46], v[45:46], v[47:48], v[45:46]
	v_div_scale_f64 v[47:48], vcc, 1.0, v[39:40], 1.0
	v_mul_f64 v[49:50], v[47:48], v[45:46]
	v_fma_f64 v[43:44], -v[43:44], v[49:50], v[47:48]
	s_nop 1
	v_div_fmas_f64 v[43:44], v[43:44], v[45:46], v[49:50]
	v_div_fixup_f64 v[43:44], v[43:44], v[39:40], 1.0
	v_mul_f64 v[43:44], v[12:13], v[43:44]
	v_mul_f64 v[45:46], v[41:42], v[43:44]
	v_fma_f64 v[41:42], v[41:42], v[43:44], 1.0
	v_div_scale_f64 v[43:44], s[0:1], v[41:42], v[41:42], 1.0
	s_mov_b32 s0, 0xe0acd3b
	s_mov_b32 s1, 0xbf71485f
	v_rcp_f64_e32 v[47:48], v[43:44]
	v_fma_f64 v[49:50], -v[43:44], v[47:48], 1.0
	v_fma_f64 v[47:48], v[47:48], v[49:50], v[47:48]
	v_fma_f64 v[49:50], -v[43:44], v[47:48], 1.0
	v_fma_f64 v[47:48], v[47:48], v[49:50], v[47:48]
	v_div_scale_f64 v[49:50], vcc, 1.0, v[41:42], 1.0
	v_mul_f64 v[51:52], v[49:50], v[47:48]
	v_fma_f64 v[43:44], -v[43:44], v[51:52], v[49:50]
	s_nop 1
	v_div_fmas_f64 v[43:44], v[43:44], v[47:48], v[51:52]
	v_div_fixup_f64 v[41:42], v[43:44], v[41:42], 1.0
	v_max_f64 v[43:44], v[45:46], s[56:57]
	v_mul_f64 v[41:42], v[45:46], v[41:42]
	v_frexp_mant_f64_e32 v[45:46], v[43:44]
	v_frexp_exp_i32_f64_e32 v6, v[43:44]
	v_cmp_gt_f64_e32 vcc, s[54:55], v[45:46]
	v_cndmask_b32_e64 v8, 0, 1, vcc
	v_ldexp_f64 v[45:46], v[45:46], v8
	v_subbrev_co_u32_e32 v6, vcc, 0, v6, vcc
	v_cmp_neq_f64_e32 vcc, s[2:3], v[43:44]
	v_add_f64 v[49:50], v[45:46], 1.0
	v_add_f64 v[47:48], v[45:46], -1.0
	v_add_f64 v[51:52], v[49:50], -1.0
	v_add_f64 v[45:46], v[45:46], -v[51:52]
	v_rcp_f64_e32 v[51:52], v[49:50]
	v_fma_f64 v[53:54], -v[49:50], v[51:52], 1.0
	v_fma_f64 v[51:52], v[53:54], v[51:52], v[51:52]
	v_fma_f64 v[53:54], -v[49:50], v[51:52], 1.0
	v_fma_f64 v[51:52], v[53:54], v[51:52], v[51:52]
	v_mul_f64 v[53:54], v[47:48], v[51:52]
	v_mul_f64 v[56:57], v[49:50], v[53:54]
	v_fma_f64 v[49:50], v[53:54], v[49:50], -v[56:57]
	v_fma_f64 v[45:46], v[53:54], v[45:46], v[49:50]
	v_add_f64 v[49:50], v[56:57], v[45:46]
	v_add_f64 v[59:60], v[47:48], -v[49:50]
	v_add_f64 v[56:57], v[49:50], -v[56:57]
	;; [unrolled: 1-line block ×5, first 2 shown]
	v_add_f64 v[45:46], v[45:46], v[47:48]
	v_add_f64 v[45:46], v[59:60], v[45:46]
	v_mul_f64 v[45:46], v[51:52], v[45:46]
	v_add_f64 v[47:48], v[53:54], v[45:46]
	v_add_f64 v[49:50], v[47:48], -v[53:54]
	v_ldexp_f64 v[53:54], v[47:48], 1
	v_add_f64 v[45:46], v[45:46], -v[49:50]
	v_mul_f64 v[49:50], v[47:48], v[47:48]
	v_ldexp_f64 v[45:46], v[45:46], 1
	v_fma_f64 v[51:52], v[49:50], s[42:43], v[4:5]
	v_mul_f64 v[47:48], v[47:48], v[49:50]
	v_fma_f64 v[51:52], v[49:50], v[51:52], s[44:45]
	v_fma_f64 v[51:52], v[49:50], v[51:52], s[46:47]
	;; [unrolled: 1-line block ×5, first 2 shown]
	v_mul_f64 v[47:48], v[47:48], v[51:52]
	v_add_f64 v[49:50], v[53:54], v[47:48]
	v_add_f64 v[51:52], v[49:50], -v[53:54]
	v_add_f64 v[47:48], v[47:48], -v[51:52]
	v_add_f64 v[45:46], v[45:46], v[47:48]
	v_add_f64 v[47:48], v[49:50], v[45:46]
	v_add_f64 v[49:50], v[47:48], -v[49:50]
	v_add_f64 v[45:46], v[45:46], -v[49:50]
	v_cvt_f64_i32_e32 v[49:50], v6
	v_mul_f64 v[51:52], v[49:50], s[38:39]
	v_fma_f64 v[53:54], v[49:50], s[38:39], -v[51:52]
	v_fma_f64 v[49:50], v[49:50], s[40:41], v[53:54]
	v_add_f64 v[53:54], v[51:52], v[49:50]
	v_add_f64 v[51:52], v[53:54], -v[51:52]
	v_add_f64 v[49:50], v[49:50], -v[51:52]
	v_mul_f64 v[51:52], v[47:48], s[36:37]
	v_fma_f64 v[56:57], v[47:48], s[36:37], -v[51:52]
	v_fma_f64 v[45:46], v[45:46], s[36:37], v[56:57]
	v_fma_f64 v[45:46], v[47:48], s[34:35], v[45:46]
	v_add_f64 v[47:48], v[51:52], v[45:46]
	v_add_f64 v[51:52], v[47:48], -v[51:52]
	v_add_f64 v[45:46], v[45:46], -v[51:52]
	v_add_f64 v[51:52], v[53:54], v[47:48]
	v_add_f64 v[56:57], v[51:52], -v[53:54]
	v_add_f64 v[59:60], v[51:52], -v[56:57]
	v_add_f64 v[47:48], v[47:48], -v[56:57]
	v_add_f64 v[53:54], v[53:54], -v[59:60]
	v_add_f64 v[47:48], v[47:48], v[53:54]
	v_add_f64 v[53:54], v[49:50], v[45:46]
	v_add_f64 v[56:57], v[53:54], -v[49:50]
	v_add_f64 v[47:48], v[53:54], v[47:48]
	v_add_f64 v[59:60], v[53:54], -v[56:57]
	v_add_f64 v[45:46], v[45:46], -v[56:57]
	;; [unrolled: 1-line block ×3, first 2 shown]
	v_add_f64 v[45:46], v[45:46], v[49:50]
	v_add_f64 v[49:50], v[51:52], v[47:48]
	v_add_f64 v[51:52], v[49:50], -v[51:52]
	v_add_f64 v[47:48], v[47:48], -v[51:52]
	v_add_f64 v[45:46], v[45:46], v[47:48]
	v_add_f64 v[45:46], v[49:50], v[45:46]
	v_cndmask_b32_e32 v44, v55, v46, vcc
	v_cndmask_b32_e32 v43, 0, v45, vcc
	v_mul_f64 v[45:46], v[2:3], s[0:1]
	s_mov_b32 s0, 0x2fec56d6
	s_mov_b32 s1, 0x3fdb27bb
	v_mul_f64 v[47:48], v[45:46], s[58:59]
	v_cmp_nlt_f64_e32 vcc, s[28:29], v[45:46]
	v_rndne_f64_e32 v[47:48], v[47:48]
	v_fma_f64 v[49:50], v[47:48], s[60:61], v[45:46]
	v_cvt_i32_f64_e32 v6, v[47:48]
	v_fma_f64 v[49:50], v[47:48], s[62:63], v[49:50]
	v_fma_f64 v[51:52], v[49:50], s[4:5], v[0:1]
	;; [unrolled: 1-line block ×10, first 2 shown]
	v_fma_f64 v[51:52], v[49:50], v[51:52], 1.0
	v_fma_f64 v[49:50], v[49:50], v[51:52], 1.0
	v_ldexp_f64 v[47:48], v[49:50], v6
	v_mul_f64 v[47:48], v[47:48], s[0:1]
	v_cmp_ngt_f64_e64 s[0:1], s[30:31], v[45:46]
	v_cndmask_b32_e32 v6, v55, v48, vcc
	s_and_b64 vcc, s[0:1], vcc
	v_cndmask_b32_e64 v46, 0, v6, s[0:1]
	s_mov_b32 s0, 0x91aa75c6
	s_mov_b32 s1, 0xbf43d5d9
	v_cndmask_b32_e32 v45, 0, v47, vcc
	v_mul_f64 v[47:48], v[2:3], s[0:1]
	s_mov_b32 s0, 0x6809d495
	s_mov_b32 s1, 0x3fe26c22
	v_mul_f64 v[49:50], v[47:48], s[58:59]
	v_cmp_nlt_f64_e32 vcc, s[28:29], v[47:48]
	v_rndne_f64_e32 v[49:50], v[49:50]
	v_fma_f64 v[51:52], v[49:50], s[60:61], v[47:48]
	v_cvt_i32_f64_e32 v6, v[49:50]
	v_fma_f64 v[51:52], v[49:50], s[62:63], v[51:52]
	v_fma_f64 v[53:54], v[51:52], s[4:5], v[0:1]
	;; [unrolled: 1-line block ×10, first 2 shown]
	v_fma_f64 v[53:54], v[51:52], v[53:54], 1.0
	v_fma_f64 v[51:52], v[51:52], v[53:54], 1.0
	v_ldexp_f64 v[49:50], v[51:52], v6
	v_mul_f64 v[49:50], v[49:50], s[0:1]
	v_cmp_ngt_f64_e64 s[0:1], s[30:31], v[47:48]
	v_cndmask_b32_e32 v6, v55, v50, vcc
	s_and_b64 vcc, s[0:1], vcc
	v_cndmask_b32_e64 v48, 0, v6, s[0:1]
	s_mov_b32 s0, 0
	v_cndmask_b32_e32 v47, 0, v49, vcc
	s_mov_b32 s1, 0xc0b3cd00
	v_add_f64 v[45:46], v[45:46], v[47:48]
	v_mul_f64 v[47:48], v[18:19], s[0:1]
	v_mul_f64 v[49:50], v[47:48], s[58:59]
	v_cmp_nlt_f64_e32 vcc, s[28:29], v[47:48]
	v_cmp_ngt_f64_e64 s[0:1], s[30:31], v[47:48]
	v_rndne_f64_e32 v[49:50], v[49:50]
	v_fma_f64 v[51:52], v[49:50], s[60:61], v[47:48]
	v_cvt_i32_f64_e32 v6, v[49:50]
	v_fma_f64 v[51:52], v[49:50], s[62:63], v[51:52]
	v_fma_f64 v[53:54], v[51:52], s[4:5], v[0:1]
	;; [unrolled: 1-line block ×10, first 2 shown]
	v_fma_f64 v[53:54], v[51:52], v[53:54], 1.0
	v_fma_f64 v[51:52], v[51:52], v[53:54], 1.0
	v_ldexp_f64 v[49:50], v[51:52], v6
	v_cndmask_b32_e32 v6, v55, v50, vcc
	s_and_b64 vcc, s[0:1], vcc
	v_cndmask_b32_e32 v47, 0, v49, vcc
	v_cndmask_b32_e64 v48, 0, v6, s[0:1]
	v_add_f64 v[45:46], v[47:48], v[45:46]
	v_max_f64 v[45:46], v[45:46], s[56:57]
	v_frexp_mant_f64_e32 v[47:48], v[45:46]
	v_frexp_exp_i32_f64_e32 v6, v[45:46]
	v_cmp_gt_f64_e32 vcc, s[54:55], v[47:48]
	v_cndmask_b32_e64 v8, 0, 1, vcc
	v_ldexp_f64 v[47:48], v[47:48], v8
	v_subbrev_co_u32_e32 v6, vcc, 0, v6, vcc
	v_cmp_neq_f64_e32 vcc, s[2:3], v[45:46]
	v_add_f64 v[51:52], v[47:48], 1.0
	v_add_f64 v[49:50], v[47:48], -1.0
	v_add_f64 v[53:54], v[51:52], -1.0
	v_add_f64 v[47:48], v[47:48], -v[53:54]
	v_rcp_f64_e32 v[53:54], v[51:52]
	v_fma_f64 v[56:57], -v[51:52], v[53:54], 1.0
	v_fma_f64 v[53:54], v[56:57], v[53:54], v[53:54]
	v_fma_f64 v[56:57], -v[51:52], v[53:54], 1.0
	v_fma_f64 v[53:54], v[56:57], v[53:54], v[53:54]
	v_mul_f64 v[56:57], v[49:50], v[53:54]
	v_mul_f64 v[59:60], v[51:52], v[56:57]
	v_fma_f64 v[51:52], v[56:57], v[51:52], -v[59:60]
	v_fma_f64 v[47:48], v[56:57], v[47:48], v[51:52]
	v_add_f64 v[51:52], v[59:60], v[47:48]
	v_add_f64 v[61:62], v[49:50], -v[51:52]
	v_add_f64 v[59:60], v[51:52], -v[59:60]
	;; [unrolled: 1-line block ×5, first 2 shown]
	v_add_f64 v[47:48], v[47:48], v[49:50]
	v_add_f64 v[47:48], v[61:62], v[47:48]
	v_mul_f64 v[47:48], v[53:54], v[47:48]
	v_add_f64 v[49:50], v[56:57], v[47:48]
	v_add_f64 v[51:52], v[49:50], -v[56:57]
	v_ldexp_f64 v[56:57], v[49:50], 1
	v_add_f64 v[47:48], v[47:48], -v[51:52]
	v_mul_f64 v[51:52], v[49:50], v[49:50]
	v_ldexp_f64 v[47:48], v[47:48], 1
	v_fma_f64 v[53:54], v[51:52], s[42:43], v[4:5]
	v_mul_f64 v[49:50], v[49:50], v[51:52]
	v_fma_f64 v[53:54], v[51:52], v[53:54], s[44:45]
	v_fma_f64 v[53:54], v[51:52], v[53:54], s[46:47]
	;; [unrolled: 1-line block ×5, first 2 shown]
	v_mul_f64 v[49:50], v[49:50], v[53:54]
	v_add_f64 v[51:52], v[56:57], v[49:50]
	v_add_f64 v[53:54], v[51:52], -v[56:57]
	v_add_f64 v[49:50], v[49:50], -v[53:54]
	v_add_f64 v[47:48], v[47:48], v[49:50]
	v_add_f64 v[49:50], v[51:52], v[47:48]
	v_add_f64 v[51:52], v[49:50], -v[51:52]
	v_add_f64 v[51:52], v[47:48], -v[51:52]
	v_cvt_f64_i32_e32 v[47:48], v6
	v_mul_f64 v[53:54], v[47:48], s[38:39]
	v_fma_f64 v[56:57], v[47:48], s[38:39], -v[53:54]
	v_fma_f64 v[47:48], v[47:48], s[40:41], v[56:57]
	v_add_f64 v[56:57], v[53:54], v[47:48]
	v_add_f64 v[53:54], v[56:57], -v[53:54]
	v_add_f64 v[47:48], v[47:48], -v[53:54]
	v_mul_f64 v[53:54], v[49:50], s[36:37]
	v_fma_f64 v[59:60], v[49:50], s[36:37], -v[53:54]
	v_fma_f64 v[51:52], v[51:52], s[36:37], v[59:60]
	v_fma_f64 v[49:50], v[49:50], s[34:35], v[51:52]
	v_add_f64 v[51:52], v[53:54], v[49:50]
	v_add_f64 v[53:54], v[51:52], -v[53:54]
	v_add_f64 v[53:54], v[49:50], -v[53:54]
	v_add_f64 v[49:50], v[56:57], v[51:52]
	v_add_f64 v[59:60], v[49:50], -v[56:57]
	v_add_f64 v[61:62], v[49:50], -v[59:60]
	;; [unrolled: 1-line block ×4, first 2 shown]
	v_add_f64 v[51:52], v[51:52], v[56:57]
	v_add_f64 v[56:57], v[47:48], v[53:54]
	v_add_f64 v[59:60], v[56:57], -v[47:48]
	v_add_f64 v[51:52], v[56:57], v[51:52]
	v_add_f64 v[61:62], v[56:57], -v[59:60]
	v_add_f64 v[53:54], v[53:54], -v[59:60]
	;; [unrolled: 1-line block ×3, first 2 shown]
	v_add_f64 v[47:48], v[53:54], v[47:48]
	v_add_f64 v[53:54], v[49:50], v[51:52]
	v_add_f64 v[49:50], v[53:54], -v[49:50]
	v_add_f64 v[49:50], v[51:52], -v[49:50]
	v_add_f64 v[47:48], v[47:48], v[49:50]
	v_add_f64 v[47:48], v[53:54], v[47:48]
	v_cndmask_b32_e32 v46, v55, v48, vcc
	v_cndmask_b32_e32 v45, 0, v47, vcc
	v_fma_f64 v[49:50], v[45:46], s[76:77], v[20:21]
	v_fma_f64 v[47:48], v[45:46], s[70:71], v[16:17]
	v_add_f64 v[43:44], v[43:44], -v[49:50]
	v_fma_f64 v[47:48], v[43:44], s[78:79], v[47:48]
	v_div_scale_f64 v[49:50], s[0:1], v[47:48], v[47:48], 1.0
	v_rcp_f64_e32 v[51:52], v[49:50]
	v_fma_f64 v[53:54], -v[49:50], v[51:52], 1.0
	v_fma_f64 v[51:52], v[51:52], v[53:54], v[51:52]
	v_fma_f64 v[53:54], -v[49:50], v[51:52], 1.0
	v_fma_f64 v[51:52], v[51:52], v[53:54], v[51:52]
	v_div_scale_f64 v[53:54], vcc, 1.0, v[47:48], 1.0
	v_mul_f64 v[56:57], v[53:54], v[51:52]
	v_fma_f64 v[49:50], -v[49:50], v[56:57], v[53:54]
	s_nop 1
	v_div_fmas_f64 v[49:50], v[49:50], v[51:52], v[56:57]
	v_div_fixup_f64 v[47:48], v[49:50], v[47:48], 1.0
	v_mul_f64 v[43:44], v[43:44], v[47:48]
	v_fma_f64 v[43:44], v[43:44], v[43:44], 1.0
	v_div_scale_f64 v[47:48], s[0:1], v[43:44], v[43:44], 1.0
	v_rcp_f64_e32 v[49:50], v[47:48]
	v_fma_f64 v[51:52], -v[47:48], v[49:50], 1.0
	v_fma_f64 v[49:50], v[49:50], v[51:52], v[49:50]
	v_fma_f64 v[51:52], -v[47:48], v[49:50], 1.0
	v_fma_f64 v[49:50], v[49:50], v[51:52], v[49:50]
	v_div_scale_f64 v[51:52], vcc, 1.0, v[43:44], 1.0
	v_mul_f64 v[53:54], v[51:52], v[49:50]
	v_fma_f64 v[47:48], -v[47:48], v[53:54], v[51:52]
	s_nop 1
	v_div_fmas_f64 v[47:48], v[47:48], v[49:50], v[53:54]
	v_div_fixup_f64 v[43:44], v[47:48], v[43:44], 1.0
	v_mul_f64 v[43:44], v[45:46], v[43:44]
	v_mul_f64 v[45:46], v[43:44], s[64:65]
	v_cmp_nlt_f64_e32 vcc, s[28:29], v[43:44]
	v_cmp_ngt_f64_e64 s[0:1], s[30:31], v[43:44]
	v_rndne_f64_e32 v[45:46], v[45:46]
	v_fma_f64 v[47:48], v[45:46], s[66:67], v[43:44]
	v_cvt_i32_f64_e32 v6, v[45:46]
	v_fma_f64 v[47:48], v[45:46], s[68:69], v[47:48]
	v_mul_f64 v[49:50], v[47:48], s[72:73]
	v_fma_f64 v[47:48], v[47:48], s[74:75], v[49:50]
	v_fma_f64 v[49:50], v[47:48], s[4:5], v[0:1]
	;; [unrolled: 1-line block ×10, first 2 shown]
	v_fma_f64 v[49:50], v[47:48], v[49:50], 1.0
	v_fma_f64 v[47:48], v[47:48], v[49:50], 1.0
	v_ldexp_f64 v[45:46], v[47:48], v6
	v_cndmask_b32_e32 v6, v55, v46, vcc
	s_and_b64 vcc, s[0:1], vcc
	v_cndmask_b32_e32 v43, 0, v45, vcc
	v_cndmask_b32_e64 v44, 0, v6, s[0:1]
	v_mul_f64 v[41:42], v[41:42], v[43:44]
	v_add_co_u32_e32 v35, vcc, s14, v35
	v_addc_co_u32_e32 v36, vcc, v58, v36, vcc
	v_add_co_u32_e32 v32, vcc, s16, v32
	v_addc_co_u32_e32 v33, vcc, v63, v33, vcc
	v_mul_f64 v[39:40], v[39:40], v[41:42]
	v_lshl_add_u32 v6, s33, 1, v34
	global_store_dwordx2 v[37:38], v[39:40], off
	global_load_dwordx2 v[37:38], v[35:36], off
	s_waitcnt vmcnt(0)
	v_mul_f64 v[37:38], v[37:38], v[41:42]
	global_store_dwordx2 v[35:36], v[37:38], off
	global_load_dwordx2 v[38:39], v[32:33], off
	v_lshlrev_b64 v[32:33], 3, v[6:7]
	v_add_co_u32_e32 v34, vcc, s12, v32
	v_addc_co_u32_e32 v35, vcc, v9, v33, vcc
	global_load_dwordx2 v[36:37], v[34:35], off
	s_waitcnt vmcnt(0)
	v_div_scale_f64 v[40:41], s[0:1], v[36:37], v[36:37], 1.0
	v_rcp_f64_e32 v[42:43], v[40:41]
	v_fma_f64 v[44:45], -v[40:41], v[42:43], 1.0
	v_fma_f64 v[42:43], v[42:43], v[44:45], v[42:43]
	v_fma_f64 v[44:45], -v[40:41], v[42:43], 1.0
	v_fma_f64 v[42:43], v[42:43], v[44:45], v[42:43]
	v_div_scale_f64 v[44:45], vcc, 1.0, v[36:37], 1.0
	v_mul_f64 v[46:47], v[44:45], v[42:43]
	v_fma_f64 v[40:41], -v[40:41], v[46:47], v[44:45]
	s_nop 1
	v_div_fmas_f64 v[40:41], v[40:41], v[42:43], v[46:47]
	v_div_fixup_f64 v[40:41], v[40:41], v[36:37], 1.0
	v_mul_f64 v[40:41], v[12:13], v[40:41]
	v_mul_f64 v[42:43], v[38:39], v[40:41]
	v_fma_f64 v[38:39], v[38:39], v[40:41], 1.0
	v_div_scale_f64 v[40:41], s[0:1], v[38:39], v[38:39], 1.0
	s_mov_b32 s0, 0x79dc1a73
	s_mov_b32 s1, 0xbf6e3a91
	v_rcp_f64_e32 v[44:45], v[40:41]
	v_fma_f64 v[46:47], -v[40:41], v[44:45], 1.0
	v_fma_f64 v[44:45], v[44:45], v[46:47], v[44:45]
	v_fma_f64 v[46:47], -v[40:41], v[44:45], 1.0
	v_fma_f64 v[44:45], v[44:45], v[46:47], v[44:45]
	v_div_scale_f64 v[46:47], vcc, 1.0, v[38:39], 1.0
	v_mul_f64 v[48:49], v[46:47], v[44:45]
	v_fma_f64 v[40:41], -v[40:41], v[48:49], v[46:47]
	s_nop 1
	v_div_fmas_f64 v[40:41], v[40:41], v[44:45], v[48:49]
	v_div_fixup_f64 v[38:39], v[40:41], v[38:39], 1.0
	v_max_f64 v[40:41], v[42:43], s[56:57]
	v_mul_f64 v[38:39], v[42:43], v[38:39]
	v_frexp_mant_f64_e32 v[42:43], v[40:41]
	v_frexp_exp_i32_f64_e32 v8, v[40:41]
	v_cmp_gt_f64_e32 vcc, s[54:55], v[42:43]
	v_cndmask_b32_e64 v44, 0, 1, vcc
	v_ldexp_f64 v[42:43], v[42:43], v44
	v_subbrev_co_u32_e32 v8, vcc, 0, v8, vcc
	v_cmp_neq_f64_e32 vcc, s[2:3], v[40:41]
	v_add_f64 v[46:47], v[42:43], 1.0
	v_add_f64 v[44:45], v[42:43], -1.0
	v_add_f64 v[48:49], v[46:47], -1.0
	v_add_f64 v[42:43], v[42:43], -v[48:49]
	v_rcp_f64_e32 v[48:49], v[46:47]
	v_fma_f64 v[50:51], -v[46:47], v[48:49], 1.0
	v_fma_f64 v[48:49], v[50:51], v[48:49], v[48:49]
	v_fma_f64 v[50:51], -v[46:47], v[48:49], 1.0
	v_fma_f64 v[48:49], v[50:51], v[48:49], v[48:49]
	v_mul_f64 v[50:51], v[44:45], v[48:49]
	v_mul_f64 v[52:53], v[46:47], v[50:51]
	v_fma_f64 v[46:47], v[50:51], v[46:47], -v[52:53]
	v_fma_f64 v[42:43], v[50:51], v[42:43], v[46:47]
	v_add_f64 v[46:47], v[52:53], v[42:43]
	v_add_f64 v[56:57], v[44:45], -v[46:47]
	v_add_f64 v[52:53], v[46:47], -v[52:53]
	;; [unrolled: 1-line block ×5, first 2 shown]
	v_add_f64 v[42:43], v[42:43], v[44:45]
	v_add_f64 v[42:43], v[56:57], v[42:43]
	v_mul_f64 v[42:43], v[48:49], v[42:43]
	v_add_f64 v[44:45], v[50:51], v[42:43]
	v_add_f64 v[46:47], v[44:45], -v[50:51]
	v_ldexp_f64 v[50:51], v[44:45], 1
	v_add_f64 v[42:43], v[42:43], -v[46:47]
	v_mul_f64 v[46:47], v[44:45], v[44:45]
	v_ldexp_f64 v[42:43], v[42:43], 1
	v_fma_f64 v[48:49], v[46:47], s[42:43], v[4:5]
	v_mul_f64 v[44:45], v[44:45], v[46:47]
	v_fma_f64 v[48:49], v[46:47], v[48:49], s[44:45]
	v_fma_f64 v[48:49], v[46:47], v[48:49], s[46:47]
	;; [unrolled: 1-line block ×5, first 2 shown]
	v_mul_f64 v[44:45], v[44:45], v[48:49]
	v_add_f64 v[46:47], v[50:51], v[44:45]
	v_add_f64 v[48:49], v[46:47], -v[50:51]
	v_add_f64 v[44:45], v[44:45], -v[48:49]
	v_add_f64 v[42:43], v[42:43], v[44:45]
	v_add_f64 v[44:45], v[46:47], v[42:43]
	v_add_f64 v[46:47], v[44:45], -v[46:47]
	v_add_f64 v[42:43], v[42:43], -v[46:47]
	v_cvt_f64_i32_e32 v[46:47], v8
	v_mul_f64 v[48:49], v[46:47], s[38:39]
	v_fma_f64 v[50:51], v[46:47], s[38:39], -v[48:49]
	v_fma_f64 v[46:47], v[46:47], s[40:41], v[50:51]
	v_add_f64 v[50:51], v[48:49], v[46:47]
	v_add_f64 v[48:49], v[50:51], -v[48:49]
	v_add_f64 v[46:47], v[46:47], -v[48:49]
	v_mul_f64 v[48:49], v[44:45], s[36:37]
	v_fma_f64 v[52:53], v[44:45], s[36:37], -v[48:49]
	v_fma_f64 v[42:43], v[42:43], s[36:37], v[52:53]
	v_fma_f64 v[42:43], v[44:45], s[34:35], v[42:43]
	v_add_f64 v[44:45], v[48:49], v[42:43]
	v_add_f64 v[48:49], v[44:45], -v[48:49]
	v_add_f64 v[42:43], v[42:43], -v[48:49]
	v_add_f64 v[48:49], v[50:51], v[44:45]
	v_add_f64 v[52:53], v[48:49], -v[50:51]
	v_add_f64 v[56:57], v[48:49], -v[52:53]
	;; [unrolled: 1-line block ×4, first 2 shown]
	v_add_f64 v[44:45], v[44:45], v[50:51]
	v_add_f64 v[50:51], v[46:47], v[42:43]
	v_add_f64 v[52:53], v[50:51], -v[46:47]
	v_add_f64 v[44:45], v[50:51], v[44:45]
	v_add_f64 v[56:57], v[50:51], -v[52:53]
	v_add_f64 v[42:43], v[42:43], -v[52:53]
	;; [unrolled: 1-line block ×3, first 2 shown]
	v_add_f64 v[42:43], v[42:43], v[46:47]
	v_add_f64 v[46:47], v[48:49], v[44:45]
	v_add_f64 v[48:49], v[46:47], -v[48:49]
	v_add_f64 v[44:45], v[44:45], -v[48:49]
	v_add_f64 v[42:43], v[42:43], v[44:45]
	v_add_f64 v[42:43], v[46:47], v[42:43]
	v_cndmask_b32_e32 v41, v55, v43, vcc
	v_cndmask_b32_e32 v40, 0, v42, vcc
	v_mul_f64 v[42:43], v[2:3], s[0:1]
	s_mov_b32 s0, 0x19ce075f
	s_mov_b32 s1, 0x3fcbda51
	v_mul_f64 v[44:45], v[42:43], s[58:59]
	v_cmp_nlt_f64_e32 vcc, s[28:29], v[42:43]
	v_rndne_f64_e32 v[44:45], v[44:45]
	v_fma_f64 v[46:47], v[44:45], s[60:61], v[42:43]
	v_cvt_i32_f64_e32 v8, v[44:45]
	v_fma_f64 v[46:47], v[44:45], s[62:63], v[46:47]
	v_fma_f64 v[48:49], v[46:47], s[4:5], v[0:1]
	;; [unrolled: 1-line block ×10, first 2 shown]
	v_fma_f64 v[48:49], v[46:47], v[48:49], 1.0
	v_fma_f64 v[46:47], v[46:47], v[48:49], 1.0
	v_ldexp_f64 v[44:45], v[46:47], v8
	v_mul_f64 v[44:45], v[44:45], s[0:1]
	v_cmp_ngt_f64_e64 s[0:1], s[30:31], v[42:43]
	v_cndmask_b32_e32 v8, v55, v45, vcc
	s_and_b64 vcc, s[0:1], vcc
	v_cndmask_b32_e64 v43, 0, v8, s[0:1]
	s_mov_b32 s0, 0xcb978e43
	s_mov_b32 s1, 0xbf37c9bb
	v_cndmask_b32_e32 v42, 0, v44, vcc
	v_mul_f64 v[44:45], v[2:3], s[0:1]
	s_mov_b32 s0, 0xb98c7e28
	s_mov_b32 s1, 0x3fe9096b
	v_mul_f64 v[46:47], v[44:45], s[58:59]
	v_cmp_nlt_f64_e32 vcc, s[28:29], v[44:45]
	v_rndne_f64_e32 v[46:47], v[46:47]
	v_fma_f64 v[48:49], v[46:47], s[60:61], v[44:45]
	v_cvt_i32_f64_e32 v8, v[46:47]
	v_fma_f64 v[48:49], v[46:47], s[62:63], v[48:49]
	v_fma_f64 v[50:51], v[48:49], s[4:5], v[0:1]
	;; [unrolled: 1-line block ×10, first 2 shown]
	v_fma_f64 v[50:51], v[48:49], v[50:51], 1.0
	v_fma_f64 v[48:49], v[48:49], v[50:51], 1.0
	v_ldexp_f64 v[46:47], v[48:49], v8
	v_mul_f64 v[46:47], v[46:47], s[0:1]
	v_cmp_ngt_f64_e64 s[0:1], s[30:31], v[44:45]
	v_cndmask_b32_e32 v8, v55, v47, vcc
	s_and_b64 vcc, s[0:1], vcc
	v_cndmask_b32_e64 v45, 0, v8, s[0:1]
	s_mov_b32 s0, 0
	v_cndmask_b32_e32 v44, 0, v46, vcc
	s_mov_b32 s1, 0xc0b9aa00
	v_add_f64 v[42:43], v[42:43], v[44:45]
	v_mul_f64 v[44:45], v[18:19], s[0:1]
	v_mul_f64 v[46:47], v[44:45], s[58:59]
	v_cmp_nlt_f64_e32 vcc, s[28:29], v[44:45]
	v_cmp_ngt_f64_e64 s[0:1], s[30:31], v[44:45]
	v_rndne_f64_e32 v[46:47], v[46:47]
	v_fma_f64 v[48:49], v[46:47], s[60:61], v[44:45]
	v_cvt_i32_f64_e32 v8, v[46:47]
	v_fma_f64 v[48:49], v[46:47], s[62:63], v[48:49]
	v_fma_f64 v[50:51], v[48:49], s[4:5], v[0:1]
	v_fma_f64 v[50:51], v[48:49], v[50:51], s[6:7]
	v_fma_f64 v[50:51], v[48:49], v[50:51], s[8:9]
	v_fma_f64 v[50:51], v[48:49], v[50:51], s[10:11]
	v_fma_f64 v[50:51], v[48:49], v[50:51], s[18:19]
	v_fma_f64 v[50:51], v[48:49], v[50:51], s[20:21]
	v_fma_f64 v[50:51], v[48:49], v[50:51], s[22:23]
	v_fma_f64 v[50:51], v[48:49], v[50:51], s[24:25]
	v_fma_f64 v[50:51], v[48:49], v[50:51], s[26:27]
	v_fma_f64 v[50:51], v[48:49], v[50:51], 1.0
	v_fma_f64 v[48:49], v[48:49], v[50:51], 1.0
	v_ldexp_f64 v[46:47], v[48:49], v8
	v_cndmask_b32_e32 v8, v55, v47, vcc
	s_and_b64 vcc, s[0:1], vcc
	v_cndmask_b32_e32 v44, 0, v46, vcc
	v_cndmask_b32_e64 v45, 0, v8, s[0:1]
	v_add_f64 v[42:43], v[44:45], v[42:43]
	v_max_f64 v[42:43], v[42:43], s[56:57]
	v_frexp_mant_f64_e32 v[44:45], v[42:43]
	v_frexp_exp_i32_f64_e32 v8, v[42:43]
	v_cmp_gt_f64_e32 vcc, s[54:55], v[44:45]
	v_cndmask_b32_e64 v46, 0, 1, vcc
	v_ldexp_f64 v[44:45], v[44:45], v46
	v_subbrev_co_u32_e32 v8, vcc, 0, v8, vcc
	v_cmp_neq_f64_e32 vcc, s[2:3], v[42:43]
	v_add_f64 v[48:49], v[44:45], 1.0
	v_add_f64 v[46:47], v[44:45], -1.0
	v_add_f64 v[50:51], v[48:49], -1.0
	v_add_f64 v[44:45], v[44:45], -v[50:51]
	v_rcp_f64_e32 v[50:51], v[48:49]
	v_fma_f64 v[52:53], -v[48:49], v[50:51], 1.0
	v_fma_f64 v[50:51], v[52:53], v[50:51], v[50:51]
	v_fma_f64 v[52:53], -v[48:49], v[50:51], 1.0
	v_fma_f64 v[50:51], v[52:53], v[50:51], v[50:51]
	v_mul_f64 v[52:53], v[46:47], v[50:51]
	v_mul_f64 v[56:57], v[48:49], v[52:53]
	v_fma_f64 v[48:49], v[52:53], v[48:49], -v[56:57]
	v_fma_f64 v[44:45], v[52:53], v[44:45], v[48:49]
	v_add_f64 v[48:49], v[56:57], v[44:45]
	v_add_f64 v[59:60], v[46:47], -v[48:49]
	v_add_f64 v[56:57], v[48:49], -v[56:57]
	;; [unrolled: 1-line block ×5, first 2 shown]
	v_add_f64 v[44:45], v[44:45], v[46:47]
	v_add_f64 v[44:45], v[59:60], v[44:45]
	v_mul_f64 v[44:45], v[50:51], v[44:45]
	v_add_f64 v[46:47], v[52:53], v[44:45]
	v_add_f64 v[48:49], v[46:47], -v[52:53]
	v_ldexp_f64 v[52:53], v[46:47], 1
	v_add_f64 v[44:45], v[44:45], -v[48:49]
	v_mul_f64 v[48:49], v[46:47], v[46:47]
	v_ldexp_f64 v[44:45], v[44:45], 1
	v_fma_f64 v[50:51], v[48:49], s[42:43], v[4:5]
	v_mul_f64 v[46:47], v[46:47], v[48:49]
	v_fma_f64 v[50:51], v[48:49], v[50:51], s[44:45]
	v_fma_f64 v[50:51], v[48:49], v[50:51], s[46:47]
	v_fma_f64 v[50:51], v[48:49], v[50:51], s[48:49]
	v_fma_f64 v[50:51], v[48:49], v[50:51], s[50:51]
	v_fma_f64 v[50:51], v[48:49], v[50:51], s[52:53]
	v_mul_f64 v[46:47], v[46:47], v[50:51]
	v_add_f64 v[48:49], v[52:53], v[46:47]
	v_add_f64 v[50:51], v[48:49], -v[52:53]
	v_add_f64 v[46:47], v[46:47], -v[50:51]
	v_add_f64 v[44:45], v[44:45], v[46:47]
	v_add_f64 v[46:47], v[48:49], v[44:45]
	v_add_f64 v[48:49], v[46:47], -v[48:49]
	v_add_f64 v[48:49], v[44:45], -v[48:49]
	v_cvt_f64_i32_e32 v[44:45], v8
	v_mul_f64 v[50:51], v[44:45], s[38:39]
	v_fma_f64 v[52:53], v[44:45], s[38:39], -v[50:51]
	v_fma_f64 v[44:45], v[44:45], s[40:41], v[52:53]
	v_add_f64 v[52:53], v[50:51], v[44:45]
	v_add_f64 v[50:51], v[52:53], -v[50:51]
	v_add_f64 v[44:45], v[44:45], -v[50:51]
	v_mul_f64 v[50:51], v[46:47], s[36:37]
	v_fma_f64 v[56:57], v[46:47], s[36:37], -v[50:51]
	v_fma_f64 v[48:49], v[48:49], s[36:37], v[56:57]
	v_fma_f64 v[46:47], v[46:47], s[34:35], v[48:49]
	v_add_f64 v[48:49], v[50:51], v[46:47]
	v_add_f64 v[50:51], v[48:49], -v[50:51]
	v_add_f64 v[50:51], v[46:47], -v[50:51]
	v_add_f64 v[46:47], v[52:53], v[48:49]
	v_add_f64 v[56:57], v[46:47], -v[52:53]
	v_add_f64 v[59:60], v[46:47], -v[56:57]
	;; [unrolled: 1-line block ×4, first 2 shown]
	v_add_f64 v[48:49], v[48:49], v[52:53]
	v_add_f64 v[52:53], v[44:45], v[50:51]
	v_add_f64 v[56:57], v[52:53], -v[44:45]
	v_add_f64 v[48:49], v[52:53], v[48:49]
	v_add_f64 v[59:60], v[52:53], -v[56:57]
	v_add_f64 v[50:51], v[50:51], -v[56:57]
	;; [unrolled: 1-line block ×3, first 2 shown]
	v_add_f64 v[44:45], v[50:51], v[44:45]
	v_add_f64 v[50:51], v[46:47], v[48:49]
	v_add_f64 v[46:47], v[50:51], -v[46:47]
	v_add_f64 v[46:47], v[48:49], -v[46:47]
	v_add_f64 v[44:45], v[44:45], v[46:47]
	v_add_f64 v[44:45], v[50:51], v[44:45]
	v_cndmask_b32_e32 v43, v55, v45, vcc
	v_cndmask_b32_e32 v42, 0, v44, vcc
	v_fma_f64 v[46:47], v[42:43], s[76:77], v[20:21]
	v_fma_f64 v[44:45], v[42:43], s[70:71], v[16:17]
	v_add_f64 v[40:41], v[40:41], -v[46:47]
	v_fma_f64 v[44:45], v[40:41], s[78:79], v[44:45]
	v_div_scale_f64 v[46:47], s[0:1], v[44:45], v[44:45], 1.0
	v_rcp_f64_e32 v[48:49], v[46:47]
	v_fma_f64 v[50:51], -v[46:47], v[48:49], 1.0
	v_fma_f64 v[48:49], v[48:49], v[50:51], v[48:49]
	v_fma_f64 v[50:51], -v[46:47], v[48:49], 1.0
	v_fma_f64 v[48:49], v[48:49], v[50:51], v[48:49]
	v_div_scale_f64 v[50:51], vcc, 1.0, v[44:45], 1.0
	v_mul_f64 v[52:53], v[50:51], v[48:49]
	v_fma_f64 v[46:47], -v[46:47], v[52:53], v[50:51]
	s_nop 1
	v_div_fmas_f64 v[46:47], v[46:47], v[48:49], v[52:53]
	v_div_fixup_f64 v[44:45], v[46:47], v[44:45], 1.0
	v_mul_f64 v[40:41], v[40:41], v[44:45]
	v_fma_f64 v[40:41], v[40:41], v[40:41], 1.0
	v_div_scale_f64 v[44:45], s[0:1], v[40:41], v[40:41], 1.0
	v_rcp_f64_e32 v[46:47], v[44:45]
	v_fma_f64 v[48:49], -v[44:45], v[46:47], 1.0
	v_fma_f64 v[46:47], v[46:47], v[48:49], v[46:47]
	v_fma_f64 v[48:49], -v[44:45], v[46:47], 1.0
	v_fma_f64 v[46:47], v[46:47], v[48:49], v[46:47]
	v_div_scale_f64 v[48:49], vcc, 1.0, v[40:41], 1.0
	v_mul_f64 v[50:51], v[48:49], v[46:47]
	v_fma_f64 v[44:45], -v[44:45], v[50:51], v[48:49]
	s_nop 1
	v_div_fmas_f64 v[44:45], v[44:45], v[46:47], v[50:51]
	v_div_fixup_f64 v[40:41], v[44:45], v[40:41], 1.0
	v_mul_f64 v[40:41], v[42:43], v[40:41]
	v_mul_f64 v[42:43], v[40:41], s[64:65]
	v_cmp_nlt_f64_e32 vcc, s[28:29], v[40:41]
	v_cmp_ngt_f64_e64 s[0:1], s[30:31], v[40:41]
	v_rndne_f64_e32 v[42:43], v[42:43]
	v_fma_f64 v[44:45], v[42:43], s[66:67], v[40:41]
	v_cvt_i32_f64_e32 v8, v[42:43]
	v_fma_f64 v[44:45], v[42:43], s[68:69], v[44:45]
	v_mul_f64 v[46:47], v[44:45], s[72:73]
	v_fma_f64 v[44:45], v[44:45], s[74:75], v[46:47]
	v_fma_f64 v[46:47], v[44:45], s[4:5], v[0:1]
	v_fma_f64 v[46:47], v[44:45], v[46:47], s[6:7]
	v_fma_f64 v[46:47], v[44:45], v[46:47], s[8:9]
	v_fma_f64 v[46:47], v[44:45], v[46:47], s[10:11]
	v_fma_f64 v[46:47], v[44:45], v[46:47], s[18:19]
	v_fma_f64 v[46:47], v[44:45], v[46:47], s[20:21]
	v_fma_f64 v[46:47], v[44:45], v[46:47], s[22:23]
	v_fma_f64 v[46:47], v[44:45], v[46:47], s[24:25]
	v_fma_f64 v[46:47], v[44:45], v[46:47], s[26:27]
	v_fma_f64 v[46:47], v[44:45], v[46:47], 1.0
	v_fma_f64 v[44:45], v[44:45], v[46:47], 1.0
	v_ldexp_f64 v[42:43], v[44:45], v8
	v_cndmask_b32_e32 v8, v55, v43, vcc
	s_and_b64 vcc, s[0:1], vcc
	v_cndmask_b32_e32 v40, 0, v42, vcc
	v_cndmask_b32_e64 v41, 0, v8, s[0:1]
	v_mul_f64 v[38:39], v[38:39], v[40:41]
	v_add_co_u32_e32 v32, vcc, s14, v32
	v_addc_co_u32_e32 v33, vcc, v58, v33, vcc
	s_mul_i32 s0, s33, 0xffffffdc
	v_add_u32_e32 v6, s0, v6
	v_mul_f64 v[36:37], v[36:37], v[38:39]
	global_store_dwordx2 v[34:35], v[36:37], off
	global_load_dwordx2 v[34:35], v[32:33], off
	s_waitcnt vmcnt(0)
	v_mul_f64 v[34:35], v[34:35], v[38:39]
	global_store_dwordx2 v[32:33], v[34:35], off
	v_lshlrev_b64 v[32:33], 3, v[6:7]
	v_add_co_u32_e32 v32, vcc, s16, v32
	v_addc_co_u32_e32 v33, vcc, v63, v33, vcc
	global_load_dwordx2 v[39:40], v[32:33], off
	v_mad_u64_u32 v[32:33], s[0:1], s33, 43, v[6:7]
	v_mov_b32_e32 v33, v7
	v_lshlrev_b64 v[33:34], 3, v[32:33]
	v_add_co_u32_e32 v35, vcc, s12, v33
	v_addc_co_u32_e32 v36, vcc, v9, v34, vcc
	global_load_dwordx2 v[37:38], v[35:36], off
	s_waitcnt vmcnt(0)
	v_div_scale_f64 v[41:42], s[0:1], v[37:38], v[37:38], 1.0
	v_rcp_f64_e32 v[43:44], v[41:42]
	v_fma_f64 v[45:46], -v[41:42], v[43:44], 1.0
	v_fma_f64 v[43:44], v[43:44], v[45:46], v[43:44]
	v_fma_f64 v[45:46], -v[41:42], v[43:44], 1.0
	v_fma_f64 v[43:44], v[43:44], v[45:46], v[43:44]
	v_div_scale_f64 v[45:46], vcc, 1.0, v[37:38], 1.0
	v_mul_f64 v[47:48], v[45:46], v[43:44]
	v_fma_f64 v[41:42], -v[41:42], v[47:48], v[45:46]
	s_nop 1
	v_div_fmas_f64 v[41:42], v[41:42], v[43:44], v[47:48]
	v_div_fixup_f64 v[41:42], v[41:42], v[37:38], 1.0
	v_mul_f64 v[41:42], v[12:13], v[41:42]
	v_mul_f64 v[43:44], v[39:40], v[41:42]
	v_fma_f64 v[39:40], v[39:40], v[41:42], 1.0
	v_div_scale_f64 v[41:42], s[0:1], v[39:40], v[39:40], 1.0
	s_mov_b32 s0, 0x1a41a41a
	s_mov_b32 s1, 0xbf8a41a4
	v_rcp_f64_e32 v[45:46], v[41:42]
	v_fma_f64 v[47:48], -v[41:42], v[45:46], 1.0
	v_fma_f64 v[45:46], v[45:46], v[47:48], v[45:46]
	v_fma_f64 v[47:48], -v[41:42], v[45:46], 1.0
	v_fma_f64 v[45:46], v[45:46], v[47:48], v[45:46]
	v_div_scale_f64 v[47:48], vcc, 1.0, v[39:40], 1.0
	v_mul_f64 v[49:50], v[47:48], v[45:46]
	v_fma_f64 v[41:42], -v[41:42], v[49:50], v[47:48]
	s_nop 1
	v_div_fmas_f64 v[41:42], v[41:42], v[45:46], v[49:50]
	v_div_fixup_f64 v[39:40], v[41:42], v[39:40], 1.0
	v_max_f64 v[41:42], v[43:44], s[56:57]
	v_mul_f64 v[39:40], v[43:44], v[39:40]
	v_frexp_mant_f64_e32 v[43:44], v[41:42]
	v_frexp_exp_i32_f64_e32 v6, v[41:42]
	v_cmp_gt_f64_e32 vcc, s[54:55], v[43:44]
	v_cndmask_b32_e64 v8, 0, 1, vcc
	v_ldexp_f64 v[43:44], v[43:44], v8
	v_subbrev_co_u32_e32 v6, vcc, 0, v6, vcc
	v_cmp_neq_f64_e32 vcc, s[2:3], v[41:42]
	v_add_f64 v[47:48], v[43:44], 1.0
	v_add_f64 v[45:46], v[43:44], -1.0
	v_add_f64 v[49:50], v[47:48], -1.0
	v_add_f64 v[43:44], v[43:44], -v[49:50]
	v_rcp_f64_e32 v[49:50], v[47:48]
	v_fma_f64 v[51:52], -v[47:48], v[49:50], 1.0
	v_fma_f64 v[49:50], v[51:52], v[49:50], v[49:50]
	v_fma_f64 v[51:52], -v[47:48], v[49:50], 1.0
	v_fma_f64 v[49:50], v[51:52], v[49:50], v[49:50]
	v_mul_f64 v[51:52], v[45:46], v[49:50]
	v_mul_f64 v[53:54], v[47:48], v[51:52]
	v_fma_f64 v[47:48], v[51:52], v[47:48], -v[53:54]
	v_fma_f64 v[43:44], v[51:52], v[43:44], v[47:48]
	v_add_f64 v[47:48], v[53:54], v[43:44]
	v_add_f64 v[56:57], v[45:46], -v[47:48]
	v_add_f64 v[53:54], v[47:48], -v[53:54]
	;; [unrolled: 1-line block ×5, first 2 shown]
	v_add_f64 v[43:44], v[43:44], v[45:46]
	v_add_f64 v[43:44], v[56:57], v[43:44]
	v_mul_f64 v[43:44], v[49:50], v[43:44]
	v_add_f64 v[45:46], v[51:52], v[43:44]
	v_add_f64 v[47:48], v[45:46], -v[51:52]
	v_ldexp_f64 v[51:52], v[45:46], 1
	v_add_f64 v[43:44], v[43:44], -v[47:48]
	v_mul_f64 v[47:48], v[45:46], v[45:46]
	v_ldexp_f64 v[43:44], v[43:44], 1
	v_fma_f64 v[49:50], v[47:48], s[42:43], v[4:5]
	v_mul_f64 v[45:46], v[45:46], v[47:48]
	v_fma_f64 v[49:50], v[47:48], v[49:50], s[44:45]
	v_fma_f64 v[49:50], v[47:48], v[49:50], s[46:47]
	;; [unrolled: 1-line block ×5, first 2 shown]
	v_mul_f64 v[45:46], v[45:46], v[49:50]
	v_add_f64 v[47:48], v[51:52], v[45:46]
	v_add_f64 v[49:50], v[47:48], -v[51:52]
	v_add_f64 v[45:46], v[45:46], -v[49:50]
	v_add_f64 v[43:44], v[43:44], v[45:46]
	v_add_f64 v[45:46], v[47:48], v[43:44]
	v_add_f64 v[47:48], v[45:46], -v[47:48]
	v_add_f64 v[43:44], v[43:44], -v[47:48]
	v_cvt_f64_i32_e32 v[47:48], v6
	v_mul_f64 v[49:50], v[47:48], s[38:39]
	v_fma_f64 v[51:52], v[47:48], s[38:39], -v[49:50]
	v_fma_f64 v[47:48], v[47:48], s[40:41], v[51:52]
	v_add_f64 v[51:52], v[49:50], v[47:48]
	v_add_f64 v[49:50], v[51:52], -v[49:50]
	v_add_f64 v[47:48], v[47:48], -v[49:50]
	v_mul_f64 v[49:50], v[45:46], s[36:37]
	v_fma_f64 v[53:54], v[45:46], s[36:37], -v[49:50]
	v_fma_f64 v[43:44], v[43:44], s[36:37], v[53:54]
	v_fma_f64 v[43:44], v[45:46], s[34:35], v[43:44]
	v_add_f64 v[45:46], v[49:50], v[43:44]
	v_add_f64 v[49:50], v[45:46], -v[49:50]
	v_add_f64 v[43:44], v[43:44], -v[49:50]
	v_add_f64 v[49:50], v[51:52], v[45:46]
	v_add_f64 v[53:54], v[49:50], -v[51:52]
	v_add_f64 v[56:57], v[49:50], -v[53:54]
	;; [unrolled: 1-line block ×4, first 2 shown]
	v_add_f64 v[45:46], v[45:46], v[51:52]
	v_add_f64 v[51:52], v[47:48], v[43:44]
	v_add_f64 v[53:54], v[51:52], -v[47:48]
	v_add_f64 v[45:46], v[51:52], v[45:46]
	v_add_f64 v[56:57], v[51:52], -v[53:54]
	v_add_f64 v[43:44], v[43:44], -v[53:54]
	v_add_f64 v[47:48], v[47:48], -v[56:57]
	v_add_f64 v[43:44], v[43:44], v[47:48]
	v_add_f64 v[47:48], v[49:50], v[45:46]
	v_add_f64 v[49:50], v[47:48], -v[49:50]
	v_add_f64 v[45:46], v[45:46], -v[49:50]
	v_add_f64 v[43:44], v[43:44], v[45:46]
	v_add_f64 v[43:44], v[47:48], v[43:44]
	v_cndmask_b32_e32 v42, v55, v44, vcc
	v_cndmask_b32_e32 v41, 0, v43, vcc
	v_mul_f64 v[43:44], v[2:3], s[0:1]
	s_mov_b32 s0, 0x47ae147b
	s_mov_b32 s1, 0x3fd47ae1
	v_mul_f64 v[45:46], v[43:44], s[58:59]
	v_cmp_nlt_f64_e32 vcc, s[28:29], v[43:44]
	v_rndne_f64_e32 v[45:46], v[45:46]
	v_fma_f64 v[47:48], v[45:46], s[60:61], v[43:44]
	v_cvt_i32_f64_e32 v6, v[45:46]
	v_fma_f64 v[47:48], v[45:46], s[62:63], v[47:48]
	v_fma_f64 v[49:50], v[47:48], s[4:5], v[0:1]
	;; [unrolled: 1-line block ×10, first 2 shown]
	v_fma_f64 v[49:50], v[47:48], v[49:50], 1.0
	v_fma_f64 v[47:48], v[47:48], v[49:50], 1.0
	v_ldexp_f64 v[45:46], v[47:48], v6
	v_mul_f64 v[45:46], v[45:46], s[0:1]
	v_cmp_ngt_f64_e64 s[0:1], s[30:31], v[43:44]
	v_cndmask_b32_e32 v6, v55, v46, vcc
	s_and_b64 vcc, s[0:1], vcc
	v_cndmask_b32_e64 v44, 0, v6, s[0:1]
	s_mov_b32 s0, 0xe80106cd
	s_mov_b32 s1, 0xbf406cd0
	v_cndmask_b32_e32 v43, 0, v45, vcc
	v_mul_f64 v[45:46], v[2:3], s[0:1]
	s_mov_b32 s0, 0x5c28f5c3
	s_mov_b32 s1, 0x3fe5c28f
	v_mul_f64 v[47:48], v[45:46], s[58:59]
	v_cmp_nlt_f64_e32 vcc, s[28:29], v[45:46]
	v_rndne_f64_e32 v[47:48], v[47:48]
	v_fma_f64 v[49:50], v[47:48], s[60:61], v[45:46]
	v_cvt_i32_f64_e32 v6, v[47:48]
	v_fma_f64 v[49:50], v[47:48], s[62:63], v[49:50]
	v_fma_f64 v[51:52], v[49:50], s[4:5], v[0:1]
	v_fma_f64 v[51:52], v[49:50], v[51:52], s[6:7]
	v_fma_f64 v[51:52], v[49:50], v[51:52], s[8:9]
	v_fma_f64 v[51:52], v[49:50], v[51:52], s[10:11]
	v_fma_f64 v[51:52], v[49:50], v[51:52], s[18:19]
	v_fma_f64 v[51:52], v[49:50], v[51:52], s[20:21]
	v_fma_f64 v[51:52], v[49:50], v[51:52], s[22:23]
	v_fma_f64 v[51:52], v[49:50], v[51:52], s[24:25]
	v_fma_f64 v[51:52], v[49:50], v[51:52], s[26:27]
	v_fma_f64 v[51:52], v[49:50], v[51:52], 1.0
	v_fma_f64 v[49:50], v[49:50], v[51:52], 1.0
	v_ldexp_f64 v[47:48], v[49:50], v6
	v_mul_f64 v[47:48], v[47:48], s[0:1]
	v_cmp_ngt_f64_e64 s[0:1], s[30:31], v[45:46]
	v_cndmask_b32_e32 v6, v55, v48, vcc
	s_and_b64 vcc, s[0:1], vcc
	v_cndmask_b32_e64 v46, 0, v6, s[0:1]
	s_mov_b32 s0, 0
	v_cndmask_b32_e32 v45, 0, v47, vcc
	s_mov_b32 s1, 0xc0b5d600
	v_add_f64 v[43:44], v[43:44], v[45:46]
	v_mul_f64 v[45:46], v[18:19], s[0:1]
	v_mul_f64 v[47:48], v[45:46], s[58:59]
	v_cmp_nlt_f64_e32 vcc, s[28:29], v[45:46]
	v_cmp_ngt_f64_e64 s[0:1], s[30:31], v[45:46]
	v_rndne_f64_e32 v[47:48], v[47:48]
	v_fma_f64 v[49:50], v[47:48], s[60:61], v[45:46]
	v_cvt_i32_f64_e32 v6, v[47:48]
	v_fma_f64 v[49:50], v[47:48], s[62:63], v[49:50]
	v_fma_f64 v[51:52], v[49:50], s[4:5], v[0:1]
	;; [unrolled: 1-line block ×10, first 2 shown]
	v_fma_f64 v[51:52], v[49:50], v[51:52], 1.0
	v_fma_f64 v[49:50], v[49:50], v[51:52], 1.0
	v_ldexp_f64 v[47:48], v[49:50], v6
	v_cndmask_b32_e32 v6, v55, v48, vcc
	s_and_b64 vcc, s[0:1], vcc
	v_cndmask_b32_e32 v45, 0, v47, vcc
	v_cndmask_b32_e64 v46, 0, v6, s[0:1]
	v_add_f64 v[43:44], v[45:46], v[43:44]
	v_max_f64 v[43:44], v[43:44], s[56:57]
	v_frexp_mant_f64_e32 v[45:46], v[43:44]
	v_frexp_exp_i32_f64_e32 v6, v[43:44]
	v_cmp_gt_f64_e32 vcc, s[54:55], v[45:46]
	v_cndmask_b32_e64 v8, 0, 1, vcc
	v_ldexp_f64 v[45:46], v[45:46], v8
	v_subbrev_co_u32_e32 v6, vcc, 0, v6, vcc
	v_cmp_neq_f64_e32 vcc, s[2:3], v[43:44]
	v_add_f64 v[49:50], v[45:46], 1.0
	v_add_f64 v[47:48], v[45:46], -1.0
	v_add_f64 v[51:52], v[49:50], -1.0
	v_add_f64 v[45:46], v[45:46], -v[51:52]
	v_rcp_f64_e32 v[51:52], v[49:50]
	v_fma_f64 v[53:54], -v[49:50], v[51:52], 1.0
	v_fma_f64 v[51:52], v[53:54], v[51:52], v[51:52]
	v_fma_f64 v[53:54], -v[49:50], v[51:52], 1.0
	v_fma_f64 v[51:52], v[53:54], v[51:52], v[51:52]
	v_mul_f64 v[53:54], v[47:48], v[51:52]
	v_mul_f64 v[56:57], v[49:50], v[53:54]
	v_fma_f64 v[49:50], v[53:54], v[49:50], -v[56:57]
	v_fma_f64 v[45:46], v[53:54], v[45:46], v[49:50]
	v_add_f64 v[49:50], v[56:57], v[45:46]
	v_add_f64 v[59:60], v[47:48], -v[49:50]
	v_add_f64 v[56:57], v[49:50], -v[56:57]
	;; [unrolled: 1-line block ×5, first 2 shown]
	v_add_f64 v[45:46], v[45:46], v[47:48]
	v_add_f64 v[45:46], v[59:60], v[45:46]
	v_mul_f64 v[45:46], v[51:52], v[45:46]
	v_add_f64 v[47:48], v[53:54], v[45:46]
	v_add_f64 v[49:50], v[47:48], -v[53:54]
	v_ldexp_f64 v[53:54], v[47:48], 1
	v_add_f64 v[45:46], v[45:46], -v[49:50]
	v_mul_f64 v[49:50], v[47:48], v[47:48]
	v_ldexp_f64 v[45:46], v[45:46], 1
	v_fma_f64 v[51:52], v[49:50], s[42:43], v[4:5]
	v_mul_f64 v[47:48], v[47:48], v[49:50]
	v_fma_f64 v[51:52], v[49:50], v[51:52], s[44:45]
	v_fma_f64 v[51:52], v[49:50], v[51:52], s[46:47]
	;; [unrolled: 1-line block ×5, first 2 shown]
	v_mul_f64 v[47:48], v[47:48], v[51:52]
	v_add_f64 v[49:50], v[53:54], v[47:48]
	v_add_f64 v[51:52], v[49:50], -v[53:54]
	v_add_f64 v[47:48], v[47:48], -v[51:52]
	v_add_f64 v[45:46], v[45:46], v[47:48]
	v_add_f64 v[47:48], v[49:50], v[45:46]
	v_add_f64 v[49:50], v[47:48], -v[49:50]
	v_add_f64 v[49:50], v[45:46], -v[49:50]
	v_cvt_f64_i32_e32 v[45:46], v6
	v_mul_f64 v[51:52], v[45:46], s[38:39]
	v_fma_f64 v[53:54], v[45:46], s[38:39], -v[51:52]
	v_fma_f64 v[45:46], v[45:46], s[40:41], v[53:54]
	v_add_f64 v[53:54], v[51:52], v[45:46]
	v_add_f64 v[51:52], v[53:54], -v[51:52]
	v_add_f64 v[45:46], v[45:46], -v[51:52]
	v_mul_f64 v[51:52], v[47:48], s[36:37]
	v_fma_f64 v[56:57], v[47:48], s[36:37], -v[51:52]
	v_fma_f64 v[49:50], v[49:50], s[36:37], v[56:57]
	v_fma_f64 v[47:48], v[47:48], s[34:35], v[49:50]
	v_add_f64 v[49:50], v[51:52], v[47:48]
	v_add_f64 v[51:52], v[49:50], -v[51:52]
	v_add_f64 v[51:52], v[47:48], -v[51:52]
	v_add_f64 v[47:48], v[53:54], v[49:50]
	v_add_f64 v[56:57], v[47:48], -v[53:54]
	v_add_f64 v[59:60], v[47:48], -v[56:57]
	v_add_f64 v[49:50], v[49:50], -v[56:57]
	v_add_f64 v[53:54], v[53:54], -v[59:60]
	v_add_f64 v[49:50], v[49:50], v[53:54]
	v_add_f64 v[53:54], v[45:46], v[51:52]
	v_add_f64 v[56:57], v[53:54], -v[45:46]
	v_add_f64 v[49:50], v[53:54], v[49:50]
	v_add_f64 v[59:60], v[53:54], -v[56:57]
	v_add_f64 v[51:52], v[51:52], -v[56:57]
	;; [unrolled: 1-line block ×3, first 2 shown]
	v_add_f64 v[45:46], v[51:52], v[45:46]
	v_add_f64 v[51:52], v[47:48], v[49:50]
	v_add_f64 v[47:48], v[51:52], -v[47:48]
	v_add_f64 v[47:48], v[49:50], -v[47:48]
	v_add_f64 v[45:46], v[45:46], v[47:48]
	v_add_f64 v[45:46], v[51:52], v[45:46]
	v_cndmask_b32_e32 v44, v55, v46, vcc
	v_cndmask_b32_e32 v43, 0, v45, vcc
	v_fma_f64 v[47:48], v[43:44], s[76:77], v[20:21]
	v_fma_f64 v[45:46], v[43:44], s[70:71], v[16:17]
	v_add_f64 v[41:42], v[41:42], -v[47:48]
	v_fma_f64 v[45:46], v[41:42], s[78:79], v[45:46]
	v_div_scale_f64 v[47:48], s[0:1], v[45:46], v[45:46], 1.0
	v_rcp_f64_e32 v[49:50], v[47:48]
	v_fma_f64 v[51:52], -v[47:48], v[49:50], 1.0
	v_fma_f64 v[49:50], v[49:50], v[51:52], v[49:50]
	v_fma_f64 v[51:52], -v[47:48], v[49:50], 1.0
	v_fma_f64 v[49:50], v[49:50], v[51:52], v[49:50]
	v_div_scale_f64 v[51:52], vcc, 1.0, v[45:46], 1.0
	v_mul_f64 v[53:54], v[51:52], v[49:50]
	v_fma_f64 v[47:48], -v[47:48], v[53:54], v[51:52]
	s_nop 1
	v_div_fmas_f64 v[47:48], v[47:48], v[49:50], v[53:54]
	v_div_fixup_f64 v[45:46], v[47:48], v[45:46], 1.0
	v_mul_f64 v[41:42], v[41:42], v[45:46]
	v_fma_f64 v[41:42], v[41:42], v[41:42], 1.0
	v_div_scale_f64 v[45:46], s[0:1], v[41:42], v[41:42], 1.0
	v_rcp_f64_e32 v[47:48], v[45:46]
	v_fma_f64 v[49:50], -v[45:46], v[47:48], 1.0
	v_fma_f64 v[47:48], v[47:48], v[49:50], v[47:48]
	v_fma_f64 v[49:50], -v[45:46], v[47:48], 1.0
	v_fma_f64 v[47:48], v[47:48], v[49:50], v[47:48]
	v_div_scale_f64 v[49:50], vcc, 1.0, v[41:42], 1.0
	v_mul_f64 v[51:52], v[49:50], v[47:48]
	v_fma_f64 v[45:46], -v[45:46], v[51:52], v[49:50]
	s_nop 1
	v_div_fmas_f64 v[45:46], v[45:46], v[47:48], v[51:52]
	v_div_fixup_f64 v[41:42], v[45:46], v[41:42], 1.0
	v_mul_f64 v[41:42], v[43:44], v[41:42]
	v_mul_f64 v[43:44], v[41:42], s[64:65]
	v_cmp_nlt_f64_e32 vcc, s[28:29], v[41:42]
	v_cmp_ngt_f64_e64 s[0:1], s[30:31], v[41:42]
	v_rndne_f64_e32 v[43:44], v[43:44]
	v_fma_f64 v[45:46], v[43:44], s[66:67], v[41:42]
	v_cvt_i32_f64_e32 v6, v[43:44]
	v_fma_f64 v[45:46], v[43:44], s[68:69], v[45:46]
	v_mul_f64 v[47:48], v[45:46], s[72:73]
	v_fma_f64 v[45:46], v[45:46], s[74:75], v[47:48]
	v_fma_f64 v[47:48], v[45:46], s[4:5], v[0:1]
	v_fma_f64 v[47:48], v[45:46], v[47:48], s[6:7]
	v_fma_f64 v[47:48], v[45:46], v[47:48], s[8:9]
	v_fma_f64 v[47:48], v[45:46], v[47:48], s[10:11]
	v_fma_f64 v[47:48], v[45:46], v[47:48], s[18:19]
	v_fma_f64 v[47:48], v[45:46], v[47:48], s[20:21]
	v_fma_f64 v[47:48], v[45:46], v[47:48], s[22:23]
	v_fma_f64 v[47:48], v[45:46], v[47:48], s[24:25]
	v_fma_f64 v[47:48], v[45:46], v[47:48], s[26:27]
	v_fma_f64 v[47:48], v[45:46], v[47:48], 1.0
	v_fma_f64 v[45:46], v[45:46], v[47:48], 1.0
	v_ldexp_f64 v[43:44], v[45:46], v6
	v_cndmask_b32_e32 v6, v55, v44, vcc
	s_and_b64 vcc, s[0:1], vcc
	v_cndmask_b32_e32 v41, 0, v43, vcc
	v_cndmask_b32_e64 v42, 0, v6, s[0:1]
	v_mul_f64 v[39:40], v[39:40], v[41:42]
	v_add_co_u32_e32 v33, vcc, s14, v33
	v_addc_co_u32_e32 v34, vcc, v58, v34, vcc
	v_add_co_u32_e32 v30, vcc, s16, v30
	v_addc_co_u32_e32 v31, vcc, v63, v31, vcc
	v_mul_f64 v[37:38], v[37:38], v[39:40]
	v_lshl_add_u32 v6, s33, 3, v32
	global_store_dwordx2 v[35:36], v[37:38], off
	global_load_dwordx2 v[35:36], v[33:34], off
	s_waitcnt vmcnt(0)
	v_mul_f64 v[35:36], v[35:36], v[39:40]
	global_store_dwordx2 v[33:34], v[35:36], off
	global_load_dwordx2 v[36:37], v[30:31], off
	v_lshlrev_b64 v[30:31], 3, v[6:7]
	v_add_co_u32_e32 v32, vcc, s12, v30
	v_addc_co_u32_e32 v33, vcc, v9, v31, vcc
	global_load_dwordx2 v[34:35], v[32:33], off
	s_waitcnt vmcnt(0)
	v_div_scale_f64 v[38:39], s[0:1], v[34:35], v[34:35], 1.0
	v_rcp_f64_e32 v[40:41], v[38:39]
	v_fma_f64 v[42:43], -v[38:39], v[40:41], 1.0
	v_fma_f64 v[40:41], v[40:41], v[42:43], v[40:41]
	v_fma_f64 v[42:43], -v[38:39], v[40:41], 1.0
	v_fma_f64 v[40:41], v[40:41], v[42:43], v[40:41]
	v_div_scale_f64 v[42:43], vcc, 1.0, v[34:35], 1.0
	v_mul_f64 v[44:45], v[42:43], v[40:41]
	v_fma_f64 v[38:39], -v[38:39], v[44:45], v[42:43]
	s_nop 1
	v_div_fmas_f64 v[38:39], v[38:39], v[40:41], v[44:45]
	v_div_fixup_f64 v[38:39], v[38:39], v[34:35], 1.0
	v_mul_f64 v[38:39], v[12:13], v[38:39]
	v_mul_f64 v[40:41], v[36:37], v[38:39]
	v_fma_f64 v[36:37], v[36:37], v[38:39], 1.0
	v_div_scale_f64 v[38:39], s[0:1], v[36:37], v[36:37], 1.0
	s_mov_b32 s0, 0xdca01dca
	s_mov_b32 s1, 0xbf6dca01
	v_rcp_f64_e32 v[42:43], v[38:39]
	v_fma_f64 v[44:45], -v[38:39], v[42:43], 1.0
	v_fma_f64 v[42:43], v[42:43], v[44:45], v[42:43]
	v_fma_f64 v[44:45], -v[38:39], v[42:43], 1.0
	v_fma_f64 v[42:43], v[42:43], v[44:45], v[42:43]
	v_div_scale_f64 v[44:45], vcc, 1.0, v[36:37], 1.0
	v_mul_f64 v[46:47], v[44:45], v[42:43]
	v_fma_f64 v[38:39], -v[38:39], v[46:47], v[44:45]
	s_nop 1
	v_div_fmas_f64 v[38:39], v[38:39], v[42:43], v[46:47]
	v_div_fixup_f64 v[36:37], v[38:39], v[36:37], 1.0
	v_max_f64 v[38:39], v[40:41], s[56:57]
	v_mul_f64 v[36:37], v[40:41], v[36:37]
	v_frexp_mant_f64_e32 v[40:41], v[38:39]
	v_frexp_exp_i32_f64_e32 v8, v[38:39]
	v_cmp_gt_f64_e32 vcc, s[54:55], v[40:41]
	v_cndmask_b32_e64 v42, 0, 1, vcc
	v_ldexp_f64 v[40:41], v[40:41], v42
	v_subbrev_co_u32_e32 v8, vcc, 0, v8, vcc
	v_cmp_neq_f64_e32 vcc, s[2:3], v[38:39]
	v_add_f64 v[44:45], v[40:41], 1.0
	v_add_f64 v[42:43], v[40:41], -1.0
	v_add_f64 v[46:47], v[44:45], -1.0
	v_add_f64 v[40:41], v[40:41], -v[46:47]
	v_rcp_f64_e32 v[46:47], v[44:45]
	v_fma_f64 v[48:49], -v[44:45], v[46:47], 1.0
	v_fma_f64 v[46:47], v[48:49], v[46:47], v[46:47]
	v_fma_f64 v[48:49], -v[44:45], v[46:47], 1.0
	v_fma_f64 v[46:47], v[48:49], v[46:47], v[46:47]
	v_mul_f64 v[48:49], v[42:43], v[46:47]
	v_mul_f64 v[50:51], v[44:45], v[48:49]
	v_fma_f64 v[44:45], v[48:49], v[44:45], -v[50:51]
	v_fma_f64 v[40:41], v[48:49], v[40:41], v[44:45]
	v_add_f64 v[44:45], v[50:51], v[40:41]
	v_add_f64 v[52:53], v[42:43], -v[44:45]
	v_add_f64 v[50:51], v[44:45], -v[50:51]
	;; [unrolled: 1-line block ×5, first 2 shown]
	v_add_f64 v[40:41], v[40:41], v[42:43]
	v_add_f64 v[40:41], v[52:53], v[40:41]
	v_mul_f64 v[40:41], v[46:47], v[40:41]
	v_add_f64 v[42:43], v[48:49], v[40:41]
	v_add_f64 v[44:45], v[42:43], -v[48:49]
	v_ldexp_f64 v[48:49], v[42:43], 1
	v_add_f64 v[40:41], v[40:41], -v[44:45]
	v_mul_f64 v[44:45], v[42:43], v[42:43]
	v_ldexp_f64 v[40:41], v[40:41], 1
	v_fma_f64 v[46:47], v[44:45], s[42:43], v[4:5]
	v_mul_f64 v[42:43], v[42:43], v[44:45]
	v_fma_f64 v[46:47], v[44:45], v[46:47], s[44:45]
	v_fma_f64 v[46:47], v[44:45], v[46:47], s[46:47]
	;; [unrolled: 1-line block ×5, first 2 shown]
	v_mul_f64 v[42:43], v[42:43], v[46:47]
	v_add_f64 v[44:45], v[48:49], v[42:43]
	v_add_f64 v[46:47], v[44:45], -v[48:49]
	v_add_f64 v[42:43], v[42:43], -v[46:47]
	v_add_f64 v[40:41], v[40:41], v[42:43]
	v_add_f64 v[42:43], v[44:45], v[40:41]
	v_add_f64 v[44:45], v[42:43], -v[44:45]
	v_add_f64 v[40:41], v[40:41], -v[44:45]
	v_cvt_f64_i32_e32 v[44:45], v8
	v_mul_f64 v[46:47], v[44:45], s[38:39]
	v_fma_f64 v[48:49], v[44:45], s[38:39], -v[46:47]
	v_fma_f64 v[44:45], v[44:45], s[40:41], v[48:49]
	v_add_f64 v[48:49], v[46:47], v[44:45]
	v_add_f64 v[46:47], v[48:49], -v[46:47]
	v_add_f64 v[44:45], v[44:45], -v[46:47]
	v_mul_f64 v[46:47], v[42:43], s[36:37]
	v_fma_f64 v[50:51], v[42:43], s[36:37], -v[46:47]
	v_fma_f64 v[40:41], v[40:41], s[36:37], v[50:51]
	v_fma_f64 v[40:41], v[42:43], s[34:35], v[40:41]
	v_add_f64 v[42:43], v[46:47], v[40:41]
	v_add_f64 v[46:47], v[42:43], -v[46:47]
	v_add_f64 v[40:41], v[40:41], -v[46:47]
	v_add_f64 v[46:47], v[48:49], v[42:43]
	v_add_f64 v[50:51], v[46:47], -v[48:49]
	v_add_f64 v[52:53], v[46:47], -v[50:51]
	;; [unrolled: 1-line block ×4, first 2 shown]
	v_add_f64 v[42:43], v[42:43], v[48:49]
	v_add_f64 v[48:49], v[44:45], v[40:41]
	v_add_f64 v[50:51], v[48:49], -v[44:45]
	v_add_f64 v[42:43], v[48:49], v[42:43]
	v_add_f64 v[52:53], v[48:49], -v[50:51]
	v_add_f64 v[40:41], v[40:41], -v[50:51]
	;; [unrolled: 1-line block ×3, first 2 shown]
	v_add_f64 v[40:41], v[40:41], v[44:45]
	v_add_f64 v[44:45], v[46:47], v[42:43]
	v_add_f64 v[46:47], v[44:45], -v[46:47]
	v_add_f64 v[42:43], v[42:43], -v[46:47]
	v_add_f64 v[40:41], v[40:41], v[42:43]
	v_add_f64 v[40:41], v[44:45], v[40:41]
	v_cndmask_b32_e32 v39, v55, v41, vcc
	v_cndmask_b32_e32 v38, 0, v40, vcc
	v_mul_f64 v[40:41], v[2:3], s[0:1]
	s_mov_b32 s0, 0xa0902de0
	s_mov_b32 s1, 0x3fda31f8
	v_mul_f64 v[42:43], v[40:41], s[58:59]
	v_cmp_nlt_f64_e32 vcc, s[28:29], v[40:41]
	v_rndne_f64_e32 v[42:43], v[42:43]
	v_fma_f64 v[44:45], v[42:43], s[60:61], v[40:41]
	v_cvt_i32_f64_e32 v8, v[42:43]
	v_fma_f64 v[44:45], v[42:43], s[62:63], v[44:45]
	v_fma_f64 v[46:47], v[44:45], s[4:5], v[0:1]
	;; [unrolled: 1-line block ×10, first 2 shown]
	v_fma_f64 v[46:47], v[44:45], v[46:47], 1.0
	v_fma_f64 v[44:45], v[44:45], v[46:47], 1.0
	v_ldexp_f64 v[42:43], v[44:45], v8
	v_mul_f64 v[42:43], v[42:43], s[0:1]
	v_cmp_ngt_f64_e64 s[0:1], s[30:31], v[40:41]
	v_cndmask_b32_e32 v8, v55, v43, vcc
	s_and_b64 vcc, s[0:1], vcc
	v_cndmask_b32_e64 v41, 0, v8, s[0:1]
	s_mov_b32 s0, 0xfbd2e5b1
	s_mov_b32 s1, 0xbf4aba41
	v_cndmask_b32_e32 v40, 0, v42, vcc
	v_mul_f64 v[42:43], v[2:3], s[0:1]
	s_mov_b32 s0, 0xafb7e910
	s_mov_b32 s1, 0x3fe2e703
	v_mul_f64 v[44:45], v[42:43], s[58:59]
	v_cmp_nlt_f64_e32 vcc, s[28:29], v[42:43]
	v_rndne_f64_e32 v[44:45], v[44:45]
	v_fma_f64 v[46:47], v[44:45], s[60:61], v[42:43]
	v_cvt_i32_f64_e32 v8, v[44:45]
	v_fma_f64 v[46:47], v[44:45], s[62:63], v[46:47]
	v_fma_f64 v[48:49], v[46:47], s[4:5], v[0:1]
	;; [unrolled: 1-line block ×10, first 2 shown]
	v_fma_f64 v[48:49], v[46:47], v[48:49], 1.0
	v_fma_f64 v[46:47], v[46:47], v[48:49], 1.0
	v_ldexp_f64 v[44:45], v[46:47], v8
	v_mul_f64 v[44:45], v[44:45], s[0:1]
	v_cmp_ngt_f64_e64 s[0:1], s[30:31], v[42:43]
	v_cndmask_b32_e32 v8, v55, v45, vcc
	s_and_b64 vcc, s[0:1], vcc
	v_cndmask_b32_e64 v43, 0, v8, s[0:1]
	s_mov_b32 s0, 0
	v_cndmask_b32_e32 v42, 0, v44, vcc
	s_mov_b32 s1, 0xc0b44100
	v_add_f64 v[40:41], v[40:41], v[42:43]
	v_mul_f64 v[42:43], v[18:19], s[0:1]
	v_mul_f64 v[44:45], v[42:43], s[58:59]
	v_cmp_nlt_f64_e32 vcc, s[28:29], v[42:43]
	v_cmp_ngt_f64_e64 s[0:1], s[30:31], v[42:43]
	v_rndne_f64_e32 v[44:45], v[44:45]
	v_fma_f64 v[46:47], v[44:45], s[60:61], v[42:43]
	v_cvt_i32_f64_e32 v8, v[44:45]
	v_fma_f64 v[46:47], v[44:45], s[62:63], v[46:47]
	v_fma_f64 v[48:49], v[46:47], s[4:5], v[0:1]
	;; [unrolled: 1-line block ×10, first 2 shown]
	v_fma_f64 v[48:49], v[46:47], v[48:49], 1.0
	v_fma_f64 v[46:47], v[46:47], v[48:49], 1.0
	v_ldexp_f64 v[44:45], v[46:47], v8
	v_cndmask_b32_e32 v8, v55, v45, vcc
	s_and_b64 vcc, s[0:1], vcc
	v_cndmask_b32_e32 v42, 0, v44, vcc
	v_cndmask_b32_e64 v43, 0, v8, s[0:1]
	v_add_f64 v[40:41], v[42:43], v[40:41]
	v_max_f64 v[40:41], v[40:41], s[56:57]
	v_frexp_mant_f64_e32 v[42:43], v[40:41]
	v_frexp_exp_i32_f64_e32 v8, v[40:41]
	v_cmp_gt_f64_e32 vcc, s[54:55], v[42:43]
	v_cndmask_b32_e64 v44, 0, 1, vcc
	v_ldexp_f64 v[42:43], v[42:43], v44
	v_subbrev_co_u32_e32 v8, vcc, 0, v8, vcc
	v_cmp_neq_f64_e32 vcc, s[2:3], v[40:41]
	v_add_f64 v[46:47], v[42:43], 1.0
	v_add_f64 v[44:45], v[42:43], -1.0
	v_add_f64 v[48:49], v[46:47], -1.0
	v_add_f64 v[42:43], v[42:43], -v[48:49]
	v_rcp_f64_e32 v[48:49], v[46:47]
	v_fma_f64 v[50:51], -v[46:47], v[48:49], 1.0
	v_fma_f64 v[48:49], v[50:51], v[48:49], v[48:49]
	v_fma_f64 v[50:51], -v[46:47], v[48:49], 1.0
	v_fma_f64 v[48:49], v[50:51], v[48:49], v[48:49]
	v_mul_f64 v[50:51], v[44:45], v[48:49]
	v_mul_f64 v[52:53], v[46:47], v[50:51]
	v_fma_f64 v[46:47], v[50:51], v[46:47], -v[52:53]
	v_fma_f64 v[42:43], v[50:51], v[42:43], v[46:47]
	v_add_f64 v[46:47], v[52:53], v[42:43]
	v_add_f64 v[56:57], v[44:45], -v[46:47]
	v_add_f64 v[52:53], v[46:47], -v[52:53]
	;; [unrolled: 1-line block ×5, first 2 shown]
	v_add_f64 v[42:43], v[42:43], v[44:45]
	v_add_f64 v[42:43], v[56:57], v[42:43]
	v_mul_f64 v[42:43], v[48:49], v[42:43]
	v_add_f64 v[44:45], v[50:51], v[42:43]
	v_add_f64 v[46:47], v[44:45], -v[50:51]
	v_ldexp_f64 v[50:51], v[44:45], 1
	v_add_f64 v[42:43], v[42:43], -v[46:47]
	v_mul_f64 v[46:47], v[44:45], v[44:45]
	v_ldexp_f64 v[42:43], v[42:43], 1
	v_fma_f64 v[48:49], v[46:47], s[42:43], v[4:5]
	v_mul_f64 v[44:45], v[44:45], v[46:47]
	v_fma_f64 v[48:49], v[46:47], v[48:49], s[44:45]
	v_fma_f64 v[48:49], v[46:47], v[48:49], s[46:47]
	;; [unrolled: 1-line block ×5, first 2 shown]
	v_mul_f64 v[44:45], v[44:45], v[48:49]
	v_add_f64 v[46:47], v[50:51], v[44:45]
	v_add_f64 v[48:49], v[46:47], -v[50:51]
	v_add_f64 v[44:45], v[44:45], -v[48:49]
	v_add_f64 v[42:43], v[42:43], v[44:45]
	v_add_f64 v[44:45], v[46:47], v[42:43]
	v_add_f64 v[46:47], v[44:45], -v[46:47]
	v_add_f64 v[46:47], v[42:43], -v[46:47]
	v_cvt_f64_i32_e32 v[42:43], v8
	v_mul_f64 v[48:49], v[42:43], s[38:39]
	v_fma_f64 v[50:51], v[42:43], s[38:39], -v[48:49]
	v_fma_f64 v[42:43], v[42:43], s[40:41], v[50:51]
	v_add_f64 v[50:51], v[48:49], v[42:43]
	v_add_f64 v[48:49], v[50:51], -v[48:49]
	v_add_f64 v[42:43], v[42:43], -v[48:49]
	v_mul_f64 v[48:49], v[44:45], s[36:37]
	v_fma_f64 v[52:53], v[44:45], s[36:37], -v[48:49]
	v_fma_f64 v[46:47], v[46:47], s[36:37], v[52:53]
	v_fma_f64 v[44:45], v[44:45], s[34:35], v[46:47]
	v_add_f64 v[46:47], v[48:49], v[44:45]
	v_add_f64 v[48:49], v[46:47], -v[48:49]
	v_add_f64 v[48:49], v[44:45], -v[48:49]
	v_add_f64 v[44:45], v[50:51], v[46:47]
	v_add_f64 v[52:53], v[44:45], -v[50:51]
	v_add_f64 v[56:57], v[44:45], -v[52:53]
	;; [unrolled: 1-line block ×4, first 2 shown]
	v_add_f64 v[46:47], v[46:47], v[50:51]
	v_add_f64 v[50:51], v[42:43], v[48:49]
	v_add_f64 v[52:53], v[50:51], -v[42:43]
	v_add_f64 v[46:47], v[50:51], v[46:47]
	v_add_f64 v[56:57], v[50:51], -v[52:53]
	v_add_f64 v[48:49], v[48:49], -v[52:53]
	;; [unrolled: 1-line block ×3, first 2 shown]
	v_add_f64 v[42:43], v[48:49], v[42:43]
	v_add_f64 v[48:49], v[44:45], v[46:47]
	v_add_f64 v[44:45], v[48:49], -v[44:45]
	v_add_f64 v[44:45], v[46:47], -v[44:45]
	v_add_f64 v[42:43], v[42:43], v[44:45]
	v_add_f64 v[42:43], v[48:49], v[42:43]
	v_cndmask_b32_e32 v41, v55, v43, vcc
	v_cndmask_b32_e32 v40, 0, v42, vcc
	v_fma_f64 v[44:45], v[40:41], s[76:77], v[20:21]
	v_fma_f64 v[42:43], v[40:41], s[70:71], v[16:17]
	v_add_f64 v[38:39], v[38:39], -v[44:45]
	v_fma_f64 v[42:43], v[38:39], s[78:79], v[42:43]
	v_div_scale_f64 v[44:45], s[0:1], v[42:43], v[42:43], 1.0
	v_rcp_f64_e32 v[46:47], v[44:45]
	v_fma_f64 v[48:49], -v[44:45], v[46:47], 1.0
	v_fma_f64 v[46:47], v[46:47], v[48:49], v[46:47]
	v_fma_f64 v[48:49], -v[44:45], v[46:47], 1.0
	v_fma_f64 v[46:47], v[46:47], v[48:49], v[46:47]
	v_div_scale_f64 v[48:49], vcc, 1.0, v[42:43], 1.0
	v_mul_f64 v[50:51], v[48:49], v[46:47]
	v_fma_f64 v[44:45], -v[44:45], v[50:51], v[48:49]
	s_nop 1
	v_div_fmas_f64 v[44:45], v[44:45], v[46:47], v[50:51]
	v_div_fixup_f64 v[42:43], v[44:45], v[42:43], 1.0
	v_mul_f64 v[38:39], v[38:39], v[42:43]
	v_fma_f64 v[38:39], v[38:39], v[38:39], 1.0
	v_div_scale_f64 v[42:43], s[0:1], v[38:39], v[38:39], 1.0
	v_rcp_f64_e32 v[44:45], v[42:43]
	v_fma_f64 v[46:47], -v[42:43], v[44:45], 1.0
	v_fma_f64 v[44:45], v[44:45], v[46:47], v[44:45]
	v_fma_f64 v[46:47], -v[42:43], v[44:45], 1.0
	v_fma_f64 v[44:45], v[44:45], v[46:47], v[44:45]
	v_div_scale_f64 v[46:47], vcc, 1.0, v[38:39], 1.0
	v_mul_f64 v[48:49], v[46:47], v[44:45]
	v_fma_f64 v[42:43], -v[42:43], v[48:49], v[46:47]
	s_nop 1
	v_div_fmas_f64 v[42:43], v[42:43], v[44:45], v[48:49]
	v_div_fixup_f64 v[38:39], v[42:43], v[38:39], 1.0
	v_mul_f64 v[38:39], v[40:41], v[38:39]
	v_mul_f64 v[40:41], v[38:39], s[64:65]
	v_cmp_nlt_f64_e32 vcc, s[28:29], v[38:39]
	v_cmp_ngt_f64_e64 s[0:1], s[30:31], v[38:39]
	v_rndne_f64_e32 v[40:41], v[40:41]
	v_fma_f64 v[42:43], v[40:41], s[66:67], v[38:39]
	v_cvt_i32_f64_e32 v8, v[40:41]
	v_fma_f64 v[42:43], v[40:41], s[68:69], v[42:43]
	v_mul_f64 v[44:45], v[42:43], s[72:73]
	v_fma_f64 v[42:43], v[42:43], s[74:75], v[44:45]
	v_fma_f64 v[44:45], v[42:43], s[4:5], v[0:1]
	;; [unrolled: 1-line block ×10, first 2 shown]
	v_fma_f64 v[44:45], v[42:43], v[44:45], 1.0
	v_fma_f64 v[42:43], v[42:43], v[44:45], 1.0
	v_ldexp_f64 v[40:41], v[42:43], v8
	v_cndmask_b32_e32 v8, v55, v41, vcc
	s_and_b64 vcc, s[0:1], vcc
	v_cndmask_b32_e32 v38, 0, v40, vcc
	v_cndmask_b32_e64 v39, 0, v8, s[0:1]
	v_mul_f64 v[36:37], v[36:37], v[38:39]
	v_add_co_u32_e32 v30, vcc, s14, v30
	v_addc_co_u32_e32 v31, vcc, v58, v31, vcc
	v_add_co_u32_e32 v26, vcc, s16, v26
	v_addc_co_u32_e32 v27, vcc, v63, v27, vcc
	v_mul_f64 v[34:35], v[34:35], v[36:37]
	global_store_dwordx2 v[32:33], v[34:35], off
	global_load_dwordx2 v[32:33], v[30:31], off
	s_waitcnt vmcnt(0)
	v_mul_f64 v[32:33], v[32:33], v[36:37]
	global_load_dwordx2 v[36:37], v[26:27], off
	v_mad_u64_u32 v[26:27], s[0:1], s33, 15, v[6:7]
	v_mov_b32_e32 v27, v7
	global_store_dwordx2 v[30:31], v[32:33], off
	v_lshlrev_b64 v[30:31], 3, v[26:27]
	v_add_co_u32_e32 v32, vcc, s12, v30
	v_addc_co_u32_e32 v33, vcc, v9, v31, vcc
	global_load_dwordx2 v[34:35], v[32:33], off
	s_waitcnt vmcnt(0)
	v_div_scale_f64 v[38:39], s[0:1], v[34:35], v[34:35], 1.0
	v_rcp_f64_e32 v[40:41], v[38:39]
	v_fma_f64 v[42:43], -v[38:39], v[40:41], 1.0
	v_fma_f64 v[40:41], v[40:41], v[42:43], v[40:41]
	v_fma_f64 v[42:43], -v[38:39], v[40:41], 1.0
	v_fma_f64 v[40:41], v[40:41], v[42:43], v[40:41]
	v_div_scale_f64 v[42:43], vcc, 1.0, v[34:35], 1.0
	v_mul_f64 v[44:45], v[42:43], v[40:41]
	v_fma_f64 v[38:39], -v[38:39], v[44:45], v[42:43]
	s_nop 1
	v_div_fmas_f64 v[38:39], v[38:39], v[40:41], v[44:45]
	v_div_fixup_f64 v[38:39], v[38:39], v[34:35], 1.0
	v_mul_f64 v[38:39], v[12:13], v[38:39]
	v_mul_f64 v[40:41], v[36:37], v[38:39]
	v_fma_f64 v[36:37], v[36:37], v[38:39], 1.0
	v_div_scale_f64 v[38:39], s[0:1], v[36:37], v[36:37], 1.0
	s_mov_b32 s0, 0x6c53a1d5
	s_mov_b32 s1, 0xbf45129a
	v_rcp_f64_e32 v[42:43], v[38:39]
	v_fma_f64 v[44:45], -v[38:39], v[42:43], 1.0
	v_fma_f64 v[42:43], v[42:43], v[44:45], v[42:43]
	v_fma_f64 v[44:45], -v[38:39], v[42:43], 1.0
	v_fma_f64 v[42:43], v[42:43], v[44:45], v[42:43]
	v_div_scale_f64 v[44:45], vcc, 1.0, v[36:37], 1.0
	v_mul_f64 v[46:47], v[44:45], v[42:43]
	v_fma_f64 v[38:39], -v[38:39], v[46:47], v[44:45]
	s_nop 1
	v_div_fmas_f64 v[38:39], v[38:39], v[42:43], v[46:47]
	v_div_fixup_f64 v[36:37], v[38:39], v[36:37], 1.0
	v_max_f64 v[38:39], v[40:41], s[56:57]
	v_mul_f64 v[36:37], v[40:41], v[36:37]
	v_frexp_mant_f64_e32 v[40:41], v[38:39]
	v_frexp_exp_i32_f64_e32 v6, v[38:39]
	v_cmp_gt_f64_e32 vcc, s[54:55], v[40:41]
	v_cndmask_b32_e64 v8, 0, 1, vcc
	v_ldexp_f64 v[40:41], v[40:41], v8
	v_subbrev_co_u32_e32 v6, vcc, 0, v6, vcc
	v_cmp_neq_f64_e32 vcc, s[2:3], v[38:39]
	v_add_f64 v[44:45], v[40:41], 1.0
	v_add_f64 v[42:43], v[40:41], -1.0
	v_add_f64 v[46:47], v[44:45], -1.0
	v_add_f64 v[40:41], v[40:41], -v[46:47]
	v_rcp_f64_e32 v[46:47], v[44:45]
	v_fma_f64 v[48:49], -v[44:45], v[46:47], 1.0
	v_fma_f64 v[46:47], v[48:49], v[46:47], v[46:47]
	v_fma_f64 v[48:49], -v[44:45], v[46:47], 1.0
	v_fma_f64 v[46:47], v[48:49], v[46:47], v[46:47]
	v_mul_f64 v[48:49], v[42:43], v[46:47]
	v_mul_f64 v[50:51], v[44:45], v[48:49]
	v_fma_f64 v[44:45], v[48:49], v[44:45], -v[50:51]
	v_fma_f64 v[40:41], v[48:49], v[40:41], v[44:45]
	v_add_f64 v[44:45], v[50:51], v[40:41]
	v_add_f64 v[52:53], v[42:43], -v[44:45]
	v_add_f64 v[50:51], v[44:45], -v[50:51]
	v_add_f64 v[42:43], v[42:43], -v[52:53]
	v_add_f64 v[40:41], v[50:51], -v[40:41]
	v_add_f64 v[42:43], v[42:43], -v[44:45]
	v_add_f64 v[40:41], v[40:41], v[42:43]
	v_add_f64 v[40:41], v[52:53], v[40:41]
	v_mul_f64 v[40:41], v[46:47], v[40:41]
	v_add_f64 v[42:43], v[48:49], v[40:41]
	v_add_f64 v[44:45], v[42:43], -v[48:49]
	v_ldexp_f64 v[48:49], v[42:43], 1
	v_add_f64 v[40:41], v[40:41], -v[44:45]
	v_mul_f64 v[44:45], v[42:43], v[42:43]
	v_ldexp_f64 v[40:41], v[40:41], 1
	v_fma_f64 v[46:47], v[44:45], s[42:43], v[4:5]
	v_mul_f64 v[42:43], v[42:43], v[44:45]
	v_fma_f64 v[46:47], v[44:45], v[46:47], s[44:45]
	v_fma_f64 v[46:47], v[44:45], v[46:47], s[46:47]
	;; [unrolled: 1-line block ×5, first 2 shown]
	v_mul_f64 v[42:43], v[42:43], v[46:47]
	v_add_f64 v[44:45], v[48:49], v[42:43]
	v_add_f64 v[46:47], v[44:45], -v[48:49]
	v_add_f64 v[42:43], v[42:43], -v[46:47]
	v_add_f64 v[40:41], v[40:41], v[42:43]
	v_add_f64 v[42:43], v[44:45], v[40:41]
	v_add_f64 v[44:45], v[42:43], -v[44:45]
	v_add_f64 v[40:41], v[40:41], -v[44:45]
	v_cvt_f64_i32_e32 v[44:45], v6
	v_mul_f64 v[46:47], v[44:45], s[38:39]
	v_fma_f64 v[48:49], v[44:45], s[38:39], -v[46:47]
	v_fma_f64 v[44:45], v[44:45], s[40:41], v[48:49]
	v_add_f64 v[48:49], v[46:47], v[44:45]
	v_add_f64 v[46:47], v[48:49], -v[46:47]
	v_add_f64 v[44:45], v[44:45], -v[46:47]
	v_mul_f64 v[46:47], v[42:43], s[36:37]
	v_fma_f64 v[50:51], v[42:43], s[36:37], -v[46:47]
	v_fma_f64 v[40:41], v[40:41], s[36:37], v[50:51]
	v_fma_f64 v[40:41], v[42:43], s[34:35], v[40:41]
	v_add_f64 v[42:43], v[46:47], v[40:41]
	v_add_f64 v[46:47], v[42:43], -v[46:47]
	v_add_f64 v[40:41], v[40:41], -v[46:47]
	v_add_f64 v[46:47], v[48:49], v[42:43]
	v_add_f64 v[50:51], v[46:47], -v[48:49]
	v_add_f64 v[52:53], v[46:47], -v[50:51]
	;; [unrolled: 1-line block ×4, first 2 shown]
	v_add_f64 v[42:43], v[42:43], v[48:49]
	v_add_f64 v[48:49], v[44:45], v[40:41]
	v_add_f64 v[50:51], v[48:49], -v[44:45]
	v_add_f64 v[42:43], v[48:49], v[42:43]
	v_add_f64 v[52:53], v[48:49], -v[50:51]
	v_add_f64 v[40:41], v[40:41], -v[50:51]
	;; [unrolled: 1-line block ×3, first 2 shown]
	v_add_f64 v[40:41], v[40:41], v[44:45]
	v_add_f64 v[44:45], v[46:47], v[42:43]
	v_add_f64 v[46:47], v[44:45], -v[46:47]
	v_add_f64 v[42:43], v[42:43], -v[46:47]
	v_add_f64 v[40:41], v[40:41], v[42:43]
	v_add_f64 v[40:41], v[44:45], v[40:41]
	v_cndmask_b32_e32 v39, v55, v41, vcc
	v_cndmask_b32_e32 v38, 0, v40, vcc
	v_mul_f64 v[40:41], v[2:3], s[0:1]
	s_mov_b32 s0, 0x374bc6a8
	s_mov_b32 s1, 0x3fe84189
	v_mul_f64 v[42:43], v[40:41], s[58:59]
	v_cmp_nlt_f64_e32 vcc, s[28:29], v[40:41]
	v_rndne_f64_e32 v[42:43], v[42:43]
	v_fma_f64 v[44:45], v[42:43], s[60:61], v[40:41]
	v_cvt_i32_f64_e32 v6, v[42:43]
	v_fma_f64 v[44:45], v[42:43], s[62:63], v[44:45]
	v_fma_f64 v[46:47], v[44:45], s[4:5], v[0:1]
	v_fma_f64 v[46:47], v[44:45], v[46:47], s[6:7]
	v_fma_f64 v[46:47], v[44:45], v[46:47], s[8:9]
	v_fma_f64 v[46:47], v[44:45], v[46:47], s[10:11]
	v_fma_f64 v[46:47], v[44:45], v[46:47], s[18:19]
	v_fma_f64 v[46:47], v[44:45], v[46:47], s[20:21]
	v_fma_f64 v[46:47], v[44:45], v[46:47], s[22:23]
	v_fma_f64 v[46:47], v[44:45], v[46:47], s[24:25]
	v_fma_f64 v[46:47], v[44:45], v[46:47], s[26:27]
	v_fma_f64 v[46:47], v[44:45], v[46:47], 1.0
	v_fma_f64 v[44:45], v[44:45], v[46:47], 1.0
	v_ldexp_f64 v[42:43], v[44:45], v6
	v_mul_f64 v[42:43], v[42:43], s[0:1]
	v_cmp_ngt_f64_e64 s[0:1], s[30:31], v[40:41]
	v_cndmask_b32_e32 v6, v55, v43, vcc
	s_and_b64 vcc, s[0:1], vcc
	v_cndmask_b32_e64 v41, 0, v6, s[0:1]
	s_mov_b32 s0, 0x22d0e560
	v_cndmask_b32_e32 v40, 0, v42, vcc
	s_mov_b32 s1, 0x3fcef9db
	v_fma_f64 v[27:28], v[28:29], s[0:1], v[40:41]
	s_mov_b32 s0, 0
	s_mov_b32 s1, 0xc0b06800
	v_mul_f64 v[40:41], v[18:19], s[0:1]
	v_mul_f64 v[42:43], v[40:41], s[58:59]
	v_cmp_nlt_f64_e32 vcc, s[28:29], v[40:41]
	v_cmp_ngt_f64_e64 s[0:1], s[30:31], v[40:41]
	v_rndne_f64_e32 v[42:43], v[42:43]
	v_fma_f64 v[44:45], v[42:43], s[60:61], v[40:41]
	v_cvt_i32_f64_e32 v6, v[42:43]
	v_fma_f64 v[44:45], v[42:43], s[62:63], v[44:45]
	v_fma_f64 v[46:47], v[44:45], s[4:5], v[0:1]
	v_fma_f64 v[46:47], v[44:45], v[46:47], s[6:7]
	v_fma_f64 v[46:47], v[44:45], v[46:47], s[8:9]
	v_fma_f64 v[46:47], v[44:45], v[46:47], s[10:11]
	v_fma_f64 v[46:47], v[44:45], v[46:47], s[18:19]
	v_fma_f64 v[46:47], v[44:45], v[46:47], s[20:21]
	v_fma_f64 v[46:47], v[44:45], v[46:47], s[22:23]
	v_fma_f64 v[46:47], v[44:45], v[46:47], s[24:25]
	v_fma_f64 v[46:47], v[44:45], v[46:47], s[26:27]
	v_fma_f64 v[46:47], v[44:45], v[46:47], 1.0
	v_fma_f64 v[44:45], v[44:45], v[46:47], 1.0
	v_ldexp_f64 v[42:43], v[44:45], v6
	v_cndmask_b32_e32 v6, v55, v43, vcc
	s_and_b64 vcc, s[0:1], vcc
	v_cndmask_b32_e32 v40, 0, v42, vcc
	v_cndmask_b32_e64 v41, 0, v6, s[0:1]
	v_add_f64 v[27:28], v[40:41], v[27:28]
	v_max_f64 v[27:28], v[27:28], s[56:57]
	v_frexp_mant_f64_e32 v[40:41], v[27:28]
	v_frexp_exp_i32_f64_e32 v6, v[27:28]
	v_cmp_gt_f64_e32 vcc, s[54:55], v[40:41]
	v_cndmask_b32_e64 v8, 0, 1, vcc
	v_ldexp_f64 v[40:41], v[40:41], v8
	v_subbrev_co_u32_e32 v6, vcc, 0, v6, vcc
	v_cmp_neq_f64_e32 vcc, s[2:3], v[27:28]
	v_add_f64 v[44:45], v[40:41], 1.0
	v_add_f64 v[42:43], v[40:41], -1.0
	v_add_f64 v[46:47], v[44:45], -1.0
	v_add_f64 v[40:41], v[40:41], -v[46:47]
	v_rcp_f64_e32 v[46:47], v[44:45]
	v_fma_f64 v[48:49], -v[44:45], v[46:47], 1.0
	v_fma_f64 v[46:47], v[48:49], v[46:47], v[46:47]
	v_fma_f64 v[48:49], -v[44:45], v[46:47], 1.0
	v_fma_f64 v[46:47], v[48:49], v[46:47], v[46:47]
	v_mul_f64 v[48:49], v[42:43], v[46:47]
	v_mul_f64 v[50:51], v[44:45], v[48:49]
	v_fma_f64 v[44:45], v[48:49], v[44:45], -v[50:51]
	v_fma_f64 v[40:41], v[48:49], v[40:41], v[44:45]
	v_add_f64 v[44:45], v[50:51], v[40:41]
	v_add_f64 v[52:53], v[42:43], -v[44:45]
	v_add_f64 v[50:51], v[44:45], -v[50:51]
	;; [unrolled: 1-line block ×5, first 2 shown]
	v_add_f64 v[40:41], v[40:41], v[42:43]
	v_add_f64 v[40:41], v[52:53], v[40:41]
	v_mul_f64 v[40:41], v[46:47], v[40:41]
	v_add_f64 v[42:43], v[48:49], v[40:41]
	v_add_f64 v[44:45], v[42:43], -v[48:49]
	v_ldexp_f64 v[48:49], v[42:43], 1
	v_add_f64 v[40:41], v[40:41], -v[44:45]
	v_mul_f64 v[44:45], v[42:43], v[42:43]
	v_ldexp_f64 v[40:41], v[40:41], 1
	v_fma_f64 v[46:47], v[44:45], s[42:43], v[4:5]
	v_mul_f64 v[42:43], v[42:43], v[44:45]
	v_fma_f64 v[46:47], v[44:45], v[46:47], s[44:45]
	v_fma_f64 v[46:47], v[44:45], v[46:47], s[46:47]
	;; [unrolled: 1-line block ×5, first 2 shown]
	v_mul_f64 v[42:43], v[42:43], v[46:47]
	v_add_f64 v[44:45], v[48:49], v[42:43]
	v_add_f64 v[46:47], v[44:45], -v[48:49]
	v_add_f64 v[42:43], v[42:43], -v[46:47]
	v_add_f64 v[40:41], v[40:41], v[42:43]
	v_add_f64 v[42:43], v[44:45], v[40:41]
	v_add_f64 v[44:45], v[42:43], -v[44:45]
	v_add_f64 v[44:45], v[40:41], -v[44:45]
	v_cvt_f64_i32_e32 v[40:41], v6
	v_mul_f64 v[46:47], v[40:41], s[38:39]
	v_fma_f64 v[48:49], v[40:41], s[38:39], -v[46:47]
	v_fma_f64 v[40:41], v[40:41], s[40:41], v[48:49]
	v_add_f64 v[48:49], v[46:47], v[40:41]
	v_add_f64 v[46:47], v[48:49], -v[46:47]
	v_add_f64 v[40:41], v[40:41], -v[46:47]
	v_mul_f64 v[46:47], v[42:43], s[36:37]
	v_fma_f64 v[50:51], v[42:43], s[36:37], -v[46:47]
	v_fma_f64 v[44:45], v[44:45], s[36:37], v[50:51]
	v_fma_f64 v[42:43], v[42:43], s[34:35], v[44:45]
	v_add_f64 v[44:45], v[46:47], v[42:43]
	v_add_f64 v[46:47], v[44:45], -v[46:47]
	v_add_f64 v[46:47], v[42:43], -v[46:47]
	v_add_f64 v[42:43], v[48:49], v[44:45]
	v_add_f64 v[50:51], v[42:43], -v[48:49]
	v_add_f64 v[52:53], v[42:43], -v[50:51]
	;; [unrolled: 1-line block ×4, first 2 shown]
	v_add_f64 v[44:45], v[44:45], v[48:49]
	v_add_f64 v[48:49], v[40:41], v[46:47]
	v_add_f64 v[50:51], v[48:49], -v[40:41]
	v_add_f64 v[44:45], v[48:49], v[44:45]
	v_add_f64 v[52:53], v[48:49], -v[50:51]
	v_add_f64 v[46:47], v[46:47], -v[50:51]
	;; [unrolled: 1-line block ×3, first 2 shown]
	v_add_f64 v[40:41], v[46:47], v[40:41]
	v_add_f64 v[46:47], v[42:43], v[44:45]
	v_add_f64 v[42:43], v[46:47], -v[42:43]
	v_add_f64 v[42:43], v[44:45], -v[42:43]
	v_add_f64 v[40:41], v[40:41], v[42:43]
	v_add_f64 v[40:41], v[46:47], v[40:41]
	v_cndmask_b32_e32 v28, v55, v41, vcc
	v_cndmask_b32_e32 v27, 0, v40, vcc
	v_fma_f64 v[42:43], v[27:28], s[76:77], v[20:21]
	v_fma_f64 v[40:41], v[27:28], s[70:71], v[16:17]
	v_add_f64 v[38:39], v[38:39], -v[42:43]
	v_fma_f64 v[40:41], v[38:39], s[78:79], v[40:41]
	v_div_scale_f64 v[42:43], s[0:1], v[40:41], v[40:41], 1.0
	v_rcp_f64_e32 v[44:45], v[42:43]
	v_fma_f64 v[46:47], -v[42:43], v[44:45], 1.0
	v_fma_f64 v[44:45], v[44:45], v[46:47], v[44:45]
	v_fma_f64 v[46:47], -v[42:43], v[44:45], 1.0
	v_fma_f64 v[44:45], v[44:45], v[46:47], v[44:45]
	v_div_scale_f64 v[46:47], vcc, 1.0, v[40:41], 1.0
	v_mul_f64 v[48:49], v[46:47], v[44:45]
	v_fma_f64 v[42:43], -v[42:43], v[48:49], v[46:47]
	s_nop 1
	v_div_fmas_f64 v[42:43], v[42:43], v[44:45], v[48:49]
	v_div_fixup_f64 v[40:41], v[42:43], v[40:41], 1.0
	v_mul_f64 v[38:39], v[38:39], v[40:41]
	v_fma_f64 v[38:39], v[38:39], v[38:39], 1.0
	v_div_scale_f64 v[40:41], s[0:1], v[38:39], v[38:39], 1.0
	v_rcp_f64_e32 v[42:43], v[40:41]
	v_fma_f64 v[44:45], -v[40:41], v[42:43], 1.0
	v_fma_f64 v[42:43], v[42:43], v[44:45], v[42:43]
	v_fma_f64 v[44:45], -v[40:41], v[42:43], 1.0
	v_fma_f64 v[42:43], v[42:43], v[44:45], v[42:43]
	v_div_scale_f64 v[44:45], vcc, 1.0, v[38:39], 1.0
	v_mul_f64 v[46:47], v[44:45], v[42:43]
	v_fma_f64 v[40:41], -v[40:41], v[46:47], v[44:45]
	s_nop 1
	v_div_fmas_f64 v[40:41], v[40:41], v[42:43], v[46:47]
	v_div_fixup_f64 v[38:39], v[40:41], v[38:39], 1.0
	v_mul_f64 v[27:28], v[27:28], v[38:39]
	v_mul_f64 v[38:39], v[27:28], s[64:65]
	v_cmp_nlt_f64_e32 vcc, s[28:29], v[27:28]
	v_cmp_ngt_f64_e64 s[0:1], s[30:31], v[27:28]
	v_rndne_f64_e32 v[38:39], v[38:39]
	v_fma_f64 v[40:41], v[38:39], s[66:67], v[27:28]
	v_cvt_i32_f64_e32 v6, v[38:39]
	v_fma_f64 v[40:41], v[38:39], s[68:69], v[40:41]
	v_mul_f64 v[42:43], v[40:41], s[72:73]
	v_fma_f64 v[40:41], v[40:41], s[74:75], v[42:43]
	v_fma_f64 v[42:43], v[40:41], s[4:5], v[0:1]
	;; [unrolled: 1-line block ×10, first 2 shown]
	v_fma_f64 v[42:43], v[40:41], v[42:43], 1.0
	v_fma_f64 v[40:41], v[40:41], v[42:43], 1.0
	v_ldexp_f64 v[38:39], v[40:41], v6
	v_cndmask_b32_e32 v6, v55, v39, vcc
	s_and_b64 vcc, s[0:1], vcc
	v_cndmask_b32_e32 v27, 0, v38, vcc
	v_cndmask_b32_e64 v28, 0, v6, s[0:1]
	v_mul_f64 v[27:28], v[36:37], v[27:28]
	v_add_co_u32_e32 v29, vcc, s14, v30
	v_addc_co_u32_e32 v30, vcc, v58, v31, vcc
	v_add_co_u32_e32 v24, vcc, s16, v24
	v_addc_co_u32_e32 v25, vcc, v63, v25, vcc
	v_mul_f64 v[34:35], v[34:35], v[27:28]
	global_store_dwordx2 v[32:33], v[34:35], off
	global_load_dwordx2 v[31:32], v[29:30], off
	s_waitcnt vmcnt(0)
	v_mul_f64 v[27:28], v[31:32], v[27:28]
	global_load_dwordx2 v[31:32], v[24:25], off
	v_mad_u64_u32 v[24:25], s[0:1], s33, 7, v[26:27]
	v_mov_b32_e32 v25, v7
	global_store_dwordx2 v[29:30], v[27:28], off
	v_lshlrev_b64 v[25:26], 3, v[24:25]
	v_add_co_u32_e32 v27, vcc, s12, v25
	v_addc_co_u32_e32 v28, vcc, v9, v26, vcc
	global_load_dwordx2 v[29:30], v[27:28], off
	s_waitcnt vmcnt(0)
	v_div_scale_f64 v[33:34], s[0:1], v[29:30], v[29:30], 1.0
	v_rcp_f64_e32 v[35:36], v[33:34]
	v_fma_f64 v[37:38], -v[33:34], v[35:36], 1.0
	v_fma_f64 v[35:36], v[35:36], v[37:38], v[35:36]
	v_fma_f64 v[37:38], -v[33:34], v[35:36], 1.0
	v_fma_f64 v[35:36], v[35:36], v[37:38], v[35:36]
	v_div_scale_f64 v[37:38], vcc, 1.0, v[29:30], 1.0
	v_mul_f64 v[39:40], v[37:38], v[35:36]
	v_fma_f64 v[33:34], -v[33:34], v[39:40], v[37:38]
	s_nop 1
	v_div_fmas_f64 v[33:34], v[33:34], v[35:36], v[39:40]
	v_div_fixup_f64 v[33:34], v[33:34], v[29:30], 1.0
	v_mul_f64 v[33:34], v[12:13], v[33:34]
	v_mul_f64 v[35:36], v[31:32], v[33:34]
	v_fma_f64 v[31:32], v[31:32], v[33:34], 1.0
	v_div_scale_f64 v[33:34], s[0:1], v[31:32], v[31:32], 1.0
	s_mov_b32 s0, 0x14c1bad0
	s_mov_b32 s1, 0xbf8bacf9
	v_rcp_f64_e32 v[37:38], v[33:34]
	v_fma_f64 v[39:40], -v[33:34], v[37:38], 1.0
	v_fma_f64 v[37:38], v[37:38], v[39:40], v[37:38]
	v_fma_f64 v[39:40], -v[33:34], v[37:38], 1.0
	v_fma_f64 v[37:38], v[37:38], v[39:40], v[37:38]
	v_div_scale_f64 v[39:40], vcc, 1.0, v[31:32], 1.0
	v_mul_f64 v[41:42], v[39:40], v[37:38]
	v_fma_f64 v[33:34], -v[33:34], v[41:42], v[39:40]
	s_nop 1
	v_div_fmas_f64 v[33:34], v[33:34], v[37:38], v[41:42]
	v_div_fixup_f64 v[31:32], v[33:34], v[31:32], 1.0
	v_max_f64 v[33:34], v[35:36], s[56:57]
	v_mul_f64 v[31:32], v[35:36], v[31:32]
	v_frexp_mant_f64_e32 v[35:36], v[33:34]
	v_frexp_exp_i32_f64_e32 v6, v[33:34]
	v_cmp_gt_f64_e32 vcc, s[54:55], v[35:36]
	v_cndmask_b32_e64 v8, 0, 1, vcc
	v_ldexp_f64 v[35:36], v[35:36], v8
	v_subbrev_co_u32_e32 v6, vcc, 0, v6, vcc
	v_cmp_neq_f64_e32 vcc, s[2:3], v[33:34]
	v_add_f64 v[39:40], v[35:36], 1.0
	v_add_f64 v[37:38], v[35:36], -1.0
	v_add_f64 v[41:42], v[39:40], -1.0
	v_add_f64 v[35:36], v[35:36], -v[41:42]
	v_rcp_f64_e32 v[41:42], v[39:40]
	v_fma_f64 v[43:44], -v[39:40], v[41:42], 1.0
	v_fma_f64 v[41:42], v[43:44], v[41:42], v[41:42]
	v_fma_f64 v[43:44], -v[39:40], v[41:42], 1.0
	v_fma_f64 v[41:42], v[43:44], v[41:42], v[41:42]
	v_mul_f64 v[43:44], v[37:38], v[41:42]
	v_mul_f64 v[45:46], v[39:40], v[43:44]
	v_fma_f64 v[39:40], v[43:44], v[39:40], -v[45:46]
	v_fma_f64 v[35:36], v[43:44], v[35:36], v[39:40]
	v_add_f64 v[39:40], v[45:46], v[35:36]
	v_add_f64 v[47:48], v[37:38], -v[39:40]
	v_add_f64 v[45:46], v[39:40], -v[45:46]
	v_add_f64 v[37:38], v[37:38], -v[47:48]
	v_add_f64 v[35:36], v[45:46], -v[35:36]
	v_add_f64 v[37:38], v[37:38], -v[39:40]
	v_add_f64 v[35:36], v[35:36], v[37:38]
	v_add_f64 v[35:36], v[47:48], v[35:36]
	v_mul_f64 v[35:36], v[41:42], v[35:36]
	v_add_f64 v[37:38], v[43:44], v[35:36]
	v_add_f64 v[39:40], v[37:38], -v[43:44]
	v_ldexp_f64 v[43:44], v[37:38], 1
	v_add_f64 v[35:36], v[35:36], -v[39:40]
	v_mul_f64 v[39:40], v[37:38], v[37:38]
	v_ldexp_f64 v[35:36], v[35:36], 1
	v_fma_f64 v[41:42], v[39:40], s[42:43], v[4:5]
	v_mul_f64 v[37:38], v[37:38], v[39:40]
	v_fma_f64 v[41:42], v[39:40], v[41:42], s[44:45]
	v_fma_f64 v[41:42], v[39:40], v[41:42], s[46:47]
	;; [unrolled: 1-line block ×5, first 2 shown]
	v_mul_f64 v[37:38], v[37:38], v[41:42]
	v_add_f64 v[39:40], v[43:44], v[37:38]
	v_add_f64 v[41:42], v[39:40], -v[43:44]
	v_add_f64 v[37:38], v[37:38], -v[41:42]
	v_add_f64 v[35:36], v[35:36], v[37:38]
	v_add_f64 v[37:38], v[39:40], v[35:36]
	v_add_f64 v[39:40], v[37:38], -v[39:40]
	v_add_f64 v[35:36], v[35:36], -v[39:40]
	v_cvt_f64_i32_e32 v[39:40], v6
	v_mul_f64 v[41:42], v[39:40], s[38:39]
	v_fma_f64 v[43:44], v[39:40], s[38:39], -v[41:42]
	v_fma_f64 v[39:40], v[39:40], s[40:41], v[43:44]
	v_add_f64 v[43:44], v[41:42], v[39:40]
	v_add_f64 v[41:42], v[43:44], -v[41:42]
	v_add_f64 v[39:40], v[39:40], -v[41:42]
	v_mul_f64 v[41:42], v[37:38], s[36:37]
	v_fma_f64 v[45:46], v[37:38], s[36:37], -v[41:42]
	v_fma_f64 v[35:36], v[35:36], s[36:37], v[45:46]
	v_fma_f64 v[35:36], v[37:38], s[34:35], v[35:36]
	v_add_f64 v[37:38], v[41:42], v[35:36]
	v_add_f64 v[41:42], v[37:38], -v[41:42]
	v_add_f64 v[35:36], v[35:36], -v[41:42]
	v_add_f64 v[41:42], v[43:44], v[37:38]
	v_add_f64 v[45:46], v[41:42], -v[43:44]
	v_add_f64 v[47:48], v[41:42], -v[45:46]
	;; [unrolled: 1-line block ×4, first 2 shown]
	v_add_f64 v[37:38], v[37:38], v[43:44]
	v_add_f64 v[43:44], v[39:40], v[35:36]
	v_add_f64 v[45:46], v[43:44], -v[39:40]
	v_add_f64 v[37:38], v[43:44], v[37:38]
	v_add_f64 v[47:48], v[43:44], -v[45:46]
	v_add_f64 v[35:36], v[35:36], -v[45:46]
	;; [unrolled: 1-line block ×3, first 2 shown]
	v_add_f64 v[35:36], v[35:36], v[39:40]
	v_add_f64 v[39:40], v[41:42], v[37:38]
	v_add_f64 v[41:42], v[39:40], -v[41:42]
	v_add_f64 v[37:38], v[37:38], -v[41:42]
	v_add_f64 v[35:36], v[35:36], v[37:38]
	v_add_f64 v[35:36], v[39:40], v[35:36]
	v_cndmask_b32_e32 v34, v55, v36, vcc
	v_cndmask_b32_e32 v33, 0, v35, vcc
	v_mul_f64 v[35:36], v[2:3], s[0:1]
	s_mov_b32 s0, 0xef9db22d
	s_mov_b32 s1, 0x3fcbc6a7
	v_mul_f64 v[37:38], v[35:36], s[58:59]
	v_cmp_nlt_f64_e32 vcc, s[28:29], v[35:36]
	v_rndne_f64_e32 v[37:38], v[37:38]
	v_fma_f64 v[39:40], v[37:38], s[60:61], v[35:36]
	v_cvt_i32_f64_e32 v6, v[37:38]
	v_fma_f64 v[39:40], v[37:38], s[62:63], v[39:40]
	v_fma_f64 v[41:42], v[39:40], s[4:5], v[0:1]
	;; [unrolled: 1-line block ×10, first 2 shown]
	v_fma_f64 v[41:42], v[39:40], v[41:42], 1.0
	v_fma_f64 v[39:40], v[39:40], v[41:42], 1.0
	v_ldexp_f64 v[37:38], v[39:40], v6
	v_mul_f64 v[37:38], v[37:38], s[0:1]
	v_cmp_ngt_f64_e64 s[0:1], s[30:31], v[35:36]
	v_cndmask_b32_e32 v6, v55, v38, vcc
	s_and_b64 vcc, s[0:1], vcc
	v_cndmask_b32_e64 v36, 0, v6, s[0:1]
	s_mov_b32 s0, 0x80d3b1a9
	s_mov_b32 s1, 0xbf364898
	v_cndmask_b32_e32 v35, 0, v37, vcc
	v_mul_f64 v[37:38], v[2:3], s[0:1]
	s_mov_b32 s0, 0x4189375
	s_mov_b32 s1, 0x3fe90e56
	v_mul_f64 v[39:40], v[37:38], s[58:59]
	v_cmp_nlt_f64_e32 vcc, s[28:29], v[37:38]
	v_rndne_f64_e32 v[39:40], v[39:40]
	v_fma_f64 v[41:42], v[39:40], s[60:61], v[37:38]
	v_cvt_i32_f64_e32 v6, v[39:40]
	v_fma_f64 v[41:42], v[39:40], s[62:63], v[41:42]
	v_fma_f64 v[43:44], v[41:42], s[4:5], v[0:1]
	;; [unrolled: 1-line block ×10, first 2 shown]
	v_fma_f64 v[43:44], v[41:42], v[43:44], 1.0
	v_fma_f64 v[41:42], v[41:42], v[43:44], 1.0
	v_ldexp_f64 v[39:40], v[41:42], v6
	v_mul_f64 v[39:40], v[39:40], s[0:1]
	v_cmp_ngt_f64_e64 s[0:1], s[30:31], v[37:38]
	v_cndmask_b32_e32 v6, v55, v40, vcc
	s_and_b64 vcc, s[0:1], vcc
	v_cndmask_b32_e64 v38, 0, v6, s[0:1]
	s_mov_b32 s0, 0
	v_cndmask_b32_e32 v37, 0, v39, vcc
	s_mov_b32 s1, 0xc0bb3400
	v_add_f64 v[35:36], v[35:36], v[37:38]
	v_mul_f64 v[37:38], v[18:19], s[0:1]
	v_mul_f64 v[39:40], v[37:38], s[58:59]
	v_cmp_nlt_f64_e32 vcc, s[28:29], v[37:38]
	v_cmp_ngt_f64_e64 s[0:1], s[30:31], v[37:38]
	v_rndne_f64_e32 v[39:40], v[39:40]
	v_fma_f64 v[41:42], v[39:40], s[60:61], v[37:38]
	v_cvt_i32_f64_e32 v6, v[39:40]
	v_fma_f64 v[41:42], v[39:40], s[62:63], v[41:42]
	v_fma_f64 v[43:44], v[41:42], s[4:5], v[0:1]
	;; [unrolled: 1-line block ×10, first 2 shown]
	v_fma_f64 v[43:44], v[41:42], v[43:44], 1.0
	v_fma_f64 v[41:42], v[41:42], v[43:44], 1.0
	v_ldexp_f64 v[39:40], v[41:42], v6
	v_cndmask_b32_e32 v6, v55, v40, vcc
	s_and_b64 vcc, s[0:1], vcc
	v_cndmask_b32_e32 v37, 0, v39, vcc
	v_cndmask_b32_e64 v38, 0, v6, s[0:1]
	v_add_f64 v[35:36], v[37:38], v[35:36]
	v_max_f64 v[35:36], v[35:36], s[56:57]
	v_frexp_mant_f64_e32 v[37:38], v[35:36]
	v_frexp_exp_i32_f64_e32 v6, v[35:36]
	v_cmp_gt_f64_e32 vcc, s[54:55], v[37:38]
	v_cndmask_b32_e64 v8, 0, 1, vcc
	v_ldexp_f64 v[37:38], v[37:38], v8
	v_subbrev_co_u32_e32 v6, vcc, 0, v6, vcc
	v_cmp_neq_f64_e32 vcc, s[2:3], v[35:36]
	v_add_f64 v[41:42], v[37:38], 1.0
	v_add_f64 v[39:40], v[37:38], -1.0
	v_add_f64 v[43:44], v[41:42], -1.0
	v_add_f64 v[37:38], v[37:38], -v[43:44]
	v_rcp_f64_e32 v[43:44], v[41:42]
	v_fma_f64 v[45:46], -v[41:42], v[43:44], 1.0
	v_fma_f64 v[43:44], v[45:46], v[43:44], v[43:44]
	v_fma_f64 v[45:46], -v[41:42], v[43:44], 1.0
	v_fma_f64 v[43:44], v[45:46], v[43:44], v[43:44]
	v_mul_f64 v[45:46], v[39:40], v[43:44]
	v_mul_f64 v[47:48], v[41:42], v[45:46]
	v_fma_f64 v[41:42], v[45:46], v[41:42], -v[47:48]
	v_fma_f64 v[37:38], v[45:46], v[37:38], v[41:42]
	v_add_f64 v[41:42], v[47:48], v[37:38]
	v_add_f64 v[49:50], v[39:40], -v[41:42]
	v_add_f64 v[47:48], v[41:42], -v[47:48]
	;; [unrolled: 1-line block ×5, first 2 shown]
	v_add_f64 v[37:38], v[37:38], v[39:40]
	v_add_f64 v[37:38], v[49:50], v[37:38]
	v_mul_f64 v[37:38], v[43:44], v[37:38]
	v_add_f64 v[39:40], v[45:46], v[37:38]
	v_add_f64 v[41:42], v[39:40], -v[45:46]
	v_ldexp_f64 v[45:46], v[39:40], 1
	v_add_f64 v[37:38], v[37:38], -v[41:42]
	v_mul_f64 v[41:42], v[39:40], v[39:40]
	v_ldexp_f64 v[37:38], v[37:38], 1
	v_fma_f64 v[43:44], v[41:42], s[42:43], v[4:5]
	v_mul_f64 v[39:40], v[39:40], v[41:42]
	v_fma_f64 v[43:44], v[41:42], v[43:44], s[44:45]
	v_fma_f64 v[43:44], v[41:42], v[43:44], s[46:47]
	;; [unrolled: 1-line block ×5, first 2 shown]
	v_mul_f64 v[39:40], v[39:40], v[43:44]
	v_add_f64 v[41:42], v[45:46], v[39:40]
	v_add_f64 v[43:44], v[41:42], -v[45:46]
	v_add_f64 v[39:40], v[39:40], -v[43:44]
	v_add_f64 v[37:38], v[37:38], v[39:40]
	v_add_f64 v[39:40], v[41:42], v[37:38]
	v_add_f64 v[41:42], v[39:40], -v[41:42]
	v_add_f64 v[41:42], v[37:38], -v[41:42]
	v_cvt_f64_i32_e32 v[37:38], v6
	v_mul_f64 v[43:44], v[37:38], s[38:39]
	v_fma_f64 v[45:46], v[37:38], s[38:39], -v[43:44]
	v_fma_f64 v[37:38], v[37:38], s[40:41], v[45:46]
	v_add_f64 v[45:46], v[43:44], v[37:38]
	v_add_f64 v[43:44], v[45:46], -v[43:44]
	v_add_f64 v[37:38], v[37:38], -v[43:44]
	v_mul_f64 v[43:44], v[39:40], s[36:37]
	v_fma_f64 v[47:48], v[39:40], s[36:37], -v[43:44]
	v_fma_f64 v[41:42], v[41:42], s[36:37], v[47:48]
	v_fma_f64 v[39:40], v[39:40], s[34:35], v[41:42]
	v_add_f64 v[41:42], v[43:44], v[39:40]
	v_add_f64 v[43:44], v[41:42], -v[43:44]
	v_add_f64 v[43:44], v[39:40], -v[43:44]
	v_add_f64 v[39:40], v[45:46], v[41:42]
	v_add_f64 v[47:48], v[39:40], -v[45:46]
	v_add_f64 v[49:50], v[39:40], -v[47:48]
	;; [unrolled: 1-line block ×4, first 2 shown]
	v_add_f64 v[41:42], v[41:42], v[45:46]
	v_add_f64 v[45:46], v[37:38], v[43:44]
	v_add_f64 v[47:48], v[45:46], -v[37:38]
	v_add_f64 v[41:42], v[45:46], v[41:42]
	v_add_f64 v[49:50], v[45:46], -v[47:48]
	v_add_f64 v[43:44], v[43:44], -v[47:48]
	;; [unrolled: 1-line block ×3, first 2 shown]
	v_add_f64 v[37:38], v[43:44], v[37:38]
	v_add_f64 v[43:44], v[39:40], v[41:42]
	v_add_f64 v[39:40], v[43:44], -v[39:40]
	v_add_f64 v[39:40], v[41:42], -v[39:40]
	v_add_f64 v[37:38], v[37:38], v[39:40]
	v_add_f64 v[37:38], v[43:44], v[37:38]
	v_cndmask_b32_e32 v36, v55, v38, vcc
	v_cndmask_b32_e32 v35, 0, v37, vcc
	v_fma_f64 v[39:40], v[35:36], s[76:77], v[20:21]
	v_fma_f64 v[37:38], v[35:36], s[70:71], v[16:17]
	v_add_f64 v[33:34], v[33:34], -v[39:40]
	v_fma_f64 v[37:38], v[33:34], s[78:79], v[37:38]
	v_div_scale_f64 v[39:40], s[0:1], v[37:38], v[37:38], 1.0
	v_rcp_f64_e32 v[41:42], v[39:40]
	v_fma_f64 v[43:44], -v[39:40], v[41:42], 1.0
	v_fma_f64 v[41:42], v[41:42], v[43:44], v[41:42]
	v_fma_f64 v[43:44], -v[39:40], v[41:42], 1.0
	v_fma_f64 v[41:42], v[41:42], v[43:44], v[41:42]
	v_div_scale_f64 v[43:44], vcc, 1.0, v[37:38], 1.0
	v_mul_f64 v[45:46], v[43:44], v[41:42]
	v_fma_f64 v[39:40], -v[39:40], v[45:46], v[43:44]
	s_nop 1
	v_div_fmas_f64 v[39:40], v[39:40], v[41:42], v[45:46]
	v_div_fixup_f64 v[37:38], v[39:40], v[37:38], 1.0
	v_mul_f64 v[33:34], v[33:34], v[37:38]
	v_fma_f64 v[33:34], v[33:34], v[33:34], 1.0
	v_div_scale_f64 v[37:38], s[0:1], v[33:34], v[33:34], 1.0
	v_rcp_f64_e32 v[39:40], v[37:38]
	v_fma_f64 v[41:42], -v[37:38], v[39:40], 1.0
	v_fma_f64 v[39:40], v[39:40], v[41:42], v[39:40]
	v_fma_f64 v[41:42], -v[37:38], v[39:40], 1.0
	v_fma_f64 v[39:40], v[39:40], v[41:42], v[39:40]
	v_div_scale_f64 v[41:42], vcc, 1.0, v[33:34], 1.0
	v_mul_f64 v[43:44], v[41:42], v[39:40]
	v_fma_f64 v[37:38], -v[37:38], v[43:44], v[41:42]
	s_nop 1
	v_div_fmas_f64 v[37:38], v[37:38], v[39:40], v[43:44]
	v_div_fixup_f64 v[33:34], v[37:38], v[33:34], 1.0
	v_mul_f64 v[33:34], v[35:36], v[33:34]
	v_mul_f64 v[35:36], v[33:34], s[64:65]
	v_cmp_nlt_f64_e32 vcc, s[28:29], v[33:34]
	v_cmp_ngt_f64_e64 s[0:1], s[30:31], v[33:34]
	v_rndne_f64_e32 v[35:36], v[35:36]
	v_fma_f64 v[37:38], v[35:36], s[66:67], v[33:34]
	v_cvt_i32_f64_e32 v6, v[35:36]
	v_fma_f64 v[37:38], v[35:36], s[68:69], v[37:38]
	v_mul_f64 v[39:40], v[37:38], s[72:73]
	v_fma_f64 v[37:38], v[37:38], s[74:75], v[39:40]
	v_fma_f64 v[39:40], v[37:38], s[4:5], v[0:1]
	;; [unrolled: 1-line block ×10, first 2 shown]
	v_fma_f64 v[39:40], v[37:38], v[39:40], 1.0
	v_fma_f64 v[37:38], v[37:38], v[39:40], 1.0
	v_ldexp_f64 v[35:36], v[37:38], v6
	v_cndmask_b32_e32 v6, v55, v36, vcc
	s_and_b64 vcc, s[0:1], vcc
	v_cndmask_b32_e32 v33, 0, v35, vcc
	v_cndmask_b32_e64 v34, 0, v6, s[0:1]
	v_mul_f64 v[31:32], v[31:32], v[33:34]
	v_add_co_u32_e32 v25, vcc, s14, v25
	v_addc_co_u32_e32 v26, vcc, v58, v26, vcc
	s_mul_i32 s0, s33, 0xffffffbb
	v_add_u32_e32 v6, s0, v24
	s_mul_i32 s0, s33, 0x50
	v_mul_f64 v[29:30], v[29:30], v[31:32]
	global_store_dwordx2 v[27:28], v[29:30], off
	global_load_dwordx2 v[27:28], v[25:26], off
	s_waitcnt vmcnt(0)
	v_mul_f64 v[27:28], v[27:28], v[31:32]
	global_store_dwordx2 v[25:26], v[27:28], off
	v_lshlrev_b64 v[24:25], 3, v[6:7]
	v_add_u32_e32 v6, s0, v6
	v_add_co_u32_e32 v24, vcc, s16, v24
	v_addc_co_u32_e32 v25, vcc, v63, v25, vcc
	global_load_dwordx2 v[30:31], v[24:25], off
	v_lshlrev_b64 v[24:25], 3, v[6:7]
	v_lshl_add_u32 v6, s33, 2, v6
	v_add_co_u32_e32 v26, vcc, s12, v24
	v_addc_co_u32_e32 v27, vcc, v9, v25, vcc
	global_load_dwordx2 v[28:29], v[26:27], off
	s_waitcnt vmcnt(0)
	v_div_scale_f64 v[32:33], s[0:1], v[28:29], v[28:29], 1.0
	v_rcp_f64_e32 v[34:35], v[32:33]
	v_fma_f64 v[36:37], -v[32:33], v[34:35], 1.0
	v_fma_f64 v[34:35], v[34:35], v[36:37], v[34:35]
	v_fma_f64 v[36:37], -v[32:33], v[34:35], 1.0
	v_fma_f64 v[34:35], v[34:35], v[36:37], v[34:35]
	v_div_scale_f64 v[36:37], vcc, 1.0, v[28:29], 1.0
	v_mul_f64 v[38:39], v[36:37], v[34:35]
	v_fma_f64 v[32:33], -v[32:33], v[38:39], v[36:37]
	s_nop 1
	v_div_fmas_f64 v[32:33], v[32:33], v[34:35], v[38:39]
	v_div_fixup_f64 v[32:33], v[32:33], v[28:29], 1.0
	v_mul_f64 v[32:33], v[12:13], v[32:33]
	v_mul_f64 v[34:35], v[30:31], v[32:33]
	v_fma_f64 v[30:31], v[30:31], v[32:33], 1.0
	v_div_scale_f64 v[32:33], s[0:1], v[30:31], v[30:31], 1.0
	s_mov_b32 s0, 0x251e9ea8
	s_mov_b32 s1, 0xbfb393ee
	v_rcp_f64_e32 v[36:37], v[32:33]
	v_fma_f64 v[38:39], -v[32:33], v[36:37], 1.0
	v_fma_f64 v[36:37], v[36:37], v[38:39], v[36:37]
	v_fma_f64 v[38:39], -v[32:33], v[36:37], 1.0
	v_fma_f64 v[36:37], v[36:37], v[38:39], v[36:37]
	v_div_scale_f64 v[38:39], vcc, 1.0, v[30:31], 1.0
	v_mul_f64 v[40:41], v[38:39], v[36:37]
	v_fma_f64 v[32:33], -v[32:33], v[40:41], v[38:39]
	s_nop 1
	v_div_fmas_f64 v[32:33], v[32:33], v[36:37], v[40:41]
	v_div_fixup_f64 v[30:31], v[32:33], v[30:31], 1.0
	v_max_f64 v[32:33], v[34:35], s[56:57]
	v_mul_f64 v[30:31], v[34:35], v[30:31]
	v_frexp_mant_f64_e32 v[34:35], v[32:33]
	v_frexp_exp_i32_f64_e32 v8, v[32:33]
	v_cmp_gt_f64_e32 vcc, s[54:55], v[34:35]
	v_cndmask_b32_e64 v36, 0, 1, vcc
	v_ldexp_f64 v[34:35], v[34:35], v36
	v_subbrev_co_u32_e32 v8, vcc, 0, v8, vcc
	v_cmp_neq_f64_e32 vcc, s[2:3], v[32:33]
	v_add_f64 v[38:39], v[34:35], 1.0
	v_add_f64 v[36:37], v[34:35], -1.0
	v_add_f64 v[40:41], v[38:39], -1.0
	v_add_f64 v[34:35], v[34:35], -v[40:41]
	v_rcp_f64_e32 v[40:41], v[38:39]
	v_fma_f64 v[42:43], -v[38:39], v[40:41], 1.0
	v_fma_f64 v[40:41], v[42:43], v[40:41], v[40:41]
	v_fma_f64 v[42:43], -v[38:39], v[40:41], 1.0
	v_fma_f64 v[40:41], v[42:43], v[40:41], v[40:41]
	v_mul_f64 v[42:43], v[36:37], v[40:41]
	v_mul_f64 v[44:45], v[38:39], v[42:43]
	v_fma_f64 v[38:39], v[42:43], v[38:39], -v[44:45]
	v_fma_f64 v[34:35], v[42:43], v[34:35], v[38:39]
	v_add_f64 v[38:39], v[44:45], v[34:35]
	v_add_f64 v[46:47], v[36:37], -v[38:39]
	v_add_f64 v[44:45], v[38:39], -v[44:45]
	;; [unrolled: 1-line block ×5, first 2 shown]
	v_add_f64 v[34:35], v[34:35], v[36:37]
	v_add_f64 v[34:35], v[46:47], v[34:35]
	v_mul_f64 v[34:35], v[40:41], v[34:35]
	v_add_f64 v[36:37], v[42:43], v[34:35]
	v_add_f64 v[38:39], v[36:37], -v[42:43]
	v_ldexp_f64 v[42:43], v[36:37], 1
	v_add_f64 v[34:35], v[34:35], -v[38:39]
	v_mul_f64 v[38:39], v[36:37], v[36:37]
	v_ldexp_f64 v[34:35], v[34:35], 1
	v_fma_f64 v[40:41], v[38:39], s[42:43], v[4:5]
	v_mul_f64 v[36:37], v[36:37], v[38:39]
	v_fma_f64 v[40:41], v[38:39], v[40:41], s[44:45]
	v_fma_f64 v[40:41], v[38:39], v[40:41], s[46:47]
	;; [unrolled: 1-line block ×5, first 2 shown]
	v_mul_f64 v[36:37], v[36:37], v[40:41]
	v_add_f64 v[38:39], v[42:43], v[36:37]
	v_add_f64 v[40:41], v[38:39], -v[42:43]
	v_add_f64 v[36:37], v[36:37], -v[40:41]
	v_add_f64 v[34:35], v[34:35], v[36:37]
	v_add_f64 v[36:37], v[38:39], v[34:35]
	v_add_f64 v[38:39], v[36:37], -v[38:39]
	v_add_f64 v[34:35], v[34:35], -v[38:39]
	v_cvt_f64_i32_e32 v[38:39], v8
	v_mul_f64 v[40:41], v[38:39], s[38:39]
	v_fma_f64 v[42:43], v[38:39], s[38:39], -v[40:41]
	v_fma_f64 v[38:39], v[38:39], s[40:41], v[42:43]
	v_add_f64 v[42:43], v[40:41], v[38:39]
	v_add_f64 v[40:41], v[42:43], -v[40:41]
	v_add_f64 v[38:39], v[38:39], -v[40:41]
	v_mul_f64 v[40:41], v[36:37], s[36:37]
	v_fma_f64 v[44:45], v[36:37], s[36:37], -v[40:41]
	v_fma_f64 v[34:35], v[34:35], s[36:37], v[44:45]
	v_fma_f64 v[34:35], v[36:37], s[34:35], v[34:35]
	v_add_f64 v[36:37], v[40:41], v[34:35]
	v_add_f64 v[40:41], v[36:37], -v[40:41]
	v_add_f64 v[34:35], v[34:35], -v[40:41]
	v_add_f64 v[40:41], v[42:43], v[36:37]
	v_add_f64 v[44:45], v[40:41], -v[42:43]
	v_add_f64 v[46:47], v[40:41], -v[44:45]
	;; [unrolled: 1-line block ×4, first 2 shown]
	v_add_f64 v[36:37], v[36:37], v[42:43]
	v_add_f64 v[42:43], v[38:39], v[34:35]
	v_add_f64 v[44:45], v[42:43], -v[38:39]
	v_add_f64 v[36:37], v[42:43], v[36:37]
	v_add_f64 v[46:47], v[42:43], -v[44:45]
	v_add_f64 v[34:35], v[34:35], -v[44:45]
	;; [unrolled: 1-line block ×3, first 2 shown]
	v_add_f64 v[34:35], v[34:35], v[38:39]
	v_add_f64 v[38:39], v[40:41], v[36:37]
	v_add_f64 v[40:41], v[38:39], -v[40:41]
	v_add_f64 v[36:37], v[36:37], -v[40:41]
	v_add_f64 v[34:35], v[34:35], v[36:37]
	v_add_f64 v[34:35], v[38:39], v[34:35]
	v_cndmask_b32_e32 v33, v55, v35, vcc
	v_cndmask_b32_e32 v32, 0, v34, vcc
	v_mul_f64 v[34:35], v[2:3], s[0:1]
	s_mov_b32 s0, 0x240b7803
	s_mov_b32 s1, 0x3fd87e28
	v_mul_f64 v[36:37], v[34:35], s[58:59]
	v_cmp_nlt_f64_e32 vcc, s[28:29], v[34:35]
	v_rndne_f64_e32 v[36:37], v[36:37]
	v_fma_f64 v[38:39], v[36:37], s[60:61], v[34:35]
	v_cvt_i32_f64_e32 v8, v[36:37]
	v_fma_f64 v[38:39], v[36:37], s[62:63], v[38:39]
	v_fma_f64 v[40:41], v[38:39], s[4:5], v[0:1]
	;; [unrolled: 1-line block ×10, first 2 shown]
	v_fma_f64 v[40:41], v[38:39], v[40:41], 1.0
	v_fma_f64 v[38:39], v[38:39], v[40:41], 1.0
	v_ldexp_f64 v[36:37], v[38:39], v8
	v_mul_f64 v[36:37], v[36:37], s[0:1]
	v_cmp_ngt_f64_e64 s[0:1], s[30:31], v[34:35]
	v_cndmask_b32_e32 v8, v55, v37, vcc
	s_and_b64 vcc, s[0:1], vcc
	v_cndmask_b32_e64 v35, 0, v8, s[0:1]
	s_mov_b32 s0, 0x80dcc421
	s_mov_b32 s1, 0xbf3f89bb
	v_cndmask_b32_e32 v34, 0, v36, vcc
	v_mul_f64 v[36:37], v[2:3], s[0:1]
	s_mov_b32 s0, 0xedfa43fe
	s_mov_b32 s1, 0x3fe3c0eb
	v_mul_f64 v[38:39], v[36:37], s[58:59]
	v_cmp_nlt_f64_e32 vcc, s[28:29], v[36:37]
	v_rndne_f64_e32 v[38:39], v[38:39]
	v_fma_f64 v[40:41], v[38:39], s[60:61], v[36:37]
	v_cvt_i32_f64_e32 v8, v[38:39]
	v_fma_f64 v[40:41], v[38:39], s[62:63], v[40:41]
	v_fma_f64 v[42:43], v[40:41], s[4:5], v[0:1]
	;; [unrolled: 1-line block ×10, first 2 shown]
	v_fma_f64 v[42:43], v[40:41], v[42:43], 1.0
	v_fma_f64 v[40:41], v[40:41], v[42:43], 1.0
	v_ldexp_f64 v[38:39], v[40:41], v8
	v_mul_f64 v[38:39], v[38:39], s[0:1]
	v_cmp_ngt_f64_e64 s[0:1], s[30:31], v[36:37]
	v_cndmask_b32_e32 v8, v55, v39, vcc
	s_and_b64 vcc, s[0:1], vcc
	v_cndmask_b32_e64 v37, 0, v8, s[0:1]
	s_mov_b32 s0, 0
	v_cndmask_b32_e32 v36, 0, v38, vcc
	s_mov_b32 s1, 0xc0b3e500
	v_add_f64 v[34:35], v[34:35], v[36:37]
	v_mul_f64 v[36:37], v[18:19], s[0:1]
	v_mul_f64 v[38:39], v[36:37], s[58:59]
	v_cmp_nlt_f64_e32 vcc, s[28:29], v[36:37]
	v_cmp_ngt_f64_e64 s[0:1], s[30:31], v[36:37]
	v_rndne_f64_e32 v[38:39], v[38:39]
	v_fma_f64 v[40:41], v[38:39], s[60:61], v[36:37]
	v_cvt_i32_f64_e32 v8, v[38:39]
	v_fma_f64 v[40:41], v[38:39], s[62:63], v[40:41]
	v_fma_f64 v[42:43], v[40:41], s[4:5], v[0:1]
	v_fma_f64 v[42:43], v[40:41], v[42:43], s[6:7]
	v_fma_f64 v[42:43], v[40:41], v[42:43], s[8:9]
	v_fma_f64 v[42:43], v[40:41], v[42:43], s[10:11]
	v_fma_f64 v[42:43], v[40:41], v[42:43], s[18:19]
	v_fma_f64 v[42:43], v[40:41], v[42:43], s[20:21]
	v_fma_f64 v[42:43], v[40:41], v[42:43], s[22:23]
	v_fma_f64 v[42:43], v[40:41], v[42:43], s[24:25]
	v_fma_f64 v[42:43], v[40:41], v[42:43], s[26:27]
	v_fma_f64 v[42:43], v[40:41], v[42:43], 1.0
	v_fma_f64 v[40:41], v[40:41], v[42:43], 1.0
	v_ldexp_f64 v[38:39], v[40:41], v8
	v_cndmask_b32_e32 v8, v55, v39, vcc
	s_and_b64 vcc, s[0:1], vcc
	v_cndmask_b32_e32 v36, 0, v38, vcc
	v_cndmask_b32_e64 v37, 0, v8, s[0:1]
	v_add_f64 v[34:35], v[36:37], v[34:35]
	v_max_f64 v[34:35], v[34:35], s[56:57]
	v_frexp_mant_f64_e32 v[36:37], v[34:35]
	v_frexp_exp_i32_f64_e32 v8, v[34:35]
	v_cmp_gt_f64_e32 vcc, s[54:55], v[36:37]
	v_cndmask_b32_e64 v38, 0, 1, vcc
	v_ldexp_f64 v[36:37], v[36:37], v38
	v_subbrev_co_u32_e32 v8, vcc, 0, v8, vcc
	v_cmp_neq_f64_e32 vcc, s[2:3], v[34:35]
	v_add_f64 v[40:41], v[36:37], 1.0
	v_add_f64 v[38:39], v[36:37], -1.0
	v_add_f64 v[42:43], v[40:41], -1.0
	v_add_f64 v[36:37], v[36:37], -v[42:43]
	v_rcp_f64_e32 v[42:43], v[40:41]
	v_fma_f64 v[44:45], -v[40:41], v[42:43], 1.0
	v_fma_f64 v[42:43], v[44:45], v[42:43], v[42:43]
	v_fma_f64 v[44:45], -v[40:41], v[42:43], 1.0
	v_fma_f64 v[42:43], v[44:45], v[42:43], v[42:43]
	v_mul_f64 v[44:45], v[38:39], v[42:43]
	v_mul_f64 v[46:47], v[40:41], v[44:45]
	v_fma_f64 v[40:41], v[44:45], v[40:41], -v[46:47]
	v_fma_f64 v[36:37], v[44:45], v[36:37], v[40:41]
	v_add_f64 v[40:41], v[46:47], v[36:37]
	v_add_f64 v[48:49], v[38:39], -v[40:41]
	v_add_f64 v[46:47], v[40:41], -v[46:47]
	;; [unrolled: 1-line block ×5, first 2 shown]
	v_add_f64 v[36:37], v[36:37], v[38:39]
	v_add_f64 v[36:37], v[48:49], v[36:37]
	v_mul_f64 v[36:37], v[42:43], v[36:37]
	v_add_f64 v[38:39], v[44:45], v[36:37]
	v_add_f64 v[40:41], v[38:39], -v[44:45]
	v_ldexp_f64 v[44:45], v[38:39], 1
	v_add_f64 v[36:37], v[36:37], -v[40:41]
	v_mul_f64 v[40:41], v[38:39], v[38:39]
	v_ldexp_f64 v[36:37], v[36:37], 1
	v_fma_f64 v[42:43], v[40:41], s[42:43], v[4:5]
	v_mul_f64 v[38:39], v[38:39], v[40:41]
	v_fma_f64 v[42:43], v[40:41], v[42:43], s[44:45]
	v_fma_f64 v[42:43], v[40:41], v[42:43], s[46:47]
	;; [unrolled: 1-line block ×5, first 2 shown]
	v_mul_f64 v[38:39], v[38:39], v[42:43]
	v_add_f64 v[40:41], v[44:45], v[38:39]
	v_add_f64 v[42:43], v[40:41], -v[44:45]
	v_add_f64 v[38:39], v[38:39], -v[42:43]
	v_add_f64 v[36:37], v[36:37], v[38:39]
	v_add_f64 v[38:39], v[40:41], v[36:37]
	v_add_f64 v[40:41], v[38:39], -v[40:41]
	v_add_f64 v[40:41], v[36:37], -v[40:41]
	v_cvt_f64_i32_e32 v[36:37], v8
	v_mul_f64 v[42:43], v[36:37], s[38:39]
	v_fma_f64 v[44:45], v[36:37], s[38:39], -v[42:43]
	v_fma_f64 v[36:37], v[36:37], s[40:41], v[44:45]
	v_add_f64 v[44:45], v[42:43], v[36:37]
	v_add_f64 v[42:43], v[44:45], -v[42:43]
	v_add_f64 v[36:37], v[36:37], -v[42:43]
	v_mul_f64 v[42:43], v[38:39], s[36:37]
	v_fma_f64 v[46:47], v[38:39], s[36:37], -v[42:43]
	v_fma_f64 v[40:41], v[40:41], s[36:37], v[46:47]
	v_fma_f64 v[38:39], v[38:39], s[34:35], v[40:41]
	v_add_f64 v[40:41], v[42:43], v[38:39]
	v_add_f64 v[42:43], v[40:41], -v[42:43]
	v_add_f64 v[42:43], v[38:39], -v[42:43]
	v_add_f64 v[38:39], v[44:45], v[40:41]
	v_add_f64 v[46:47], v[38:39], -v[44:45]
	v_add_f64 v[48:49], v[38:39], -v[46:47]
	;; [unrolled: 1-line block ×4, first 2 shown]
	v_add_f64 v[40:41], v[40:41], v[44:45]
	v_add_f64 v[44:45], v[36:37], v[42:43]
	v_add_f64 v[46:47], v[44:45], -v[36:37]
	v_add_f64 v[40:41], v[44:45], v[40:41]
	v_add_f64 v[48:49], v[44:45], -v[46:47]
	v_add_f64 v[42:43], v[42:43], -v[46:47]
	;; [unrolled: 1-line block ×3, first 2 shown]
	v_add_f64 v[36:37], v[42:43], v[36:37]
	v_add_f64 v[42:43], v[38:39], v[40:41]
	v_add_f64 v[38:39], v[42:43], -v[38:39]
	v_add_f64 v[38:39], v[40:41], -v[38:39]
	v_add_f64 v[36:37], v[36:37], v[38:39]
	v_add_f64 v[36:37], v[42:43], v[36:37]
	v_cndmask_b32_e32 v35, v55, v37, vcc
	v_cndmask_b32_e32 v34, 0, v36, vcc
	v_fma_f64 v[38:39], v[34:35], s[76:77], v[20:21]
	v_fma_f64 v[36:37], v[34:35], s[70:71], v[16:17]
	v_add_f64 v[32:33], v[32:33], -v[38:39]
	v_fma_f64 v[36:37], v[32:33], s[78:79], v[36:37]
	v_div_scale_f64 v[38:39], s[0:1], v[36:37], v[36:37], 1.0
	v_rcp_f64_e32 v[40:41], v[38:39]
	v_fma_f64 v[42:43], -v[38:39], v[40:41], 1.0
	v_fma_f64 v[40:41], v[40:41], v[42:43], v[40:41]
	v_fma_f64 v[42:43], -v[38:39], v[40:41], 1.0
	v_fma_f64 v[40:41], v[40:41], v[42:43], v[40:41]
	v_div_scale_f64 v[42:43], vcc, 1.0, v[36:37], 1.0
	v_mul_f64 v[44:45], v[42:43], v[40:41]
	v_fma_f64 v[38:39], -v[38:39], v[44:45], v[42:43]
	s_nop 1
	v_div_fmas_f64 v[38:39], v[38:39], v[40:41], v[44:45]
	v_div_fixup_f64 v[36:37], v[38:39], v[36:37], 1.0
	v_mul_f64 v[32:33], v[32:33], v[36:37]
	v_fma_f64 v[32:33], v[32:33], v[32:33], 1.0
	v_div_scale_f64 v[36:37], s[0:1], v[32:33], v[32:33], 1.0
	v_rcp_f64_e32 v[38:39], v[36:37]
	v_fma_f64 v[40:41], -v[36:37], v[38:39], 1.0
	v_fma_f64 v[38:39], v[38:39], v[40:41], v[38:39]
	v_fma_f64 v[40:41], -v[36:37], v[38:39], 1.0
	v_fma_f64 v[38:39], v[38:39], v[40:41], v[38:39]
	v_div_scale_f64 v[40:41], vcc, 1.0, v[32:33], 1.0
	v_mul_f64 v[42:43], v[40:41], v[38:39]
	v_fma_f64 v[36:37], -v[36:37], v[42:43], v[40:41]
	s_nop 1
	v_div_fmas_f64 v[36:37], v[36:37], v[38:39], v[42:43]
	v_div_fixup_f64 v[32:33], v[36:37], v[32:33], 1.0
	v_mul_f64 v[32:33], v[34:35], v[32:33]
	v_mul_f64 v[34:35], v[32:33], s[64:65]
	v_cmp_nlt_f64_e32 vcc, s[28:29], v[32:33]
	v_cmp_ngt_f64_e64 s[0:1], s[30:31], v[32:33]
	v_rndne_f64_e32 v[34:35], v[34:35]
	v_fma_f64 v[36:37], v[34:35], s[66:67], v[32:33]
	v_cvt_i32_f64_e32 v8, v[34:35]
	v_fma_f64 v[36:37], v[34:35], s[68:69], v[36:37]
	v_mul_f64 v[38:39], v[36:37], s[72:73]
	v_fma_f64 v[36:37], v[36:37], s[74:75], v[38:39]
	v_fma_f64 v[38:39], v[36:37], s[4:5], v[0:1]
	;; [unrolled: 1-line block ×10, first 2 shown]
	v_fma_f64 v[38:39], v[36:37], v[38:39], 1.0
	v_fma_f64 v[36:37], v[36:37], v[38:39], 1.0
	v_ldexp_f64 v[34:35], v[36:37], v8
	v_cndmask_b32_e32 v8, v55, v35, vcc
	s_and_b64 vcc, s[0:1], vcc
	v_cndmask_b32_e32 v32, 0, v34, vcc
	v_cndmask_b32_e64 v33, 0, v8, s[0:1]
	v_mul_f64 v[30:31], v[30:31], v[32:33]
	v_add_co_u32_e32 v24, vcc, s14, v24
	v_addc_co_u32_e32 v25, vcc, v58, v25, vcc
	v_add_co_u32_e32 v22, vcc, s16, v22
	v_addc_co_u32_e32 v23, vcc, v63, v23, vcc
	v_mul_f64 v[28:29], v[28:29], v[30:31]
	global_store_dwordx2 v[26:27], v[28:29], off
	global_load_dwordx2 v[26:27], v[24:25], off
	s_nop 0
	global_load_dwordx2 v[28:29], v[22:23], off
	v_lshlrev_b64 v[22:23], 3, v[6:7]
	s_waitcnt vmcnt(1)
	v_mul_f64 v[26:27], v[26:27], v[30:31]
	global_store_dwordx2 v[24:25], v[26:27], off
	v_add_co_u32_e32 v24, vcc, s12, v22
	v_addc_co_u32_e32 v25, vcc, v9, v23, vcc
	global_load_dwordx2 v[26:27], v[24:25], off
	s_waitcnt vmcnt(0)
	v_div_scale_f64 v[30:31], s[0:1], v[26:27], v[26:27], 1.0
	v_rcp_f64_e32 v[32:33], v[30:31]
	v_fma_f64 v[34:35], -v[30:31], v[32:33], 1.0
	v_fma_f64 v[32:33], v[32:33], v[34:35], v[32:33]
	v_fma_f64 v[34:35], -v[30:31], v[32:33], 1.0
	v_fma_f64 v[32:33], v[32:33], v[34:35], v[32:33]
	v_div_scale_f64 v[34:35], vcc, 1.0, v[26:27], 1.0
	v_mul_f64 v[36:37], v[34:35], v[32:33]
	v_fma_f64 v[30:31], -v[30:31], v[36:37], v[34:35]
	s_nop 1
	v_div_fmas_f64 v[30:31], v[30:31], v[32:33], v[36:37]
	v_div_fixup_f64 v[30:31], v[30:31], v[26:27], 1.0
	v_mul_f64 v[30:31], v[12:13], v[30:31]
	v_mul_f64 v[32:33], v[28:29], v[30:31]
	v_fma_f64 v[28:29], v[28:29], v[30:31], 1.0
	v_div_scale_f64 v[30:31], s[0:1], v[28:29], v[28:29], 1.0
	s_mov_b32 s0, 0x406c80d9
	s_mov_b32 s1, 0xbf7b2036
	v_rcp_f64_e32 v[34:35], v[30:31]
	v_fma_f64 v[36:37], -v[30:31], v[34:35], 1.0
	v_fma_f64 v[34:35], v[34:35], v[36:37], v[34:35]
	v_fma_f64 v[36:37], -v[30:31], v[34:35], 1.0
	v_fma_f64 v[34:35], v[34:35], v[36:37], v[34:35]
	v_div_scale_f64 v[36:37], vcc, 1.0, v[28:29], 1.0
	v_mul_f64 v[38:39], v[36:37], v[34:35]
	v_fma_f64 v[30:31], -v[30:31], v[38:39], v[36:37]
	s_nop 1
	v_div_fmas_f64 v[30:31], v[30:31], v[34:35], v[38:39]
	v_div_fixup_f64 v[28:29], v[30:31], v[28:29], 1.0
	v_max_f64 v[30:31], v[32:33], s[56:57]
	v_mul_f64 v[28:29], v[32:33], v[28:29]
	v_frexp_mant_f64_e32 v[32:33], v[30:31]
	v_frexp_exp_i32_f64_e32 v8, v[30:31]
	v_cmp_gt_f64_e32 vcc, s[54:55], v[32:33]
	v_cndmask_b32_e64 v34, 0, 1, vcc
	v_ldexp_f64 v[32:33], v[32:33], v34
	v_subbrev_co_u32_e32 v8, vcc, 0, v8, vcc
	v_cmp_neq_f64_e32 vcc, s[2:3], v[30:31]
	v_add_f64 v[36:37], v[32:33], 1.0
	v_add_f64 v[34:35], v[32:33], -1.0
	v_add_f64 v[38:39], v[36:37], -1.0
	v_add_f64 v[32:33], v[32:33], -v[38:39]
	v_rcp_f64_e32 v[38:39], v[36:37]
	v_fma_f64 v[40:41], -v[36:37], v[38:39], 1.0
	v_fma_f64 v[38:39], v[40:41], v[38:39], v[38:39]
	v_fma_f64 v[40:41], -v[36:37], v[38:39], 1.0
	v_fma_f64 v[38:39], v[40:41], v[38:39], v[38:39]
	v_mul_f64 v[40:41], v[34:35], v[38:39]
	v_mul_f64 v[42:43], v[36:37], v[40:41]
	v_fma_f64 v[36:37], v[40:41], v[36:37], -v[42:43]
	v_fma_f64 v[32:33], v[40:41], v[32:33], v[36:37]
	v_add_f64 v[36:37], v[42:43], v[32:33]
	v_add_f64 v[44:45], v[34:35], -v[36:37]
	v_add_f64 v[42:43], v[36:37], -v[42:43]
	;; [unrolled: 1-line block ×5, first 2 shown]
	v_add_f64 v[32:33], v[32:33], v[34:35]
	v_add_f64 v[32:33], v[44:45], v[32:33]
	v_mul_f64 v[32:33], v[38:39], v[32:33]
	v_add_f64 v[34:35], v[40:41], v[32:33]
	v_add_f64 v[36:37], v[34:35], -v[40:41]
	v_ldexp_f64 v[40:41], v[34:35], 1
	v_add_f64 v[32:33], v[32:33], -v[36:37]
	v_mul_f64 v[36:37], v[34:35], v[34:35]
	v_ldexp_f64 v[32:33], v[32:33], 1
	v_fma_f64 v[38:39], v[36:37], s[42:43], v[4:5]
	v_mul_f64 v[34:35], v[34:35], v[36:37]
	v_fma_f64 v[38:39], v[36:37], v[38:39], s[44:45]
	v_fma_f64 v[38:39], v[36:37], v[38:39], s[46:47]
	;; [unrolled: 1-line block ×5, first 2 shown]
	v_mul_f64 v[34:35], v[34:35], v[38:39]
	v_add_f64 v[36:37], v[40:41], v[34:35]
	v_add_f64 v[38:39], v[36:37], -v[40:41]
	v_add_f64 v[34:35], v[34:35], -v[38:39]
	v_add_f64 v[32:33], v[32:33], v[34:35]
	v_add_f64 v[34:35], v[36:37], v[32:33]
	v_add_f64 v[36:37], v[34:35], -v[36:37]
	v_add_f64 v[32:33], v[32:33], -v[36:37]
	v_cvt_f64_i32_e32 v[36:37], v8
	v_mul_f64 v[38:39], v[36:37], s[38:39]
	v_fma_f64 v[40:41], v[36:37], s[38:39], -v[38:39]
	v_fma_f64 v[36:37], v[36:37], s[40:41], v[40:41]
	v_add_f64 v[40:41], v[38:39], v[36:37]
	v_add_f64 v[38:39], v[40:41], -v[38:39]
	v_add_f64 v[36:37], v[36:37], -v[38:39]
	v_mul_f64 v[38:39], v[34:35], s[36:37]
	v_fma_f64 v[42:43], v[34:35], s[36:37], -v[38:39]
	v_fma_f64 v[32:33], v[32:33], s[36:37], v[42:43]
	v_fma_f64 v[32:33], v[34:35], s[34:35], v[32:33]
	v_add_f64 v[34:35], v[38:39], v[32:33]
	v_add_f64 v[38:39], v[34:35], -v[38:39]
	v_add_f64 v[32:33], v[32:33], -v[38:39]
	v_add_f64 v[38:39], v[40:41], v[34:35]
	v_add_f64 v[42:43], v[38:39], -v[40:41]
	v_add_f64 v[44:45], v[38:39], -v[42:43]
	;; [unrolled: 1-line block ×4, first 2 shown]
	v_add_f64 v[34:35], v[34:35], v[40:41]
	v_add_f64 v[40:41], v[36:37], v[32:33]
	v_add_f64 v[42:43], v[40:41], -v[36:37]
	v_add_f64 v[34:35], v[40:41], v[34:35]
	v_add_f64 v[44:45], v[40:41], -v[42:43]
	v_add_f64 v[32:33], v[32:33], -v[42:43]
	;; [unrolled: 1-line block ×3, first 2 shown]
	v_add_f64 v[32:33], v[32:33], v[36:37]
	v_add_f64 v[36:37], v[38:39], v[34:35]
	v_add_f64 v[38:39], v[36:37], -v[38:39]
	v_add_f64 v[34:35], v[34:35], -v[38:39]
	v_add_f64 v[32:33], v[32:33], v[34:35]
	v_add_f64 v[32:33], v[36:37], v[32:33]
	v_cndmask_b32_e32 v31, v55, v33, vcc
	v_cndmask_b32_e32 v30, 0, v32, vcc
	v_mul_f64 v[32:33], v[2:3], s[0:1]
	s_mov_b32 s1, 0x3fddeb85
	s_mov_b32 s0, s78
	v_mul_f64 v[34:35], v[32:33], s[58:59]
	v_cmp_nlt_f64_e32 vcc, s[28:29], v[32:33]
	v_rndne_f64_e32 v[34:35], v[34:35]
	v_fma_f64 v[36:37], v[34:35], s[60:61], v[32:33]
	v_cvt_i32_f64_e32 v8, v[34:35]
	v_fma_f64 v[36:37], v[34:35], s[62:63], v[36:37]
	v_fma_f64 v[38:39], v[36:37], s[4:5], v[0:1]
	v_fma_f64 v[38:39], v[36:37], v[38:39], s[6:7]
	v_fma_f64 v[38:39], v[36:37], v[38:39], s[8:9]
	v_fma_f64 v[38:39], v[36:37], v[38:39], s[10:11]
	v_fma_f64 v[38:39], v[36:37], v[38:39], s[18:19]
	v_fma_f64 v[38:39], v[36:37], v[38:39], s[20:21]
	v_fma_f64 v[38:39], v[36:37], v[38:39], s[22:23]
	v_fma_f64 v[38:39], v[36:37], v[38:39], s[24:25]
	v_fma_f64 v[38:39], v[36:37], v[38:39], s[26:27]
	v_fma_f64 v[38:39], v[36:37], v[38:39], 1.0
	v_fma_f64 v[36:37], v[36:37], v[38:39], 1.0
	v_ldexp_f64 v[34:35], v[36:37], v8
	v_mul_f64 v[34:35], v[34:35], s[0:1]
	v_cmp_ngt_f64_e64 s[0:1], s[30:31], v[32:33]
	v_cndmask_b32_e32 v8, v55, v35, vcc
	s_and_b64 vcc, s[0:1], vcc
	v_cndmask_b32_e64 v33, 0, v8, s[0:1]
	s_mov_b32 s0, 0xb6813baf
	s_mov_b32 s1, 0xbf4f9182
	v_cndmask_b32_e32 v32, 0, v34, vcc
	v_mul_f64 v[34:35], v[2:3], s[0:1]
	s_mov_b32 s0, 0x70a3d70a
	s_mov_b32 s1, 0x3fe10a3d
	v_mul_f64 v[36:37], v[34:35], s[58:59]
	v_cmp_nlt_f64_e32 vcc, s[28:29], v[34:35]
	v_rndne_f64_e32 v[36:37], v[36:37]
	v_fma_f64 v[38:39], v[36:37], s[60:61], v[34:35]
	v_cvt_i32_f64_e32 v8, v[36:37]
	v_fma_f64 v[38:39], v[36:37], s[62:63], v[38:39]
	v_fma_f64 v[40:41], v[38:39], s[4:5], v[0:1]
	;; [unrolled: 1-line block ×10, first 2 shown]
	v_fma_f64 v[40:41], v[38:39], v[40:41], 1.0
	v_fma_f64 v[38:39], v[38:39], v[40:41], 1.0
	v_ldexp_f64 v[36:37], v[38:39], v8
	v_mul_f64 v[36:37], v[36:37], s[0:1]
	v_cmp_ngt_f64_e64 s[0:1], s[30:31], v[34:35]
	v_cndmask_b32_e32 v8, v55, v37, vcc
	s_and_b64 vcc, s[0:1], vcc
	v_cndmask_b32_e64 v35, 0, v8, s[0:1]
	s_mov_b32 s0, 0
	v_cndmask_b32_e32 v34, 0, v36, vcc
	s_mov_b32 s1, 0xc0b36a00
	v_add_f64 v[32:33], v[32:33], v[34:35]
	v_mul_f64 v[34:35], v[18:19], s[0:1]
	v_mul_f64 v[36:37], v[34:35], s[58:59]
	v_cmp_nlt_f64_e32 vcc, s[28:29], v[34:35]
	v_cmp_ngt_f64_e64 s[0:1], s[30:31], v[34:35]
	v_rndne_f64_e32 v[36:37], v[36:37]
	v_fma_f64 v[38:39], v[36:37], s[60:61], v[34:35]
	v_cvt_i32_f64_e32 v8, v[36:37]
	v_fma_f64 v[38:39], v[36:37], s[62:63], v[38:39]
	v_fma_f64 v[40:41], v[38:39], s[4:5], v[0:1]
	;; [unrolled: 1-line block ×10, first 2 shown]
	v_fma_f64 v[40:41], v[38:39], v[40:41], 1.0
	v_fma_f64 v[38:39], v[38:39], v[40:41], 1.0
	v_ldexp_f64 v[36:37], v[38:39], v8
	v_cndmask_b32_e32 v8, v55, v37, vcc
	s_and_b64 vcc, s[0:1], vcc
	v_cndmask_b32_e32 v34, 0, v36, vcc
	v_cndmask_b32_e64 v35, 0, v8, s[0:1]
	v_add_f64 v[32:33], v[34:35], v[32:33]
	v_max_f64 v[32:33], v[32:33], s[56:57]
	v_frexp_mant_f64_e32 v[34:35], v[32:33]
	v_frexp_exp_i32_f64_e32 v8, v[32:33]
	v_cmp_gt_f64_e32 vcc, s[54:55], v[34:35]
	v_cndmask_b32_e64 v36, 0, 1, vcc
	v_ldexp_f64 v[34:35], v[34:35], v36
	v_subbrev_co_u32_e32 v8, vcc, 0, v8, vcc
	v_cmp_neq_f64_e32 vcc, s[2:3], v[32:33]
	v_add_f64 v[38:39], v[34:35], 1.0
	v_add_f64 v[36:37], v[34:35], -1.0
	v_add_f64 v[40:41], v[38:39], -1.0
	v_add_f64 v[34:35], v[34:35], -v[40:41]
	v_rcp_f64_e32 v[40:41], v[38:39]
	v_fma_f64 v[42:43], -v[38:39], v[40:41], 1.0
	v_fma_f64 v[40:41], v[42:43], v[40:41], v[40:41]
	v_fma_f64 v[42:43], -v[38:39], v[40:41], 1.0
	v_fma_f64 v[40:41], v[42:43], v[40:41], v[40:41]
	v_mul_f64 v[42:43], v[36:37], v[40:41]
	v_mul_f64 v[44:45], v[38:39], v[42:43]
	v_fma_f64 v[38:39], v[42:43], v[38:39], -v[44:45]
	v_fma_f64 v[34:35], v[42:43], v[34:35], v[38:39]
	v_add_f64 v[38:39], v[44:45], v[34:35]
	v_add_f64 v[46:47], v[36:37], -v[38:39]
	v_add_f64 v[44:45], v[38:39], -v[44:45]
	v_add_f64 v[36:37], v[36:37], -v[46:47]
	v_add_f64 v[34:35], v[44:45], -v[34:35]
	v_add_f64 v[36:37], v[36:37], -v[38:39]
	v_add_f64 v[34:35], v[34:35], v[36:37]
	v_add_f64 v[34:35], v[46:47], v[34:35]
	v_mul_f64 v[34:35], v[40:41], v[34:35]
	v_add_f64 v[36:37], v[42:43], v[34:35]
	v_add_f64 v[38:39], v[36:37], -v[42:43]
	v_ldexp_f64 v[42:43], v[36:37], 1
	v_add_f64 v[34:35], v[34:35], -v[38:39]
	v_mul_f64 v[38:39], v[36:37], v[36:37]
	v_ldexp_f64 v[34:35], v[34:35], 1
	v_fma_f64 v[40:41], v[38:39], s[42:43], v[4:5]
	v_mul_f64 v[36:37], v[36:37], v[38:39]
	v_fma_f64 v[40:41], v[38:39], v[40:41], s[44:45]
	v_fma_f64 v[40:41], v[38:39], v[40:41], s[46:47]
	;; [unrolled: 1-line block ×5, first 2 shown]
	v_mul_f64 v[36:37], v[36:37], v[40:41]
	v_add_f64 v[38:39], v[42:43], v[36:37]
	v_add_f64 v[40:41], v[38:39], -v[42:43]
	v_add_f64 v[36:37], v[36:37], -v[40:41]
	v_add_f64 v[34:35], v[34:35], v[36:37]
	v_add_f64 v[36:37], v[38:39], v[34:35]
	v_add_f64 v[38:39], v[36:37], -v[38:39]
	v_add_f64 v[38:39], v[34:35], -v[38:39]
	v_cvt_f64_i32_e32 v[34:35], v8
	v_mul_f64 v[40:41], v[34:35], s[38:39]
	v_fma_f64 v[42:43], v[34:35], s[38:39], -v[40:41]
	v_fma_f64 v[34:35], v[34:35], s[40:41], v[42:43]
	v_add_f64 v[42:43], v[40:41], v[34:35]
	v_add_f64 v[40:41], v[42:43], -v[40:41]
	v_add_f64 v[34:35], v[34:35], -v[40:41]
	v_mul_f64 v[40:41], v[36:37], s[36:37]
	v_fma_f64 v[44:45], v[36:37], s[36:37], -v[40:41]
	v_fma_f64 v[38:39], v[38:39], s[36:37], v[44:45]
	v_fma_f64 v[36:37], v[36:37], s[34:35], v[38:39]
	v_add_f64 v[38:39], v[40:41], v[36:37]
	v_add_f64 v[40:41], v[38:39], -v[40:41]
	v_add_f64 v[40:41], v[36:37], -v[40:41]
	v_add_f64 v[36:37], v[42:43], v[38:39]
	v_add_f64 v[44:45], v[36:37], -v[42:43]
	v_add_f64 v[46:47], v[36:37], -v[44:45]
	;; [unrolled: 1-line block ×4, first 2 shown]
	v_add_f64 v[38:39], v[38:39], v[42:43]
	v_add_f64 v[42:43], v[34:35], v[40:41]
	v_add_f64 v[44:45], v[42:43], -v[34:35]
	v_add_f64 v[38:39], v[42:43], v[38:39]
	v_add_f64 v[46:47], v[42:43], -v[44:45]
	v_add_f64 v[40:41], v[40:41], -v[44:45]
	;; [unrolled: 1-line block ×3, first 2 shown]
	v_add_f64 v[34:35], v[40:41], v[34:35]
	v_add_f64 v[40:41], v[36:37], v[38:39]
	v_add_f64 v[36:37], v[40:41], -v[36:37]
	v_add_f64 v[36:37], v[38:39], -v[36:37]
	v_add_f64 v[34:35], v[34:35], v[36:37]
	v_add_f64 v[34:35], v[40:41], v[34:35]
	v_cndmask_b32_e32 v33, v55, v35, vcc
	v_cndmask_b32_e32 v32, 0, v34, vcc
	v_fma_f64 v[36:37], v[32:33], s[76:77], v[20:21]
	v_fma_f64 v[34:35], v[32:33], s[70:71], v[16:17]
	v_add_f64 v[30:31], v[30:31], -v[36:37]
	v_fma_f64 v[34:35], v[30:31], s[78:79], v[34:35]
	v_div_scale_f64 v[36:37], s[0:1], v[34:35], v[34:35], 1.0
	v_rcp_f64_e32 v[38:39], v[36:37]
	v_fma_f64 v[40:41], -v[36:37], v[38:39], 1.0
	v_fma_f64 v[38:39], v[38:39], v[40:41], v[38:39]
	v_fma_f64 v[40:41], -v[36:37], v[38:39], 1.0
	v_fma_f64 v[38:39], v[38:39], v[40:41], v[38:39]
	v_div_scale_f64 v[40:41], vcc, 1.0, v[34:35], 1.0
	v_mul_f64 v[42:43], v[40:41], v[38:39]
	v_fma_f64 v[36:37], -v[36:37], v[42:43], v[40:41]
	s_nop 1
	v_div_fmas_f64 v[36:37], v[36:37], v[38:39], v[42:43]
	v_div_fixup_f64 v[34:35], v[36:37], v[34:35], 1.0
	v_mul_f64 v[30:31], v[30:31], v[34:35]
	v_fma_f64 v[30:31], v[30:31], v[30:31], 1.0
	v_div_scale_f64 v[34:35], s[0:1], v[30:31], v[30:31], 1.0
	v_rcp_f64_e32 v[36:37], v[34:35]
	v_fma_f64 v[38:39], -v[34:35], v[36:37], 1.0
	v_fma_f64 v[36:37], v[36:37], v[38:39], v[36:37]
	v_fma_f64 v[38:39], -v[34:35], v[36:37], 1.0
	v_fma_f64 v[36:37], v[36:37], v[38:39], v[36:37]
	v_div_scale_f64 v[38:39], vcc, 1.0, v[30:31], 1.0
	v_mul_f64 v[40:41], v[38:39], v[36:37]
	v_fma_f64 v[34:35], -v[34:35], v[40:41], v[38:39]
	s_nop 1
	v_div_fmas_f64 v[34:35], v[34:35], v[36:37], v[40:41]
	v_div_fixup_f64 v[30:31], v[34:35], v[30:31], 1.0
	v_mul_f64 v[30:31], v[32:33], v[30:31]
	v_mul_f64 v[32:33], v[30:31], s[64:65]
	v_cmp_nlt_f64_e32 vcc, s[28:29], v[30:31]
	v_cmp_ngt_f64_e64 s[0:1], s[30:31], v[30:31]
	v_rndne_f64_e32 v[32:33], v[32:33]
	v_fma_f64 v[34:35], v[32:33], s[66:67], v[30:31]
	v_cvt_i32_f64_e32 v8, v[32:33]
	v_fma_f64 v[34:35], v[32:33], s[68:69], v[34:35]
	v_mul_f64 v[36:37], v[34:35], s[72:73]
	v_fma_f64 v[34:35], v[34:35], s[74:75], v[36:37]
	v_fma_f64 v[36:37], v[34:35], s[4:5], v[0:1]
	;; [unrolled: 1-line block ×10, first 2 shown]
	v_fma_f64 v[36:37], v[34:35], v[36:37], 1.0
	v_fma_f64 v[34:35], v[34:35], v[36:37], 1.0
	v_ldexp_f64 v[32:33], v[34:35], v8
	v_cndmask_b32_e32 v8, v55, v33, vcc
	s_and_b64 vcc, s[0:1], vcc
	v_cndmask_b32_e32 v30, 0, v32, vcc
	v_cndmask_b32_e64 v31, 0, v8, s[0:1]
	v_mul_f64 v[28:29], v[28:29], v[30:31]
	v_add_co_u32_e32 v22, vcc, s14, v22
	v_addc_co_u32_e32 v23, vcc, v58, v23, vcc
	v_add_co_u32_e32 v10, vcc, s16, v10
	v_addc_co_u32_e32 v11, vcc, v63, v11, vcc
	v_mul_f64 v[26:27], v[26:27], v[28:29]
	global_load_dwordx2 v[10:11], v[10:11], off
	s_nop 0
	global_store_dwordx2 v[24:25], v[26:27], off
	global_load_dwordx2 v[24:25], v[22:23], off
	s_waitcnt vmcnt(0)
	v_mul_f64 v[24:25], v[24:25], v[28:29]
	global_store_dwordx2 v[22:23], v[24:25], off
	v_mad_u64_u32 v[22:23], s[0:1], s33, 21, v[6:7]
	v_mov_b32_e32 v23, v7
	v_lshlrev_b64 v[23:24], 3, v[22:23]
	v_add_u32_e32 v6, s33, v22
	v_add_co_u32_e32 v25, vcc, s12, v23
	v_addc_co_u32_e32 v26, vcc, v9, v24, vcc
	global_load_dwordx2 v[27:28], v[25:26], off
	v_lshlrev_b64 v[6:7], 3, v[6:7]
	s_waitcnt vmcnt(0)
	v_div_scale_f64 v[29:30], s[0:1], v[27:28], v[27:28], 1.0
	v_rcp_f64_e32 v[31:32], v[29:30]
	v_fma_f64 v[33:34], -v[29:30], v[31:32], 1.0
	v_fma_f64 v[31:32], v[31:32], v[33:34], v[31:32]
	v_fma_f64 v[33:34], -v[29:30], v[31:32], 1.0
	v_fma_f64 v[31:32], v[31:32], v[33:34], v[31:32]
	v_div_scale_f64 v[33:34], vcc, 1.0, v[27:28], 1.0
	v_mul_f64 v[35:36], v[33:34], v[31:32]
	v_fma_f64 v[29:30], -v[29:30], v[35:36], v[33:34]
	s_nop 1
	v_div_fmas_f64 v[29:30], v[29:30], v[31:32], v[35:36]
	v_div_fixup_f64 v[29:30], v[29:30], v[27:28], 1.0
	v_mul_f64 v[14:15], v[14:15], v[29:30]
	v_mul_f64 v[29:30], v[10:11], v[14:15]
	v_fma_f64 v[10:11], v[10:11], v[14:15], 1.0
	v_div_scale_f64 v[14:15], s[0:1], v[10:11], v[10:11], 1.0
	v_rcp_f64_e32 v[31:32], v[14:15]
	v_fma_f64 v[33:34], -v[14:15], v[31:32], 1.0
	v_fma_f64 v[31:32], v[31:32], v[33:34], v[31:32]
	v_fma_f64 v[33:34], -v[14:15], v[31:32], 1.0
	v_fma_f64 v[31:32], v[31:32], v[33:34], v[31:32]
	v_div_scale_f64 v[33:34], vcc, 1.0, v[10:11], 1.0
	v_mul_f64 v[35:36], v[33:34], v[31:32]
	v_fma_f64 v[14:15], -v[14:15], v[35:36], v[33:34]
	s_nop 1
	v_div_fmas_f64 v[14:15], v[14:15], v[31:32], v[35:36]
	v_div_fixup_f64 v[10:11], v[14:15], v[10:11], 1.0
	v_mul_f64 v[10:11], v[29:30], v[10:11]
	v_mul_f64 v[14:15], v[27:28], v[10:11]
	global_store_dwordx2 v[25:26], v[14:15], off
	v_add_co_u32_e32 v14, vcc, s14, v23
	v_addc_co_u32_e32 v15, vcc, v58, v24, vcc
	global_load_dwordx2 v[23:24], v[14:15], off
	s_waitcnt vmcnt(0)
	v_mul_f64 v[10:11], v[23:24], v[10:11]
	global_store_dwordx2 v[14:15], v[10:11], off
	buffer_load_dword v10, off, s[80:83], 0 ; 4-byte Folded Reload
	s_nop 0
	buffer_load_dword v11, off, s[80:83], 0 offset:4 ; 4-byte Folded Reload
	s_waitcnt vmcnt(1)
	v_add_co_u32_e32 v10, vcc, s16, v10
	s_waitcnt vmcnt(0)
	v_addc_co_u32_e32 v11, vcc, v63, v11, vcc
	v_add_co_u32_e32 v8, vcc, s12, v6
	v_addc_co_u32_e32 v9, vcc, v9, v7, vcc
	global_load_dwordx2 v[14:15], v[10:11], off
	s_nop 0
	global_load_dwordx2 v[10:11], v[8:9], off
	s_waitcnt vmcnt(0)
	v_div_scale_f64 v[22:23], s[0:1], v[10:11], v[10:11], 1.0
	v_rcp_f64_e32 v[24:25], v[22:23]
	v_fma_f64 v[26:27], -v[22:23], v[24:25], 1.0
	v_fma_f64 v[24:25], v[24:25], v[26:27], v[24:25]
	v_fma_f64 v[26:27], -v[22:23], v[24:25], 1.0
	v_fma_f64 v[24:25], v[24:25], v[26:27], v[24:25]
	v_div_scale_f64 v[26:27], vcc, 1.0, v[10:11], 1.0
	v_mul_f64 v[28:29], v[26:27], v[24:25]
	v_fma_f64 v[22:23], -v[22:23], v[28:29], v[26:27]
	s_nop 1
	v_div_fmas_f64 v[22:23], v[22:23], v[24:25], v[28:29]
	v_div_fixup_f64 v[22:23], v[22:23], v[10:11], 1.0
	v_mul_f64 v[12:13], v[12:13], v[22:23]
	v_mul_f64 v[22:23], v[14:15], v[12:13]
	v_fma_f64 v[12:13], v[14:15], v[12:13], 1.0
	v_div_scale_f64 v[14:15], s[0:1], v[12:13], v[12:13], 1.0
	s_mov_b32 s0, 0xcf48b83b
	s_mov_b32 s1, 0xbf285898
	v_rcp_f64_e32 v[24:25], v[14:15]
	v_fma_f64 v[26:27], -v[14:15], v[24:25], 1.0
	v_fma_f64 v[24:25], v[24:25], v[26:27], v[24:25]
	v_fma_f64 v[26:27], -v[14:15], v[24:25], 1.0
	v_fma_f64 v[24:25], v[24:25], v[26:27], v[24:25]
	v_div_scale_f64 v[26:27], vcc, 1.0, v[12:13], 1.0
	v_mul_f64 v[28:29], v[26:27], v[24:25]
	v_fma_f64 v[14:15], -v[14:15], v[28:29], v[26:27]
	s_nop 1
	v_div_fmas_f64 v[14:15], v[14:15], v[24:25], v[28:29]
	v_div_fixup_f64 v[12:13], v[14:15], v[12:13], 1.0
	v_max_f64 v[14:15], v[22:23], s[56:57]
	v_mul_f64 v[12:13], v[22:23], v[12:13]
	v_frexp_mant_f64_e32 v[22:23], v[14:15]
	v_frexp_exp_i32_f64_e32 v24, v[14:15]
	v_cmp_gt_f64_e32 vcc, s[54:55], v[22:23]
	v_cndmask_b32_e64 v25, 0, 1, vcc
	v_ldexp_f64 v[22:23], v[22:23], v25
	v_subbrev_co_u32_e32 v36, vcc, 0, v24, vcc
	v_cmp_neq_f64_e32 vcc, s[2:3], v[14:15]
	v_add_f64 v[26:27], v[22:23], 1.0
	v_add_f64 v[24:25], v[22:23], -1.0
	v_add_f64 v[28:29], v[26:27], -1.0
	v_add_f64 v[22:23], v[22:23], -v[28:29]
	v_rcp_f64_e32 v[28:29], v[26:27]
	v_fma_f64 v[30:31], -v[26:27], v[28:29], 1.0
	v_fma_f64 v[28:29], v[30:31], v[28:29], v[28:29]
	v_fma_f64 v[30:31], -v[26:27], v[28:29], 1.0
	v_fma_f64 v[28:29], v[30:31], v[28:29], v[28:29]
	v_mul_f64 v[30:31], v[24:25], v[28:29]
	v_mul_f64 v[32:33], v[26:27], v[30:31]
	v_fma_f64 v[26:27], v[30:31], v[26:27], -v[32:33]
	v_fma_f64 v[22:23], v[30:31], v[22:23], v[26:27]
	v_add_f64 v[26:27], v[32:33], v[22:23]
	v_add_f64 v[34:35], v[24:25], -v[26:27]
	v_add_f64 v[32:33], v[26:27], -v[32:33]
	v_add_f64 v[24:25], v[24:25], -v[34:35]
	v_add_f64 v[22:23], v[32:33], -v[22:23]
	v_add_f64 v[24:25], v[24:25], -v[26:27]
	v_add_f64 v[22:23], v[22:23], v[24:25]
	v_add_f64 v[22:23], v[34:35], v[22:23]
	v_mul_f64 v[22:23], v[28:29], v[22:23]
	v_add_f64 v[24:25], v[30:31], v[22:23]
	v_add_f64 v[26:27], v[24:25], -v[30:31]
	v_ldexp_f64 v[30:31], v[24:25], 1
	v_add_f64 v[22:23], v[22:23], -v[26:27]
	v_mul_f64 v[26:27], v[24:25], v[24:25]
	v_ldexp_f64 v[22:23], v[22:23], 1
	v_fma_f64 v[28:29], v[26:27], s[42:43], v[4:5]
	v_mul_f64 v[24:25], v[24:25], v[26:27]
	v_fma_f64 v[28:29], v[26:27], v[28:29], s[44:45]
	v_fma_f64 v[28:29], v[26:27], v[28:29], s[46:47]
	;; [unrolled: 1-line block ×5, first 2 shown]
	v_mul_f64 v[24:25], v[24:25], v[28:29]
	v_add_f64 v[26:27], v[30:31], v[24:25]
	v_add_f64 v[28:29], v[26:27], -v[30:31]
	v_add_f64 v[24:25], v[24:25], -v[28:29]
	v_add_f64 v[22:23], v[22:23], v[24:25]
	v_add_f64 v[24:25], v[26:27], v[22:23]
	v_add_f64 v[26:27], v[24:25], -v[26:27]
	v_add_f64 v[22:23], v[22:23], -v[26:27]
	v_cvt_f64_i32_e32 v[26:27], v36
	v_mul_f64 v[28:29], v[26:27], s[38:39]
	v_fma_f64 v[30:31], v[26:27], s[38:39], -v[28:29]
	v_fma_f64 v[26:27], v[26:27], s[40:41], v[30:31]
	v_add_f64 v[30:31], v[28:29], v[26:27]
	v_add_f64 v[28:29], v[30:31], -v[28:29]
	v_add_f64 v[26:27], v[26:27], -v[28:29]
	v_mul_f64 v[28:29], v[24:25], s[36:37]
	v_fma_f64 v[32:33], v[24:25], s[36:37], -v[28:29]
	v_fma_f64 v[22:23], v[22:23], s[36:37], v[32:33]
	v_fma_f64 v[22:23], v[24:25], s[34:35], v[22:23]
	v_add_f64 v[24:25], v[28:29], v[22:23]
	v_add_f64 v[28:29], v[24:25], -v[28:29]
	v_add_f64 v[22:23], v[22:23], -v[28:29]
	v_add_f64 v[28:29], v[30:31], v[24:25]
	v_add_f64 v[32:33], v[28:29], -v[30:31]
	v_add_f64 v[34:35], v[28:29], -v[32:33]
	;; [unrolled: 1-line block ×4, first 2 shown]
	v_add_f64 v[24:25], v[24:25], v[30:31]
	v_add_f64 v[30:31], v[26:27], v[22:23]
	v_add_f64 v[32:33], v[30:31], -v[26:27]
	v_add_f64 v[24:25], v[30:31], v[24:25]
	v_add_f64 v[34:35], v[30:31], -v[32:33]
	v_add_f64 v[22:23], v[22:23], -v[32:33]
	;; [unrolled: 1-line block ×3, first 2 shown]
	v_add_f64 v[22:23], v[22:23], v[26:27]
	v_add_f64 v[26:27], v[28:29], v[24:25]
	v_add_f64 v[28:29], v[26:27], -v[28:29]
	v_add_f64 v[24:25], v[24:25], -v[28:29]
	v_add_f64 v[22:23], v[22:23], v[24:25]
	v_add_f64 v[22:23], v[26:27], v[22:23]
	v_cndmask_b32_e32 v15, v55, v23, vcc
	v_cndmask_b32_e32 v14, 0, v22, vcc
	v_mul_f64 v[22:23], v[2:3], s[0:1]
	s_mov_b32 s0, 0x67381d7e
	s_mov_b32 s1, 0xbfef6944
	v_mul_f64 v[24:25], v[22:23], s[58:59]
	v_cmp_nlt_f64_e32 vcc, s[28:29], v[22:23]
	v_rndne_f64_e32 v[24:25], v[24:25]
	v_fma_f64 v[26:27], v[24:25], s[60:61], v[22:23]
	v_fma_f64 v[26:27], v[24:25], s[62:63], v[26:27]
	v_cvt_i32_f64_e32 v24, v[24:25]
	v_fma_f64 v[28:29], v[26:27], s[4:5], v[0:1]
	v_fma_f64 v[28:29], v[26:27], v[28:29], s[6:7]
	;; [unrolled: 1-line block ×9, first 2 shown]
	v_fma_f64 v[28:29], v[26:27], v[28:29], 1.0
	v_fma_f64 v[26:27], v[26:27], v[28:29], 1.0
	v_ldexp_f64 v[24:25], v[26:27], v24
	v_mov_b32_e32 v26, 0xfff00000
	v_mul_f64 v[24:25], v[24:25], s[0:1]
	v_cmp_ngt_f64_e64 s[0:1], s[30:31], v[22:23]
	v_bfrev_b32_e32 v23, 1
	v_cndmask_b32_e32 v25, v26, v25, vcc
	s_and_b64 vcc, s[0:1], vcc
	v_cndmask_b32_e64 v23, v23, v25, s[0:1]
	s_mov_b32 s0, 0x1068f29
	s_mov_b32 s1, 0xbfcdd089
	v_mul_f64 v[2:3], v[2:3], s[0:1]
	v_cndmask_b32_e32 v22, 0, v24, vcc
	s_mov_b32 s0, 0x339c0ebf
	s_mov_b32 s1, 0x3fffb4a2
	v_mul_f64 v[24:25], v[2:3], s[58:59]
	v_cmp_nlt_f64_e32 vcc, s[28:29], v[2:3]
	v_rndne_f64_e32 v[24:25], v[24:25]
	v_fma_f64 v[26:27], v[24:25], s[60:61], v[2:3]
	v_fma_f64 v[26:27], v[24:25], s[62:63], v[26:27]
	v_cvt_i32_f64_e32 v24, v[24:25]
	v_fma_f64 v[28:29], v[26:27], s[4:5], v[0:1]
	v_fma_f64 v[28:29], v[26:27], v[28:29], s[6:7]
	;; [unrolled: 1-line block ×9, first 2 shown]
	v_fma_f64 v[28:29], v[26:27], v[28:29], 1.0
	v_fma_f64 v[26:27], v[26:27], v[28:29], 1.0
	v_ldexp_f64 v[24:25], v[26:27], v24
	v_mul_f64 v[24:25], v[24:25], s[0:1]
	v_cmp_ngt_f64_e64 s[0:1], s[30:31], v[2:3]
	v_cndmask_b32_e32 v25, v55, v25, vcc
	s_and_b64 vcc, s[0:1], vcc
	v_cndmask_b32_e64 v3, 0, v25, s[0:1]
	s_mov_b32 s0, 0xac083127
	s_mov_b32 s1, 0x3fb45a1c
	v_mul_f64 v[18:19], v[18:19], s[0:1]
	v_cndmask_b32_e32 v2, 0, v24, vcc
	v_add_f64 v[2:3], v[22:23], v[2:3]
	v_mul_f64 v[22:23], v[18:19], s[58:59]
	v_cmp_nlt_f64_e32 vcc, s[28:29], v[18:19]
	v_cmp_ngt_f64_e64 s[0:1], s[30:31], v[18:19]
	v_rndne_f64_e32 v[22:23], v[22:23]
	v_fma_f64 v[24:25], v[22:23], s[60:61], v[18:19]
	v_fma_f64 v[24:25], v[22:23], s[62:63], v[24:25]
	v_cvt_i32_f64_e32 v22, v[22:23]
	v_fma_f64 v[26:27], v[24:25], s[4:5], v[0:1]
	v_fma_f64 v[26:27], v[24:25], v[26:27], s[6:7]
	;; [unrolled: 1-line block ×9, first 2 shown]
	v_fma_f64 v[26:27], v[24:25], v[26:27], 1.0
	v_fma_f64 v[24:25], v[24:25], v[26:27], 1.0
	v_ldexp_f64 v[22:23], v[24:25], v22
	v_cndmask_b32_e32 v23, v55, v23, vcc
	s_and_b64 vcc, s[0:1], vcc
	v_cndmask_b32_e32 v18, 0, v22, vcc
	v_cndmask_b32_e64 v19, 0, v23, s[0:1]
	v_add_f64 v[2:3], v[18:19], v[2:3]
	v_max_f64 v[2:3], v[2:3], s[56:57]
	v_frexp_mant_f64_e32 v[18:19], v[2:3]
	v_frexp_exp_i32_f64_e32 v24, v[2:3]
	v_cmp_gt_f64_e32 vcc, s[54:55], v[18:19]
	v_cndmask_b32_e64 v22, 0, 1, vcc
	v_ldexp_f64 v[22:23], v[18:19], v22
	v_subbrev_co_u32_e32 v18, vcc, 0, v24, vcc
	v_cmp_neq_f64_e32 vcc, s[2:3], v[2:3]
	v_add_f64 v[26:27], v[22:23], 1.0
	v_add_f64 v[24:25], v[22:23], -1.0
	v_add_f64 v[28:29], v[26:27], -1.0
	v_add_f64 v[22:23], v[22:23], -v[28:29]
	v_rcp_f64_e32 v[28:29], v[26:27]
	v_fma_f64 v[30:31], -v[26:27], v[28:29], 1.0
	v_fma_f64 v[28:29], v[30:31], v[28:29], v[28:29]
	v_fma_f64 v[30:31], -v[26:27], v[28:29], 1.0
	v_fma_f64 v[28:29], v[30:31], v[28:29], v[28:29]
	v_mul_f64 v[30:31], v[24:25], v[28:29]
	v_mul_f64 v[32:33], v[26:27], v[30:31]
	v_fma_f64 v[26:27], v[30:31], v[26:27], -v[32:33]
	v_fma_f64 v[22:23], v[30:31], v[22:23], v[26:27]
	v_add_f64 v[26:27], v[32:33], v[22:23]
	v_add_f64 v[34:35], v[24:25], -v[26:27]
	v_add_f64 v[32:33], v[26:27], -v[32:33]
	;; [unrolled: 1-line block ×5, first 2 shown]
	v_add_f64 v[22:23], v[22:23], v[24:25]
	v_add_f64 v[22:23], v[34:35], v[22:23]
	v_mul_f64 v[22:23], v[28:29], v[22:23]
	v_add_f64 v[24:25], v[30:31], v[22:23]
	v_add_f64 v[26:27], v[24:25], -v[30:31]
	v_ldexp_f64 v[28:29], v[24:25], 1
	v_add_f64 v[22:23], v[22:23], -v[26:27]
	v_mul_f64 v[26:27], v[24:25], v[24:25]
	v_ldexp_f64 v[22:23], v[22:23], 1
	v_fma_f64 v[4:5], v[26:27], s[42:43], v[4:5]
	v_mul_f64 v[24:25], v[24:25], v[26:27]
	v_fma_f64 v[4:5], v[26:27], v[4:5], s[44:45]
	v_fma_f64 v[4:5], v[26:27], v[4:5], s[46:47]
	;; [unrolled: 1-line block ×5, first 2 shown]
	v_mul_f64 v[4:5], v[24:25], v[4:5]
	v_add_f64 v[24:25], v[28:29], v[4:5]
	v_add_f64 v[26:27], v[24:25], -v[28:29]
	v_add_f64 v[4:5], v[4:5], -v[26:27]
	v_add_f64 v[4:5], v[22:23], v[4:5]
	v_add_f64 v[22:23], v[24:25], v[4:5]
	v_add_f64 v[24:25], v[22:23], -v[24:25]
	v_add_f64 v[24:25], v[4:5], -v[24:25]
	v_cvt_f64_i32_e32 v[4:5], v18
	v_mul_f64 v[18:19], v[4:5], s[38:39]
	v_fma_f64 v[26:27], v[4:5], s[38:39], -v[18:19]
	v_fma_f64 v[4:5], v[4:5], s[40:41], v[26:27]
	v_add_f64 v[26:27], v[18:19], v[4:5]
	v_add_f64 v[18:19], v[26:27], -v[18:19]
	v_add_f64 v[4:5], v[4:5], -v[18:19]
	v_mul_f64 v[18:19], v[22:23], s[36:37]
	v_fma_f64 v[28:29], v[22:23], s[36:37], -v[18:19]
	v_fma_f64 v[24:25], v[24:25], s[36:37], v[28:29]
	v_fma_f64 v[22:23], v[22:23], s[34:35], v[24:25]
	v_add_f64 v[24:25], v[18:19], v[22:23]
	v_add_f64 v[18:19], v[24:25], -v[18:19]
	v_add_f64 v[22:23], v[22:23], -v[18:19]
	v_add_f64 v[18:19], v[26:27], v[24:25]
	v_add_f64 v[28:29], v[18:19], -v[26:27]
	v_add_f64 v[30:31], v[18:19], -v[28:29]
	;; [unrolled: 1-line block ×4, first 2 shown]
	v_add_f64 v[24:25], v[24:25], v[26:27]
	v_add_f64 v[26:27], v[4:5], v[22:23]
	v_add_f64 v[28:29], v[26:27], -v[4:5]
	v_add_f64 v[30:31], v[26:27], -v[28:29]
	;; [unrolled: 1-line block ×4, first 2 shown]
	v_add_f64 v[4:5], v[22:23], v[4:5]
	v_add_f64 v[22:23], v[26:27], v[24:25]
	;; [unrolled: 1-line block ×3, first 2 shown]
	v_add_f64 v[18:19], v[24:25], -v[18:19]
	v_add_f64 v[18:19], v[22:23], -v[18:19]
	v_add_f64 v[4:5], v[4:5], v[18:19]
	v_add_f64 v[4:5], v[24:25], v[4:5]
	v_cndmask_b32_e32 v3, v55, v5, vcc
	v_cndmask_b32_e32 v2, 0, v4, vcc
	v_fma_f64 v[4:5], v[2:3], s[70:71], v[16:17]
	v_fma_f64 v[16:17], v[2:3], s[76:77], v[20:21]
	v_add_f64 v[14:15], v[14:15], -v[16:17]
	v_fma_f64 v[4:5], v[14:15], s[78:79], v[4:5]
	v_div_scale_f64 v[16:17], s[0:1], v[4:5], v[4:5], 1.0
	v_rcp_f64_e32 v[18:19], v[16:17]
	v_fma_f64 v[20:21], -v[16:17], v[18:19], 1.0
	v_fma_f64 v[18:19], v[18:19], v[20:21], v[18:19]
	v_fma_f64 v[20:21], -v[16:17], v[18:19], 1.0
	v_fma_f64 v[18:19], v[18:19], v[20:21], v[18:19]
	v_div_scale_f64 v[20:21], vcc, 1.0, v[4:5], 1.0
	v_mul_f64 v[22:23], v[20:21], v[18:19]
	v_fma_f64 v[16:17], -v[16:17], v[22:23], v[20:21]
	s_nop 1
	v_div_fmas_f64 v[16:17], v[16:17], v[18:19], v[22:23]
	v_div_fixup_f64 v[4:5], v[16:17], v[4:5], 1.0
	v_mul_f64 v[4:5], v[14:15], v[4:5]
	v_fma_f64 v[4:5], v[4:5], v[4:5], 1.0
	v_div_scale_f64 v[14:15], s[0:1], v[4:5], v[4:5], 1.0
	v_rcp_f64_e32 v[16:17], v[14:15]
	v_fma_f64 v[18:19], -v[14:15], v[16:17], 1.0
	v_fma_f64 v[16:17], v[16:17], v[18:19], v[16:17]
	v_fma_f64 v[18:19], -v[14:15], v[16:17], 1.0
	v_fma_f64 v[16:17], v[16:17], v[18:19], v[16:17]
	v_div_scale_f64 v[18:19], vcc, 1.0, v[4:5], 1.0
	v_mul_f64 v[20:21], v[18:19], v[16:17]
	v_fma_f64 v[14:15], -v[14:15], v[20:21], v[18:19]
	s_nop 1
	v_div_fmas_f64 v[14:15], v[14:15], v[16:17], v[20:21]
	v_div_fixup_f64 v[4:5], v[14:15], v[4:5], 1.0
	v_mul_f64 v[2:3], v[2:3], v[4:5]
	v_mul_f64 v[4:5], v[2:3], s[64:65]
	v_cmp_nlt_f64_e32 vcc, s[28:29], v[2:3]
	v_cmp_ngt_f64_e64 s[0:1], s[30:31], v[2:3]
	v_rndne_f64_e32 v[4:5], v[4:5]
	v_fma_f64 v[14:15], v[4:5], s[66:67], v[2:3]
	v_fma_f64 v[14:15], v[4:5], s[68:69], v[14:15]
	v_cvt_i32_f64_e32 v4, v[4:5]
	v_mul_f64 v[16:17], v[14:15], s[72:73]
	v_fma_f64 v[14:15], v[14:15], s[74:75], v[16:17]
	v_fma_f64 v[0:1], v[14:15], s[4:5], v[0:1]
	;; [unrolled: 1-line block ×10, first 2 shown]
	v_fma_f64 v[0:1], v[14:15], v[0:1], 1.0
	v_fma_f64 v[0:1], v[14:15], v[0:1], 1.0
	v_ldexp_f64 v[0:1], v[0:1], v4
	v_cndmask_b32_e32 v1, v55, v1, vcc
	s_and_b64 vcc, s[0:1], vcc
	v_cndmask_b32_e32 v0, 0, v0, vcc
	v_cndmask_b32_e64 v1, 0, v1, s[0:1]
	v_mul_f64 v[0:1], v[12:13], v[0:1]
	v_mul_f64 v[2:3], v[10:11], v[0:1]
	global_store_dwordx2 v[8:9], v[2:3], off
	v_add_co_u32_e32 v2, vcc, s14, v6
	v_addc_co_u32_e32 v3, vcc, v58, v7, vcc
	global_load_dwordx2 v[4:5], v[2:3], off
	s_waitcnt vmcnt(0)
	v_mul_f64 v[0:1], v[4:5], v[0:1]
	global_store_dwordx2 v[2:3], v[0:1], off
	s_endpgm
	.section	.rodata,"a",@progbits
	.p2align	6, 0x0
	.amdhsa_kernel _Z11ratx_kernelIdEvPKT_S2_PS0_S3_S2_S0_
		.amdhsa_group_segment_fixed_size 0
		.amdhsa_private_segment_fixed_size 12
		.amdhsa_kernarg_size 304
		.amdhsa_user_sgpr_count 6
		.amdhsa_user_sgpr_private_segment_buffer 1
		.amdhsa_user_sgpr_dispatch_ptr 0
		.amdhsa_user_sgpr_queue_ptr 0
		.amdhsa_user_sgpr_kernarg_segment_ptr 1
		.amdhsa_user_sgpr_dispatch_id 0
		.amdhsa_user_sgpr_flat_scratch_init 0
		.amdhsa_user_sgpr_private_segment_size 0
		.amdhsa_uses_dynamic_stack 0
		.amdhsa_system_sgpr_private_segment_wavefront_offset 1
		.amdhsa_system_sgpr_workgroup_id_x 1
		.amdhsa_system_sgpr_workgroup_id_y 0
		.amdhsa_system_sgpr_workgroup_id_z 0
		.amdhsa_system_sgpr_workgroup_info 0
		.amdhsa_system_vgpr_workitem_id 0
		.amdhsa_next_free_vgpr 64
		.amdhsa_next_free_sgpr 84
		.amdhsa_reserve_vcc 1
		.amdhsa_reserve_flat_scratch 0
		.amdhsa_float_round_mode_32 0
		.amdhsa_float_round_mode_16_64 0
		.amdhsa_float_denorm_mode_32 3
		.amdhsa_float_denorm_mode_16_64 3
		.amdhsa_dx10_clamp 1
		.amdhsa_ieee_mode 1
		.amdhsa_fp16_overflow 0
		.amdhsa_exception_fp_ieee_invalid_op 0
		.amdhsa_exception_fp_denorm_src 0
		.amdhsa_exception_fp_ieee_div_zero 0
		.amdhsa_exception_fp_ieee_overflow 0
		.amdhsa_exception_fp_ieee_underflow 0
		.amdhsa_exception_fp_ieee_inexact 0
		.amdhsa_exception_int_div_zero 0
	.end_amdhsa_kernel
	.section	.text._Z11ratx_kernelIdEvPKT_S2_PS0_S3_S2_S0_,"axG",@progbits,_Z11ratx_kernelIdEvPKT_S2_PS0_S3_S2_S0_,comdat
.Lfunc_end39:
	.size	_Z11ratx_kernelIdEvPKT_S2_PS0_S3_S2_S0_, .Lfunc_end39-_Z11ratx_kernelIdEvPKT_S2_PS0_S3_S2_S0_
                                        ; -- End function
	.set _Z11ratx_kernelIdEvPKT_S2_PS0_S3_S2_S0_.num_vgpr, 64
	.set _Z11ratx_kernelIdEvPKT_S2_PS0_S3_S2_S0_.num_agpr, 0
	.set _Z11ratx_kernelIdEvPKT_S2_PS0_S3_S2_S0_.numbered_sgpr, 84
	.set _Z11ratx_kernelIdEvPKT_S2_PS0_S3_S2_S0_.num_named_barrier, 0
	.set _Z11ratx_kernelIdEvPKT_S2_PS0_S3_S2_S0_.private_seg_size, 12
	.set _Z11ratx_kernelIdEvPKT_S2_PS0_S3_S2_S0_.uses_vcc, 1
	.set _Z11ratx_kernelIdEvPKT_S2_PS0_S3_S2_S0_.uses_flat_scratch, 0
	.set _Z11ratx_kernelIdEvPKT_S2_PS0_S3_S2_S0_.has_dyn_sized_stack, 0
	.set _Z11ratx_kernelIdEvPKT_S2_PS0_S3_S2_S0_.has_recursion, 0
	.set _Z11ratx_kernelIdEvPKT_S2_PS0_S3_S2_S0_.has_indirect_call, 0
	.section	.AMDGPU.csdata,"",@progbits
; Kernel info:
; codeLenInByte = 30976
; TotalNumSgprs: 88
; NumVgprs: 64
; ScratchSize: 12
; MemoryBound: 0
; FloatMode: 240
; IeeeMode: 1
; LDSByteSize: 0 bytes/workgroup (compile time only)
; SGPRBlocks: 10
; VGPRBlocks: 15
; NumSGPRsForWavesPerEU: 88
; NumVGPRsForWavesPerEU: 64
; Occupancy: 4
; WaveLimiterHint : 0
; COMPUTE_PGM_RSRC2:SCRATCH_EN: 1
; COMPUTE_PGM_RSRC2:USER_SGPR: 6
; COMPUTE_PGM_RSRC2:TRAP_HANDLER: 0
; COMPUTE_PGM_RSRC2:TGID_X_EN: 1
; COMPUTE_PGM_RSRC2:TGID_Y_EN: 0
; COMPUTE_PGM_RSRC2:TGID_Z_EN: 0
; COMPUTE_PGM_RSRC2:TIDIG_COMP_CNT: 0
	.section	.text._Z12ratxb_kernelIdEvPKT_S2_PS0_S3_S2_S0_,"axG",@progbits,_Z12ratxb_kernelIdEvPKT_S2_PS0_S3_S2_S0_,comdat
	.protected	_Z12ratxb_kernelIdEvPKT_S2_PS0_S3_S2_S0_ ; -- Begin function _Z12ratxb_kernelIdEvPKT_S2_PS0_S3_S2_S0_
	.globl	_Z12ratxb_kernelIdEvPKT_S2_PS0_S3_S2_S0_
	.p2align	8
	.type	_Z12ratxb_kernelIdEvPKT_S2_PS0_S3_S2_S0_,@function
_Z12ratxb_kernelIdEvPKT_S2_PS0_S3_S2_S0_: ; @_Z12ratxb_kernelIdEvPKT_S2_PS0_S3_S2_S0_
; %bb.0:
	s_mov_b64 s[90:91], s[2:3]
	s_mov_b64 s[88:89], s[0:1]
	s_load_dwordx8 s[8:15], s[4:5], 0x0
	s_load_dwordx4 s[16:19], s[4:5], 0x20
	s_load_dword s33, s[4:5], 0x30
	s_load_dword s0, s[4:5], 0x3c
	s_add_u32 s88, s88, s7
	s_addc_u32 s89, s89, 0
	v_mov_b32_e32 v15, 0
	s_waitcnt lgkmcnt(0)
	v_mov_b32_e32 v1, s9
	s_and_b32 s0, s0, 0xffff
	s_mul_i32 s6, s6, s0
	v_add_u32_e32 v14, s6, v0
	v_lshlrev_b64 v[4:5], 3, v[14:15]
	v_mov_b32_e32 v58, s11
	v_add_co_u32_e32 v0, vcc, s8, v4
	v_addc_co_u32_e32 v1, vcc, v1, v5, vcc
	v_add_co_u32_e32 v4, vcc, s10, v4
	v_addc_co_u32_e32 v5, vcc, v58, v5, vcc
	global_load_dwordx2 v[32:33], v[4:5], off
	s_mul_i32 s33, s33, s0
	v_add_u32_e32 v14, s33, v14
	v_lshlrev_b64 v[6:7], 3, v[14:15]
	v_add_u32_e32 v14, s33, v14
	v_add_co_u32_e32 v6, vcc, s10, v6
	v_addc_co_u32_e32 v7, vcc, v58, v7, vcc
	global_load_dwordx2 v[18:19], v[6:7], off
	v_lshlrev_b64 v[6:7], 3, v[14:15]
	v_add_u32_e32 v14, s33, v14
	v_add_co_u32_e32 v6, vcc, s10, v6
	v_addc_co_u32_e32 v7, vcc, v58, v7, vcc
	global_load_dwordx2 v[6:7], v[6:7], off
	s_mov_b32 s0, 0x147ae148
	global_load_dwordx2 v[0:1], v[0:1], off
	s_mov_b32 s1, 0xbfd147ae
	s_mov_b32 s85, 0x3ff66666
	s_mov_b32 s84, 0x66666666
	s_mov_b32 s83, 0x402ccccc
	s_mov_b32 s82, 0xcccccccd
	s_mov_b32 s2, 0
	s_mov_b32 s3, 0x3fe80000
	s_mov_b32 s56, 0
	s_mov_b32 s57, 0x38100000
	s_mov_b32 s54, 0x55555555
	s_mov_b32 s55, 0x3fe55555
	s_mov_b32 s42, 0xbf559e2b
	s_mov_b32 s43, 0x3fc3ab76
	s_mov_b32 s44, 0xd7f4df2e
	s_mov_b32 s45, 0x3fc7474d
	s_mov_b32 s46, 0x16291751
	s_mov_b32 s47, 0x3fcc71c0
	s_mov_b32 s48, 0x9b27acf1
	s_mov_b32 s49, 0x3fd24924
	s_mov_b32 s50, 0x998ef7b6
	s_mov_b32 s51, 0x3fd99999
	s_mov_b32 s52, 0x55555780
	s_mov_b32 s53, s55
	s_mov_b32 s38, 0x509f79ff
	s_mov_b32 s39, 0x3fd34413
	s_mov_b32 s40, 0xa994fd21
	s_mov_b32 s41, 0xbc49dc1d
	s_mov_b32 s36, 0x1526e50e
	s_mov_b32 s37, 0x3fdbcb7b
	s_mov_b32 s34, 0xbaaafad3
	s_mov_b32 s35, 0x3c695355
	s_mov_b32 s30, 0
	s_mov_b32 s31, 0x7ff00000
	s_mov_b32 s58, 0x652b82fe
	s_mov_b32 s59, 0x3ff71547
	s_mov_b32 s60, 0xfefa39ef
	s_mov_b32 s61, 0xbfe62e42
	s_mov_b32 s62, 0x3b39803f
	s_mov_b32 s63, 0xbc7abc9e
	s_mov_b32 s4, 0x623fde64
	s_mov_b32 s5, 0x3ec71dee
	s_mov_b32 s6, 0x7c89e6b0
	s_mov_b32 s7, 0x3efa0199
	s_mov_b32 s8, 0x14761f6e
	s_mov_b32 s9, 0x3f2a01a0
	s_mov_b32 s20, 0x555502a1
	s_mov_b32 s21, 0x3fa55555
	s_mov_b32 s22, 0x55555511
	s_mov_b32 s23, 0x3fc55555
	s_mov_b32 s24, 11
	s_mov_b32 s25, 0x3fe00000
	s_mov_b32 s26, 0
	s_mov_b32 s28, 0
	s_mov_b32 s27, 0x40900000
	s_mov_b32 s29, 0xc090cc00
	s_mov_b32 s81, 0xbf347ae1
	s_mov_b32 s80, 0x47ae147b
	s_mov_b32 s86, 0x9999999a
	s_mov_b32 s87, s51
	s_mov_b32 s76, 0xd70a3d71
	s_mov_b32 s77, 0x3fe570a3
	s_waitcnt vmcnt(3)
	v_add_f64 v[4:5], v[32:33], 0
	s_mov_b32 s74, 0x851eb852
	s_mov_b32 s75, 0xbff451eb
	;; [unrolled: 1-line block ×8, first 2 shown]
	s_waitcnt vmcnt(2)
	v_add_f64 v[4:5], v[4:5], v[18:19]
	s_mov_b32 s69, 0x3c49dc1d
	s_mov_b32 s68, s40
	;; [unrolled: 1-line block ×6, first 2 shown]
	s_waitcnt vmcnt(1)
	v_add_f64 v[4:5], v[4:5], v[6:7]
	v_lshlrev_b64 v[6:7], 3, v[14:15]
	v_add_u32_e32 v14, s33, v14
	v_add_co_u32_e32 v6, vcc, s10, v6
	v_addc_co_u32_e32 v7, vcc, v58, v7, vcc
	global_load_dwordx2 v[48:49], v[6:7], off
	v_lshlrev_b64 v[6:7], 3, v[14:15]
	v_add_u32_e32 v14, s33, v14
	v_add_co_u32_e32 v6, vcc, s10, v6
	v_addc_co_u32_e32 v7, vcc, v58, v7, vcc
	global_load_dwordx2 v[6:7], v[6:7], off
	s_waitcnt vmcnt(2)
	v_mul_f64 v[24:25], s[18:19], v[0:1]
	s_mov_b32 s18, 0x11122322
	s_mov_b32 s19, 0x3f811111
	s_waitcnt vmcnt(1)
	v_add_f64 v[4:5], v[4:5], v[48:49]
	s_waitcnt vmcnt(0)
	v_add_f64 v[4:5], v[4:5], v[6:7]
	v_lshlrev_b64 v[6:7], 3, v[14:15]
	v_add_u32_e32 v14, s33, v14
	v_add_co_u32_e32 v6, vcc, s10, v6
	v_addc_co_u32_e32 v7, vcc, v58, v7, vcc
	global_load_dwordx2 v[44:45], v[6:7], off
	v_lshlrev_b64 v[6:7], 3, v[14:15]
	v_add_u32_e32 v14, s33, v14
	v_add_co_u32_e32 v36, vcc, s10, v6
	v_addc_co_u32_e32 v37, vcc, v58, v7, vcc
	global_load_dwordx2 v[6:7], v[36:37], off
	s_waitcnt vmcnt(1)
	v_add_f64 v[4:5], v[4:5], v[44:45]
	s_waitcnt vmcnt(0)
	v_add_f64 v[4:5], v[4:5], v[6:7]
	v_lshlrev_b64 v[6:7], 3, v[14:15]
	v_add_u32_e32 v14, s33, v14
	v_add_co_u32_e32 v6, vcc, s10, v6
	v_addc_co_u32_e32 v7, vcc, v58, v7, vcc
	global_load_dwordx2 v[6:7], v[6:7], off
	s_waitcnt vmcnt(0)
	v_add_f64 v[4:5], v[4:5], v[6:7]
	v_lshlrev_b64 v[6:7], 3, v[14:15]
	v_add_u32_e32 v14, s33, v14
	v_add_co_u32_e32 v6, vcc, s10, v6
	v_addc_co_u32_e32 v7, vcc, v58, v7, vcc
	global_load_dwordx2 v[6:7], v[6:7], off
	v_lshlrev_b64 v[52:53], 3, v[14:15]
	v_add_u32_e32 v14, s33, v14
	v_lshlrev_b64 v[54:55], 3, v[14:15]
	v_add_u32_e32 v14, s33, v14
	;; [unrolled: 2-line block ×7, first 2 shown]
	s_waitcnt vmcnt(0)
	v_add_f64 v[4:5], v[4:5], v[6:7]
	v_add_co_u32_e32 v6, vcc, s10, v52
	v_addc_co_u32_e32 v7, vcc, v58, v53, vcc
	global_load_dwordx2 v[42:43], v[6:7], off
	v_add_co_u32_e32 v34, vcc, s10, v54
	v_addc_co_u32_e32 v35, vcc, v58, v55, vcc
	global_load_dwordx2 v[40:41], v[34:35], off
	;; [unrolled: 3-line block ×5, first 2 shown]
	s_waitcnt vmcnt(4)
	v_add_f64 v[4:5], v[4:5], v[42:43]
	s_waitcnt vmcnt(3)
	v_add_f64 v[4:5], v[4:5], v[40:41]
	;; [unrolled: 2-line block ×4, first 2 shown]
	v_add_co_u32_e32 v6, vcc, s10, v28
	v_addc_co_u32_e32 v7, vcc, v58, v29, vcc
	global_load_dwordx2 v[56:57], v[6:7], off
	v_add_co_u32_e32 v6, vcc, s10, v26
	v_addc_co_u32_e32 v7, vcc, v58, v27, vcc
	global_load_dwordx2 v[59:60], v[6:7], off
	v_lshlrev_b64 v[6:7], 3, v[14:15]
	v_add_u32_e32 v14, s33, v14
	v_add_co_u32_e32 v6, vcc, s10, v6
	v_addc_co_u32_e32 v7, vcc, v58, v7, vcc
	v_lshlrev_b64 v[2:3], 3, v[14:15]
	global_load_dwordx2 v[6:7], v[6:7], off
	s_nop 0
	buffer_store_dword v2, off, s[88:91], 0 offset:32 ; 4-byte Folded Spill
	s_nop 0
	buffer_store_dword v3, off, s[88:91], 0 offset:36 ; 4-byte Folded Spill
	s_waitcnt vmcnt(5)
	v_add_f64 v[4:5], v[4:5], v[46:47]
	v_add_u32_e32 v14, s33, v14
	s_waitcnt vmcnt(4)
	v_add_f64 v[4:5], v[4:5], v[56:57]
	s_waitcnt vmcnt(3)
	v_add_f64 v[4:5], v[4:5], v[59:60]
	;; [unrolled: 2-line block ×3, first 2 shown]
	v_add_co_u32_e32 v6, vcc, s10, v2
	v_addc_co_u32_e32 v7, vcc, v58, v3, vcc
	v_lshlrev_b64 v[2:3], 3, v[14:15]
	global_load_dwordx2 v[6:7], v[6:7], off
	s_nop 0
	buffer_store_dword v2, off, s[88:91], 0 offset:24 ; 4-byte Folded Spill
	s_nop 0
	buffer_store_dword v3, off, s[88:91], 0 offset:28 ; 4-byte Folded Spill
	v_add_u32_e32 v14, s33, v14
	s_waitcnt vmcnt(2)
	v_add_f64 v[4:5], v[4:5], v[6:7]
	v_add_co_u32_e32 v6, vcc, s10, v2
	v_addc_co_u32_e32 v7, vcc, v58, v3, vcc
	v_lshlrev_b64 v[2:3], 3, v[14:15]
	global_load_dwordx2 v[6:7], v[6:7], off
	s_nop 0
	buffer_store_dword v2, off, s[88:91], 0 offset:16 ; 4-byte Folded Spill
	s_nop 0
	buffer_store_dword v3, off, s[88:91], 0 offset:20 ; 4-byte Folded Spill
	v_add_u32_e32 v14, s33, v14
	v_add_co_u32_e32 v10, vcc, s10, v2
	v_addc_co_u32_e32 v11, vcc, v58, v3, vcc
	v_lshlrev_b64 v[2:3], 3, v[14:15]
	s_waitcnt vmcnt(2)
	v_add_f64 v[4:5], v[4:5], v[6:7]
	global_load_dwordx2 v[6:7], v[10:11], off
	s_nop 0
	buffer_store_dword v2, off, s[88:91], 0 ; 4-byte Folded Spill
	s_nop 0
	buffer_store_dword v3, off, s[88:91], 0 offset:4 ; 4-byte Folded Spill
	v_add_u32_e32 v14, s33, v14
	v_add_co_u32_e32 v12, vcc, s10, v2
	v_addc_co_u32_e32 v13, vcc, v58, v3, vcc
	global_load_dwordx2 v[12:13], v[12:13], off
	s_waitcnt vmcnt(3)
	v_add_f64 v[6:7], v[4:5], v[6:7]
	s_waitcnt vmcnt(0)
	v_add_f64 v[6:7], v[6:7], v[12:13]
	v_lshlrev_b64 v[12:13], 3, v[14:15]
	v_add_co_u32_e32 v12, vcc, s10, v12
	v_addc_co_u32_e32 v13, vcc, v58, v13, vcc
	global_load_dwordx2 v[61:62], v[12:13], off
	s_waitcnt vmcnt(0)
	v_add_f64 v[20:21], v[6:7], v[61:62]
	v_add_f64 v[6:7], v[20:21], -v[32:33]
	v_add_f64 v[8:9], v[20:21], v[32:33]
	v_add_f64 v[6:7], v[6:7], -v[44:45]
	;; [unrolled: 2-line block ×3, first 2 shown]
	v_fma_f64 v[6:7], v[59:60], 2.0, v[6:7]
	v_fma_f64 v[6:7], v[46:47], 2.0, v[6:7]
	;; [unrolled: 1-line block ×3, first 2 shown]
	v_fma_f64 v[6:7], v[32:33], s[0:1], v[20:21]
	s_mov_b32 s0, 0x33333333
	s_mov_b32 s1, 0x40053333
	v_fma_f64 v[6:7], v[44:45], s[0:1], v[6:7]
	s_mov_b32 s0, 0
	s_mov_b32 s1, 0x40140000
	v_add_f64 v[6:7], v[42:43], v[6:7]
	v_fma_f64 v[6:7], v[59:60], 2.0, v[6:7]
	v_fma_f64 v[6:7], v[46:47], 2.0, v[6:7]
	;; [unrolled: 1-line block ×3, first 2 shown]
	v_fma_f64 v[6:7], v[44:45], s[0:1], v[8:9]
	v_fma_f64 v[8:9], v[48:49], s[0:1], v[8:9]
	v_add_f64 v[6:7], v[42:43], v[6:7]
	v_fma_f64 v[8:9], v[44:45], s[0:1], v[8:9]
	s_mov_b32 s0, 0
	s_mov_b32 s1, 0x40040000
	v_fma_f64 v[6:7], v[40:41], 0.5, v[6:7]
	v_add_f64 v[8:9], v[42:43], v[8:9]
	v_add_f64 v[6:7], v[38:39], v[6:7]
	v_fma_f64 v[8:9], v[40:41], 0.5, v[8:9]
	v_fma_f64 v[0:1], v[59:60], 2.0, v[6:7]
	buffer_store_dword v0, off, s[88:91], 0 offset:8 ; 4-byte Folded Spill
	s_nop 0
	buffer_store_dword v1, off, s[88:91], 0 offset:12 ; 4-byte Folded Spill
	v_add_f64 v[6:7], v[20:21], -v[48:49]
	v_fma_f64 v[8:9], v[38:39], s[0:1], v[8:9]
	s_mul_i32 s0, s33, 0xffffffef
	v_add_u32_e32 v14, s0, v14
	v_add_f64 v[6:7], v[6:7], -v[44:45]
	v_fma_f64 v[8:9], v[59:60], 2.0, v[8:9]
	v_fma_f64 v[8:9], v[46:47], 2.0, v[8:9]
	v_fma_f64 v[12:13], v[46:47], 2.0, v[0:1]
	v_fma_f64 v[0:1], v[32:33], s[84:85], v[20:21]
	s_mov_b32 s85, 0x3fea6666
	v_fma_f64 v[12:13], v[56:57], 2.0, v[12:13]
	v_fma_f64 v[0:1], v[44:45], s[82:83], v[0:1]
	s_mov_b32 s83, 0x4004cccc
	v_add_f64 v[0:1], v[42:43], v[0:1]
	v_fma_f64 v[42:43], v[56:57], 2.0, v[8:9]
	v_lshlrev_b64 v[8:9], 3, v[14:15]
	v_lshl_add_u32 v14, s33, 2, v14
	v_fma_f64 v[0:1], v[40:41], s[2:3], v[0:1]
	s_mov_b32 s2, 0
	s_mov_b32 s3, 0xbfd00000
	v_fma_f64 v[6:7], v[40:41], s[2:3], v[6:7]
	s_mov_b32 s2, 0x6a5dcb37
	s_mov_b32 s3, 0x3e5ade15
	v_fma_f64 v[0:1], v[38:39], s[82:83], v[0:1]
	s_mov_b32 s83, 0x3fdccccc
	v_fma_f64 v[6:7], v[38:39], 0.5, v[6:7]
	v_fma_f64 v[0:1], v[59:60], 2.0, v[0:1]
	;; [unrolled: 1-line block ×4, first 2 shown]
	v_add_f64 v[6:7], v[6:7], -v[61:62]
	v_fma_f64 v[0:1], v[56:57], 2.0, v[0:1]
	v_fma_f64 v[6:7], v[46:47], 2.0, v[6:7]
	v_add_co_u32_e32 v46, vcc, s12, v8
	v_fma_f64 v[6:7], v[56:57], 2.0, v[6:7]
	v_mov_b32_e32 v57, s13
	v_addc_co_u32_e32 v47, vcc, v57, v9, vcc
	global_load_dwordx2 v[59:60], v[46:47], off
	v_mov_b32_e32 v56, s15
	s_mul_i32 s13, s33, 5
	s_waitcnt vmcnt(0)
	v_mul_f64 v[59:60], v[2:3], v[59:60]
	v_mul_f64 v[59:60], v[59:60], v[18:19]
	;; [unrolled: 1-line block ×3, first 2 shown]
	global_store_dwordx2 v[46:47], v[59:60], off
	v_add_co_u32_e32 v46, vcc, s14, v8
	v_addc_co_u32_e32 v47, vcc, v56, v9, vcc
	global_load_dwordx2 v[59:60], v[46:47], off
	s_waitcnt vmcnt(0)
	v_mul_f64 v[2:3], v[2:3], v[59:60]
	v_mul_f64 v[2:3], v[32:33], v[2:3]
	v_lshlrev_b64 v[32:33], 3, v[14:15]
	global_store_dwordx2 v[46:47], v[2:3], off
	v_add_co_u32_e32 v2, vcc, s12, v32
	v_addc_co_u32_e32 v3, vcc, v57, v33, vcc
	global_load_dwordx2 v[46:47], v[2:3], off
	v_add_co_u32_e32 v8, vcc, s10, v8
	v_addc_co_u32_e32 v9, vcc, v58, v9, vcc
	global_load_dwordx2 v[8:9], v[8:9], off
	s_waitcnt vmcnt(1)
	v_mul_f64 v[46:47], v[4:5], v[46:47]
	v_mul_f64 v[46:47], v[18:19], v[46:47]
	s_waitcnt vmcnt(0)
	v_mul_f64 v[46:47], v[8:9], v[46:47]
	global_store_dwordx2 v[2:3], v[46:47], off
	v_add_co_u32_e32 v2, vcc, s14, v32
	v_addc_co_u32_e32 v3, vcc, v56, v33, vcc
	global_load_dwordx2 v[46:47], v[2:3], off
	s_waitcnt vmcnt(0)
	v_mul_f64 v[4:5], v[4:5], v[46:47]
	v_mad_u64_u32 v[46:47], s[0:1], s33, -6, v[14:15]
	v_mov_b32_e32 v47, v15
	v_mul_f64 v[4:5], v[44:45], v[4:5]
	v_lshlrev_b64 v[44:45], 3, v[46:47]
	global_store_dwordx2 v[2:3], v[4:5], off
	v_add_co_u32_e32 v2, vcc, s12, v52
	v_addc_co_u32_e32 v3, vcc, v57, v53, vcc
	global_load_dwordx2 v[4:5], v[2:3], off
	v_add_co_u32_e32 v44, vcc, s10, v44
	v_addc_co_u32_e32 v45, vcc, v58, v45, vcc
	global_load_dwordx2 v[44:45], v[44:45], off
	s_waitcnt vmcnt(1)
	v_mul_f64 v[4:5], v[12:13], v[4:5]
	s_waitcnt vmcnt(0)
	v_mul_f64 v[4:5], v[4:5], v[44:45]
	v_mul_f64 v[4:5], v[18:19], v[4:5]
	global_store_dwordx2 v[2:3], v[4:5], off
	v_add_co_u32_e32 v2, vcc, s14, v52
	v_addc_co_u32_e32 v3, vcc, v56, v53, vcc
	global_load_dwordx2 v[4:5], v[2:3], off
	v_mov_b32_e32 v52, s17
	s_waitcnt vmcnt(0)
	v_mul_f64 v[4:5], v[12:13], v[4:5]
	v_mul_f64 v[4:5], v[8:9], v[4:5]
	global_store_dwordx2 v[2:3], v[4:5], off
	v_add_co_u32_e32 v2, vcc, s12, v54
	v_addc_co_u32_e32 v3, vcc, v57, v55, vcc
	global_load_dwordx2 v[4:5], v[2:3], off
	s_waitcnt vmcnt(0)
	v_mul_f64 v[4:5], v[0:1], v[4:5]
	v_mul_f64 v[4:5], v[44:45], v[4:5]
	;; [unrolled: 1-line block ×3, first 2 shown]
	global_store_dwordx2 v[2:3], v[4:5], off
	v_add_co_u32_e32 v2, vcc, s14, v54
	v_addc_co_u32_e32 v3, vcc, v56, v55, vcc
	global_load_dwordx2 v[4:5], v[2:3], off
	v_mov_b32_e32 v54, v25
	v_mov_b32_e32 v53, v24
	s_waitcnt vmcnt(0)
	v_mul_f64 v[0:1], v[0:1], v[4:5]
	v_mul_f64 v[0:1], v[48:49], v[0:1]
	global_store_dwordx2 v[2:3], v[0:1], off
	v_add_co_u32_e32 v0, vcc, s12, v50
	v_addc_co_u32_e32 v1, vcc, v57, v51, vcc
	global_load_dwordx2 v[2:3], v[0:1], off
	v_add_co_u32_e32 v47, vcc, s14, v50
	s_waitcnt vmcnt(0)
	v_mul_f64 v[2:3], v[6:7], v[2:3]
	v_mul_f64 v[2:3], v[18:19], v[2:3]
	;; [unrolled: 1-line block ×3, first 2 shown]
	v_addc_co_u32_e32 v48, vcc, v56, v51, vcc
	v_mov_b32_e32 v51, 0x7ff00000
	global_store_dwordx2 v[0:1], v[2:3], off
	global_load_dwordx2 v[0:1], v[47:48], off
	s_waitcnt vmcnt(0)
	v_mul_f64 v[49:50], v[6:7], v[0:1]
	global_load_dwordx2 v[0:1], v[36:37], off
	s_waitcnt vmcnt(0)
	v_mul_f64 v[0:1], v[49:50], v[0:1]
	global_store_dwordx2 v[47:48], v[0:1], off
	v_mad_u64_u32 v[0:1], s[0:1], s33, 26, v[46:47]
	v_mov_b32_e32 v1, v15
	v_lshlrev_b64 v[1:2], 3, v[0:1]
	v_add_co_u32_e32 v3, vcc, s12, v1
	v_addc_co_u32_e32 v4, vcc, v57, v2, vcc
	global_load_dwordx2 v[5:6], v[3:4], off
	v_add_co_u32_e32 v1, vcc, s14, v1
	v_addc_co_u32_e32 v2, vcc, v56, v2, vcc
	v_mad_u64_u32 v[36:37], s[0:1], s33, 17, v[0:1]
	v_mov_b32_e32 v37, v15
	s_mul_i32 s0, s33, 0x4b
	v_add_u32_e32 v14, s0, v36
	s_waitcnt vmcnt(0)
	v_mul_f64 v[5:6], v[42:43], v[5:6]
	v_mul_f64 v[5:6], v[40:41], v[5:6]
	v_mul_f64 v[5:6], v[44:45], v[5:6]
	global_store_dwordx2 v[3:4], v[5:6], off
	global_load_dwordx2 v[3:4], v[1:2], off
	s_waitcnt vmcnt(0)
	v_mul_f64 v[3:4], v[42:43], v[3:4]
	v_mul_f64 v[3:4], v[38:39], v[3:4]
	global_store_dwordx2 v[1:2], v[3:4], off
	v_lshlrev_b64 v[0:1], 3, v[36:37]
	v_add_co_u32_e32 v2, vcc, s12, v0
	v_addc_co_u32_e32 v3, vcc, v57, v1, vcc
	v_add_co_u32_e32 v37, vcc, s14, v0
	v_addc_co_u32_e32 v38, vcc, v56, v1, vcc
	global_load_dwordx2 v[0:1], v[37:38], off
	global_load_dwordx2 v[4:5], v[2:3], off
	s_waitcnt vmcnt(1)
	v_mul_f64 v[39:40], v[12:13], v[0:1]
	global_load_dwordx2 v[0:1], v[34:35], off
	s_waitcnt vmcnt(1)
	v_mul_f64 v[4:5], v[12:13], v[4:5]
	global_store_dwordx2 v[2:3], v[4:5], off
	global_load_dwordx2 v[4:5], v[10:11], off
	s_waitcnt vmcnt(2)
	v_mul_f64 v[0:1], v[39:40], v[0:1]
	v_mul_f64 v[0:1], v[0:1], v[18:19]
	v_lshlrev_b64 v[18:19], 3, v[14:15]
	v_add_u32_e32 v14, s13, v14
	v_add_co_u32_e32 v34, vcc, s12, v18
	v_addc_co_u32_e32 v35, vcc, v57, v19, vcc
	v_add_co_u32_e32 v2, vcc, s10, v32
	global_store_dwordx2 v[37:38], v[0:1], off
	global_load_dwordx2 v[0:1], v[34:35], off
	v_addc_co_u32_e32 v3, vcc, v58, v33, vcc
	global_load_dwordx2 v[2:3], v[2:3], off
	v_lshlrev_b64 v[32:33], 3, v[14:15]
	s_mov_b32 s10, 0x1852b7b0
	s_mov_b32 s11, 0x3f56c16c
	s_waitcnt vmcnt(1)
	v_mul_f64 v[36:37], v[20:21], v[0:1]
	global_load_dwordx2 v[0:1], v[16:17], off
	s_waitcnt vmcnt(0)
	v_mul_f64 v[0:1], v[36:37], v[0:1]
	v_mul_f64 v[0:1], v[0:1], v[2:3]
	global_store_dwordx2 v[34:35], v[0:1], off
	v_add_co_u32_e32 v0, vcc, s14, v18
	v_addc_co_u32_e32 v1, vcc, v56, v19, vcc
	global_load_dwordx2 v[2:3], v[0:1], off
	s_waitcnt vmcnt(0)
	v_mul_f64 v[2:3], v[20:21], v[2:3]
	v_mul_f64 v[2:3], v[2:3], v[4:5]
	global_store_dwordx2 v[0:1], v[2:3], off
	v_add_co_u32_e32 v0, vcc, s16, v22
	v_addc_co_u32_e32 v1, vcc, v52, v23, vcc
	v_add_co_u32_e32 v34, vcc, s12, v32
	v_addc_co_u32_e32 v35, vcc, v57, v33, vcc
	global_load_dwordx2 v[36:37], v[34:35], off
	global_load_dwordx2 v[8:9], v[0:1], off
	s_waitcnt vmcnt(1)
	v_div_scale_f64 v[0:1], s[0:1], v[36:37], v[36:37], 1.0
	v_rcp_f64_e32 v[2:3], v[0:1]
	v_fma_f64 v[4:5], -v[0:1], v[2:3], 1.0
	v_fma_f64 v[2:3], v[2:3], v[4:5], v[2:3]
	v_fma_f64 v[4:5], -v[0:1], v[2:3], 1.0
	v_fma_f64 v[2:3], v[2:3], v[4:5], v[2:3]
	v_div_scale_f64 v[4:5], vcc, 1.0, v[36:37], 1.0
	v_mul_f64 v[6:7], v[4:5], v[2:3]
	v_fma_f64 v[0:1], -v[0:1], v[6:7], v[4:5]
	s_nop 1
	v_div_fmas_f64 v[0:1], v[0:1], v[2:3], v[6:7]
	v_div_fixup_f64 v[0:1], v[0:1], v[36:37], 1.0
	v_mul_f64 v[0:1], v[12:13], v[0:1]
	s_waitcnt vmcnt(0)
	v_mul_f64 v[2:3], v[8:9], v[0:1]
	v_fma_f64 v[0:1], v[8:9], v[0:1], 1.0
	v_div_scale_f64 v[4:5], s[0:1], v[0:1], v[0:1], 1.0
	s_mov_b32 s0, 0x6b47b09a
	s_mov_b32 s1, 0x3fc38538
	v_rcp_f64_e32 v[6:7], v[4:5]
	v_fma_f64 v[8:9], -v[4:5], v[6:7], 1.0
	v_fma_f64 v[6:7], v[6:7], v[8:9], v[6:7]
	v_fma_f64 v[8:9], -v[4:5], v[6:7], 1.0
	v_fma_f64 v[6:7], v[6:7], v[8:9], v[6:7]
	v_div_scale_f64 v[8:9], vcc, 1.0, v[0:1], 1.0
	v_mul_f64 v[10:11], v[8:9], v[6:7]
	v_fma_f64 v[4:5], -v[4:5], v[10:11], v[8:9]
	s_nop 1
	v_div_fmas_f64 v[4:5], v[4:5], v[6:7], v[10:11]
	v_div_fixup_f64 v[0:1], v[4:5], v[0:1], 1.0
	v_mul_f64 v[38:39], v[2:3], v[0:1]
	v_max_f64 v[0:1], v[2:3], s[56:57]
	v_frexp_mant_f64_e32 v[2:3], v[0:1]
	v_frexp_exp_i32_f64_e32 v4, v[0:1]
	v_cmp_gt_f64_e32 vcc, s[54:55], v[2:3]
	v_cndmask_b32_e64 v5, 0, 1, vcc
	v_ldexp_f64 v[2:3], v[2:3], v5
	v_subbrev_co_u32_e32 v20, vcc, 0, v4, vcc
	v_cmp_neq_f64_e32 vcc, s[30:31], v[0:1]
	v_add_f64 v[6:7], v[2:3], 1.0
	v_add_f64 v[4:5], v[2:3], -1.0
	v_add_f64 v[8:9], v[6:7], -1.0
	v_add_f64 v[2:3], v[2:3], -v[8:9]
	v_rcp_f64_e32 v[8:9], v[6:7]
	v_fma_f64 v[10:11], -v[6:7], v[8:9], 1.0
	v_fma_f64 v[8:9], v[10:11], v[8:9], v[8:9]
	v_fma_f64 v[10:11], -v[6:7], v[8:9], 1.0
	v_fma_f64 v[8:9], v[10:11], v[8:9], v[8:9]
	v_mul_f64 v[10:11], v[4:5], v[8:9]
	v_mul_f64 v[16:17], v[6:7], v[10:11]
	v_fma_f64 v[6:7], v[10:11], v[6:7], -v[16:17]
	v_fma_f64 v[2:3], v[10:11], v[2:3], v[6:7]
	v_add_f64 v[6:7], v[16:17], v[2:3]
	v_add_f64 v[18:19], v[4:5], -v[6:7]
	v_add_f64 v[16:17], v[6:7], -v[16:17]
	;; [unrolled: 1-line block ×5, first 2 shown]
	v_add_f64 v[2:3], v[2:3], v[4:5]
	v_add_f64 v[2:3], v[18:19], v[2:3]
	v_mul_f64 v[2:3], v[8:9], v[2:3]
	v_add_f64 v[4:5], v[10:11], v[2:3]
	v_add_f64 v[6:7], v[4:5], -v[10:11]
	v_mov_b32_e32 v11, s1
	v_mov_b32_e32 v10, s0
	v_ldexp_f64 v[16:17], v[4:5], 1
	s_mov_b32 s0, 0x7cecf427
	s_mov_b32 s1, 0xbf43323d
	v_mul_f64 v[0:1], v[24:25], s[0:1]
	s_mov_b32 s0, 0xfca7ab0c
	v_add_f64 v[2:3], v[2:3], -v[6:7]
	v_mul_f64 v[6:7], v[4:5], v[4:5]
	s_mov_b32 s1, 0x3e928af3
	v_ldexp_f64 v[2:3], v[2:3], 1
	v_fma_f64 v[8:9], v[6:7], s[42:43], v[10:11]
	v_mul_f64 v[4:5], v[4:5], v[6:7]
	v_fma_f64 v[8:9], v[6:7], v[8:9], s[44:45]
	v_fma_f64 v[8:9], v[6:7], v[8:9], s[46:47]
	;; [unrolled: 1-line block ×5, first 2 shown]
	v_mul_f64 v[4:5], v[4:5], v[8:9]
	v_add_f64 v[6:7], v[16:17], v[4:5]
	v_add_f64 v[8:9], v[6:7], -v[16:17]
	v_add_f64 v[4:5], v[4:5], -v[8:9]
	v_add_f64 v[2:3], v[2:3], v[4:5]
	v_add_f64 v[4:5], v[6:7], v[2:3]
	v_add_f64 v[6:7], v[4:5], -v[6:7]
	v_add_f64 v[2:3], v[2:3], -v[6:7]
	v_cvt_f64_i32_e32 v[6:7], v20
	v_mul_f64 v[8:9], v[6:7], s[38:39]
	v_fma_f64 v[16:17], v[6:7], s[38:39], -v[8:9]
	v_fma_f64 v[6:7], v[6:7], s[40:41], v[16:17]
	v_add_f64 v[16:17], v[8:9], v[6:7]
	v_add_f64 v[8:9], v[16:17], -v[8:9]
	v_add_f64 v[6:7], v[6:7], -v[8:9]
	v_mul_f64 v[8:9], v[4:5], s[36:37]
	v_fma_f64 v[18:19], v[4:5], s[36:37], -v[8:9]
	v_fma_f64 v[2:3], v[2:3], s[36:37], v[18:19]
	v_fma_f64 v[2:3], v[4:5], s[34:35], v[2:3]
	v_add_f64 v[4:5], v[8:9], v[2:3]
	v_add_f64 v[8:9], v[4:5], -v[8:9]
	v_add_f64 v[2:3], v[2:3], -v[8:9]
	v_add_f64 v[8:9], v[16:17], v[4:5]
	v_add_f64 v[18:19], v[8:9], -v[16:17]
	v_add_f64 v[20:21], v[8:9], -v[18:19]
	;; [unrolled: 1-line block ×4, first 2 shown]
	v_add_f64 v[4:5], v[4:5], v[16:17]
	v_add_f64 v[16:17], v[6:7], v[2:3]
	v_add_f64 v[18:19], v[16:17], -v[6:7]
	v_add_f64 v[4:5], v[16:17], v[4:5]
	v_add_f64 v[20:21], v[16:17], -v[18:19]
	v_add_f64 v[2:3], v[2:3], -v[18:19]
	;; [unrolled: 1-line block ×3, first 2 shown]
	v_add_f64 v[2:3], v[2:3], v[6:7]
	v_add_f64 v[6:7], v[8:9], v[4:5]
	v_add_f64 v[8:9], v[6:7], -v[8:9]
	v_add_f64 v[4:5], v[4:5], -v[8:9]
	v_mov_b32_e32 v9, s1
	v_mov_b32_e32 v8, s0
	s_mov_b32 s0, 0xc6a7ef9e
	s_mov_b32 s1, 0x3fe5374b
	v_add_f64 v[2:3], v[2:3], v[4:5]
	v_add_f64 v[2:3], v[6:7], v[2:3]
	v_cndmask_b32_e32 v41, v51, v3, vcc
	v_cndmask_b32_e32 v40, 0, v2, vcc
	v_mul_f64 v[2:3], v[0:1], s[58:59]
	v_cmp_nlt_f64_e32 vcc, s[26:27], v[0:1]
	v_rndne_f64_e32 v[2:3], v[2:3]
	v_fma_f64 v[4:5], v[2:3], s[60:61], v[0:1]
	v_fma_f64 v[4:5], v[2:3], s[62:63], v[4:5]
	v_cvt_i32_f64_e32 v2, v[2:3]
	v_fma_f64 v[6:7], v[4:5], s[2:3], v[8:9]
	v_fma_f64 v[6:7], v[4:5], v[6:7], s[4:5]
	;; [unrolled: 1-line block ×9, first 2 shown]
	v_fma_f64 v[6:7], v[4:5], v[6:7], 1.0
	v_fma_f64 v[4:5], v[4:5], v[6:7], 1.0
	v_ldexp_f64 v[2:3], v[4:5], v2
	v_mul_f64 v[2:3], v[2:3], s[0:1]
	v_cmp_ngt_f64_e64 s[0:1], s[28:29], v[0:1]
	v_cndmask_b32_e32 v3, v51, v3, vcc
	s_and_b64 vcc, s[0:1], vcc
	v_cndmask_b32_e32 v0, 0, v2, vcc
	v_cndmask_b32_e64 v1, 0, v3, s[0:1]
	v_mul_f64 v[2:3], v[24:25], s[80:81]
	s_mov_b32 s0, 0x72b020c5
	s_mov_b32 s1, 0x3fd59168
	;; [unrolled: 1-line block ×3, first 2 shown]
	v_mul_f64 v[4:5], v[2:3], s[58:59]
	v_cmp_nlt_f64_e32 vcc, s[26:27], v[2:3]
	v_rndne_f64_e32 v[4:5], v[4:5]
	v_fma_f64 v[6:7], v[4:5], s[60:61], v[2:3]
	v_fma_f64 v[6:7], v[4:5], s[62:63], v[6:7]
	v_cvt_i32_f64_e32 v4, v[4:5]
	v_fma_f64 v[16:17], v[6:7], s[2:3], v[8:9]
	v_fma_f64 v[16:17], v[6:7], v[16:17], s[4:5]
	;; [unrolled: 1-line block ×9, first 2 shown]
	v_fma_f64 v[16:17], v[6:7], v[16:17], 1.0
	v_fma_f64 v[6:7], v[6:7], v[16:17], 1.0
	v_ldexp_f64 v[4:5], v[6:7], v4
	v_mul_f64 v[4:5], v[4:5], s[0:1]
	v_cmp_ngt_f64_e64 s[0:1], s[28:29], v[2:3]
	v_cndmask_b32_e32 v5, v51, v5, vcc
	s_and_b64 vcc, s[0:1], vcc
	v_cndmask_b32_e32 v2, 0, v4, vcc
	v_cndmask_b32_e64 v3, 0, v5, s[0:1]
	v_add_f64 v[16:17], v[0:1], v[2:3]
	v_div_scale_f64 v[0:1], s[0:1], v[24:25], v[24:25], 1.0
	s_mov_b32 s0, 0
	s_mov_b32 s1, 0xc0b02300
	v_rcp_f64_e32 v[2:3], v[0:1]
	v_fma_f64 v[4:5], -v[0:1], v[2:3], 1.0
	v_fma_f64 v[2:3], v[2:3], v[4:5], v[2:3]
	v_fma_f64 v[4:5], -v[0:1], v[2:3], 1.0
	v_fma_f64 v[2:3], v[2:3], v[4:5], v[2:3]
	v_div_scale_f64 v[4:5], vcc, 1.0, v[24:25], 1.0
	v_mul_f64 v[6:7], v[4:5], v[2:3]
	v_fma_f64 v[0:1], -v[0:1], v[6:7], v[4:5]
	s_nop 1
	v_div_fmas_f64 v[18:19], v[0:1], v[2:3], v[6:7]
	v_div_fixup_f64 v[20:21], v[18:19], v[53:54], 1.0
	v_mul_f64 v[0:1], v[20:21], s[0:1]
	v_mul_f64 v[2:3], v[0:1], s[58:59]
	v_cmp_nlt_f64_e32 vcc, s[26:27], v[0:1]
	v_cmp_ngt_f64_e64 s[0:1], s[28:29], v[0:1]
	v_rndne_f64_e32 v[2:3], v[2:3]
	v_fma_f64 v[4:5], v[2:3], s[60:61], v[0:1]
	v_fma_f64 v[4:5], v[2:3], s[62:63], v[4:5]
	v_cvt_i32_f64_e32 v2, v[2:3]
	v_fma_f64 v[6:7], v[4:5], s[2:3], v[8:9]
	v_fma_f64 v[6:7], v[4:5], v[6:7], s[4:5]
	;; [unrolled: 1-line block ×9, first 2 shown]
	v_fma_f64 v[6:7], v[4:5], v[6:7], 1.0
	v_fma_f64 v[4:5], v[4:5], v[6:7], 1.0
	v_ldexp_f64 v[2:3], v[4:5], v2
	v_cndmask_b32_e32 v3, v51, v3, vcc
	s_and_b64 vcc, s[0:1], vcc
	v_cndmask_b32_e32 v0, 0, v2, vcc
	v_cndmask_b32_e64 v1, 0, v3, s[0:1]
	v_add_f64 v[0:1], v[0:1], v[16:17]
	v_max_f64 v[16:17], v[0:1], s[56:57]
	v_frexp_mant_f64_e32 v[0:1], v[16:17]
	v_frexp_exp_i32_f64_e32 v2, v[16:17]
	v_cmp_gt_f64_e32 vcc, s[54:55], v[0:1]
	v_cndmask_b32_e64 v3, 0, 1, vcc
	v_ldexp_f64 v[0:1], v[0:1], v3
	v_subbrev_co_u32_e32 v44, vcc, 0, v2, vcc
	v_cmp_neq_f64_e32 vcc, s[30:31], v[16:17]
	v_mov_b32_e32 v16, 0
	v_mov_b32_e32 v17, 0x3fe80000
	v_add_f64 v[4:5], v[0:1], 1.0
	v_add_f64 v[2:3], v[0:1], -1.0
	v_add_f64 v[6:7], v[4:5], -1.0
	v_add_f64 v[0:1], v[0:1], -v[6:7]
	v_rcp_f64_e32 v[6:7], v[4:5]
	v_fma_f64 v[18:19], -v[4:5], v[6:7], 1.0
	v_fma_f64 v[6:7], v[18:19], v[6:7], v[6:7]
	v_fma_f64 v[18:19], -v[4:5], v[6:7], 1.0
	v_fma_f64 v[6:7], v[18:19], v[6:7], v[6:7]
	v_mul_f64 v[18:19], v[2:3], v[6:7]
	v_mul_f64 v[22:23], v[4:5], v[18:19]
	v_fma_f64 v[4:5], v[18:19], v[4:5], -v[22:23]
	v_fma_f64 v[0:1], v[18:19], v[0:1], v[4:5]
	v_add_f64 v[4:5], v[22:23], v[0:1]
	v_add_f64 v[42:43], v[2:3], -v[4:5]
	v_add_f64 v[22:23], v[4:5], -v[22:23]
	;; [unrolled: 1-line block ×5, first 2 shown]
	v_add_f64 v[0:1], v[0:1], v[2:3]
	v_add_f64 v[0:1], v[42:43], v[0:1]
	v_mul_f64 v[0:1], v[6:7], v[0:1]
	v_add_f64 v[2:3], v[18:19], v[0:1]
	v_add_f64 v[4:5], v[2:3], -v[18:19]
	v_ldexp_f64 v[18:19], v[2:3], 1
	v_add_f64 v[0:1], v[0:1], -v[4:5]
	v_mul_f64 v[4:5], v[2:3], v[2:3]
	v_ldexp_f64 v[0:1], v[0:1], 1
	v_fma_f64 v[6:7], v[4:5], s[42:43], v[10:11]
	v_mul_f64 v[2:3], v[2:3], v[4:5]
	v_fma_f64 v[6:7], v[4:5], v[6:7], s[44:45]
	v_fma_f64 v[6:7], v[4:5], v[6:7], s[46:47]
	;; [unrolled: 1-line block ×5, first 2 shown]
	v_mul_f64 v[2:3], v[2:3], v[6:7]
	v_add_f64 v[4:5], v[18:19], v[2:3]
	v_add_f64 v[6:7], v[4:5], -v[18:19]
	v_add_f64 v[2:3], v[2:3], -v[6:7]
	v_add_f64 v[0:1], v[0:1], v[2:3]
	v_add_f64 v[18:19], v[4:5], v[0:1]
	v_add_f64 v[2:3], v[18:19], -v[4:5]
	v_add_f64 v[42:43], v[0:1], -v[2:3]
	v_cvt_f64_i32_e32 v[0:1], v44
	v_mul_f64 v[2:3], v[0:1], s[38:39]
	v_fma_f64 v[4:5], v[0:1], s[38:39], -v[2:3]
	v_fma_f64 v[0:1], v[0:1], s[40:41], v[4:5]
	v_add_f64 v[46:47], v[2:3], v[0:1]
	v_add_f64 v[2:3], v[46:47], -v[2:3]
	v_add_f64 v[44:45], v[0:1], -v[2:3]
	v_mul_f64 v[0:1], v[18:19], s[36:37]
	v_fma_f64 v[2:3], v[18:19], s[36:37], -v[0:1]
	v_fma_f64 v[2:3], v[42:43], s[36:37], v[2:3]
	v_fma_f64 v[2:3], v[18:19], s[34:35], v[2:3]
	v_add_f64 v[4:5], v[0:1], v[2:3]
	v_add_f64 v[0:1], v[4:5], -v[0:1]
	v_add_f64 v[0:1], v[2:3], -v[0:1]
	v_add_f64 v[2:3], v[46:47], v[4:5]
	v_add_f64 v[6:7], v[2:3], -v[46:47]
	v_add_f64 v[18:19], v[2:3], -v[6:7]
	;; [unrolled: 1-line block ×3, first 2 shown]
	v_add_f64 v[6:7], v[44:45], v[0:1]
	v_add_f64 v[18:19], v[46:47], -v[18:19]
	v_add_f64 v[4:5], v[4:5], v[18:19]
	v_add_f64 v[18:19], v[6:7], -v[44:45]
	;; [unrolled: 2-line block ×3, first 2 shown]
	v_add_f64 v[0:1], v[0:1], -v[18:19]
	v_mov_b32_e32 v18, s86
	v_mov_b32_e32 v19, s87
	s_mov_b32 s87, 0x3fe19999
	v_add_f64 v[6:7], v[2:3], v[4:5]
	v_add_f64 v[22:23], v[44:45], -v[22:23]
	v_add_f64 v[2:3], v[6:7], -v[2:3]
	v_add_f64 v[0:1], v[0:1], v[22:23]
	v_add_f64 v[2:3], v[4:5], -v[2:3]
	v_add_f64 v[0:1], v[0:1], v[2:3]
	v_add_f64 v[0:1], v[6:7], v[0:1]
	v_cndmask_b32_e32 v1, v51, v1, vcc
	v_cndmask_b32_e32 v0, 0, v0, vcc
	v_fma_f64 v[4:5], v[0:1], s[76:77], v[18:19]
	v_fma_f64 v[2:3], v[0:1], s[74:75], v[16:17]
	v_add_f64 v[4:5], v[40:41], -v[4:5]
	v_fma_f64 v[2:3], v[4:5], s[78:79], v[2:3]
	v_div_scale_f64 v[6:7], s[0:1], v[2:3], v[2:3], 1.0
	v_rcp_f64_e32 v[22:23], v[6:7]
	v_fma_f64 v[40:41], -v[6:7], v[22:23], 1.0
	v_fma_f64 v[22:23], v[22:23], v[40:41], v[22:23]
	v_fma_f64 v[40:41], -v[6:7], v[22:23], 1.0
	v_fma_f64 v[22:23], v[22:23], v[40:41], v[22:23]
	v_div_scale_f64 v[40:41], vcc, 1.0, v[2:3], 1.0
	v_mul_f64 v[42:43], v[40:41], v[22:23]
	v_fma_f64 v[6:7], -v[6:7], v[42:43], v[40:41]
	s_nop 1
	v_div_fmas_f64 v[6:7], v[6:7], v[22:23], v[42:43]
	v_div_fixup_f64 v[2:3], v[6:7], v[2:3], 1.0
	v_mul_f64 v[2:3], v[4:5], v[2:3]
	v_fma_f64 v[2:3], v[2:3], v[2:3], 1.0
	v_div_scale_f64 v[4:5], s[0:1], v[2:3], v[2:3], 1.0
	v_rcp_f64_e32 v[6:7], v[4:5]
	v_fma_f64 v[22:23], -v[4:5], v[6:7], 1.0
	v_fma_f64 v[6:7], v[6:7], v[22:23], v[6:7]
	v_fma_f64 v[22:23], -v[4:5], v[6:7], 1.0
	v_fma_f64 v[6:7], v[6:7], v[22:23], v[6:7]
	v_div_scale_f64 v[22:23], vcc, 1.0, v[2:3], 1.0
	v_mul_f64 v[40:41], v[22:23], v[6:7]
	v_fma_f64 v[4:5], -v[4:5], v[40:41], v[22:23]
	s_nop 1
	v_div_fmas_f64 v[4:5], v[4:5], v[6:7], v[40:41]
	v_div_fixup_f64 v[2:3], v[4:5], v[2:3], 1.0
	v_mul_f64 v[0:1], v[0:1], v[2:3]
	v_mul_f64 v[2:3], v[0:1], s[64:65]
	v_cmp_nlt_f64_e32 vcc, s[26:27], v[0:1]
	v_cmp_ngt_f64_e64 s[0:1], s[28:29], v[0:1]
	v_rndne_f64_e32 v[2:3], v[2:3]
	v_fma_f64 v[4:5], v[2:3], s[66:67], v[0:1]
	v_fma_f64 v[4:5], v[2:3], s[68:69], v[4:5]
	v_cvt_i32_f64_e32 v2, v[2:3]
	v_mul_f64 v[6:7], v[4:5], s[70:71]
	v_fma_f64 v[4:5], v[4:5], s[72:73], v[6:7]
	v_fma_f64 v[6:7], v[4:5], s[2:3], v[8:9]
	v_fma_f64 v[6:7], v[4:5], v[6:7], s[4:5]
	v_fma_f64 v[6:7], v[4:5], v[6:7], s[6:7]
	v_fma_f64 v[6:7], v[4:5], v[6:7], s[8:9]
	v_fma_f64 v[6:7], v[4:5], v[6:7], s[10:11]
	v_fma_f64 v[6:7], v[4:5], v[6:7], s[18:19]
	v_fma_f64 v[6:7], v[4:5], v[6:7], s[20:21]
	v_fma_f64 v[6:7], v[4:5], v[6:7], s[22:23]
	v_fma_f64 v[6:7], v[4:5], v[6:7], s[24:25]
	v_fma_f64 v[6:7], v[4:5], v[6:7], 1.0
	v_fma_f64 v[4:5], v[4:5], v[6:7], 1.0
	v_ldexp_f64 v[2:3], v[4:5], v2
	v_cndmask_b32_e32 v3, v51, v3, vcc
	s_and_b64 vcc, s[0:1], vcc
	v_cndmask_b32_e32 v0, 0, v2, vcc
	v_cndmask_b32_e64 v1, 0, v3, s[0:1]
	v_mul_f64 v[0:1], v[38:39], v[0:1]
	v_mul_f64 v[2:3], v[36:37], v[0:1]
	global_store_dwordx2 v[34:35], v[2:3], off
	v_add_co_u32_e32 v2, vcc, s14, v32
	v_addc_co_u32_e32 v3, vcc, v56, v33, vcc
	global_load_dwordx2 v[4:5], v[2:3], off
	s_waitcnt vmcnt(0)
	v_mul_f64 v[0:1], v[4:5], v[0:1]
	global_store_dwordx2 v[2:3], v[0:1], off
	v_add_co_u32_e32 v0, vcc, s16, v30
	v_addc_co_u32_e32 v1, vcc, v52, v31, vcc
	v_mad_u64_u32 v[30:31], s[0:1], s33, 6, v[14:15]
	v_mov_b32_e32 v31, v15
	global_load_dwordx2 v[0:1], v[0:1], off
	v_lshlrev_b64 v[31:32], 3, v[30:31]
	v_add_co_u32_e32 v33, vcc, s12, v31
	v_addc_co_u32_e32 v34, vcc, v57, v32, vcc
	global_load_dwordx2 v[35:36], v[33:34], off
	s_waitcnt vmcnt(0)
	v_div_scale_f64 v[2:3], s[0:1], v[35:36], v[35:36], 1.0
	v_rcp_f64_e32 v[4:5], v[2:3]
	v_fma_f64 v[6:7], -v[2:3], v[4:5], 1.0
	v_fma_f64 v[4:5], v[4:5], v[6:7], v[4:5]
	v_fma_f64 v[6:7], -v[2:3], v[4:5], 1.0
	v_fma_f64 v[4:5], v[4:5], v[6:7], v[4:5]
	v_div_scale_f64 v[6:7], vcc, 1.0, v[35:36], 1.0
	v_mul_f64 v[22:23], v[6:7], v[4:5]
	v_fma_f64 v[2:3], -v[2:3], v[22:23], v[6:7]
	s_nop 1
	v_div_fmas_f64 v[2:3], v[2:3], v[4:5], v[22:23]
	v_div_fixup_f64 v[2:3], v[2:3], v[35:36], 1.0
	v_mul_f64 v[2:3], v[12:13], v[2:3]
	v_mul_f64 v[4:5], v[0:1], v[2:3]
	v_fma_f64 v[0:1], v[0:1], v[2:3], 1.0
	v_div_scale_f64 v[2:3], s[0:1], v[0:1], v[0:1], 1.0
	s_mov_b32 s0, 0xd9232955
	s_mov_b32 s1, 0xbf73bd60
	v_rcp_f64_e32 v[6:7], v[2:3]
	v_fma_f64 v[22:23], -v[2:3], v[6:7], 1.0
	v_fma_f64 v[6:7], v[6:7], v[22:23], v[6:7]
	v_fma_f64 v[22:23], -v[2:3], v[6:7], 1.0
	v_fma_f64 v[6:7], v[6:7], v[22:23], v[6:7]
	v_div_scale_f64 v[22:23], vcc, 1.0, v[0:1], 1.0
	v_mul_f64 v[37:38], v[22:23], v[6:7]
	v_fma_f64 v[2:3], -v[2:3], v[37:38], v[22:23]
	s_nop 1
	v_div_fmas_f64 v[2:3], v[2:3], v[6:7], v[37:38]
	v_div_fixup_f64 v[0:1], v[2:3], v[0:1], 1.0
	v_mul_f64 v[37:38], v[4:5], v[0:1]
	v_max_f64 v[0:1], v[4:5], s[56:57]
	v_frexp_mant_f64_e32 v[2:3], v[0:1]
	v_frexp_exp_i32_f64_e32 v4, v[0:1]
	v_cmp_gt_f64_e32 vcc, s[54:55], v[2:3]
	v_cndmask_b32_e64 v5, 0, 1, vcc
	v_ldexp_f64 v[2:3], v[2:3], v5
	v_subbrev_co_u32_e32 v14, vcc, 0, v4, vcc
	v_cmp_neq_f64_e32 vcc, s[30:31], v[0:1]
	v_mul_f64 v[0:1], v[53:54], s[0:1]
	s_mov_b32 s0, 0x8b439581
	s_mov_b32 s1, 0x3fcbe76c
	v_add_f64 v[6:7], v[2:3], 1.0
	v_add_f64 v[4:5], v[2:3], -1.0
	v_add_f64 v[22:23], v[6:7], -1.0
	v_add_f64 v[2:3], v[2:3], -v[22:23]
	v_rcp_f64_e32 v[22:23], v[6:7]
	v_fma_f64 v[39:40], -v[6:7], v[22:23], 1.0
	v_fma_f64 v[22:23], v[39:40], v[22:23], v[22:23]
	v_fma_f64 v[39:40], -v[6:7], v[22:23], 1.0
	v_fma_f64 v[22:23], v[39:40], v[22:23], v[22:23]
	v_mul_f64 v[39:40], v[4:5], v[22:23]
	v_mul_f64 v[41:42], v[6:7], v[39:40]
	v_fma_f64 v[6:7], v[39:40], v[6:7], -v[41:42]
	v_fma_f64 v[2:3], v[39:40], v[2:3], v[6:7]
	v_add_f64 v[6:7], v[41:42], v[2:3]
	v_add_f64 v[43:44], v[4:5], -v[6:7]
	v_add_f64 v[41:42], v[6:7], -v[41:42]
	;; [unrolled: 1-line block ×5, first 2 shown]
	v_add_f64 v[2:3], v[2:3], v[4:5]
	v_add_f64 v[2:3], v[43:44], v[2:3]
	v_mul_f64 v[2:3], v[22:23], v[2:3]
	v_add_f64 v[4:5], v[39:40], v[2:3]
	v_add_f64 v[6:7], v[4:5], -v[39:40]
	v_ldexp_f64 v[39:40], v[4:5], 1
	v_add_f64 v[2:3], v[2:3], -v[6:7]
	v_mul_f64 v[6:7], v[4:5], v[4:5]
	v_ldexp_f64 v[2:3], v[2:3], 1
	v_fma_f64 v[22:23], v[6:7], s[42:43], v[10:11]
	v_mul_f64 v[4:5], v[4:5], v[6:7]
	v_fma_f64 v[22:23], v[6:7], v[22:23], s[44:45]
	v_fma_f64 v[22:23], v[6:7], v[22:23], s[46:47]
	;; [unrolled: 1-line block ×5, first 2 shown]
	v_mul_f64 v[4:5], v[4:5], v[22:23]
	v_add_f64 v[6:7], v[39:40], v[4:5]
	v_add_f64 v[22:23], v[6:7], -v[39:40]
	v_add_f64 v[4:5], v[4:5], -v[22:23]
	v_add_f64 v[2:3], v[2:3], v[4:5]
	v_add_f64 v[4:5], v[6:7], v[2:3]
	v_add_f64 v[6:7], v[4:5], -v[6:7]
	v_add_f64 v[2:3], v[2:3], -v[6:7]
	v_cvt_f64_i32_e32 v[6:7], v14
	v_mul_f64 v[22:23], v[6:7], s[38:39]
	v_fma_f64 v[39:40], v[6:7], s[38:39], -v[22:23]
	v_fma_f64 v[6:7], v[6:7], s[40:41], v[39:40]
	v_add_f64 v[39:40], v[22:23], v[6:7]
	v_add_f64 v[22:23], v[39:40], -v[22:23]
	v_add_f64 v[6:7], v[6:7], -v[22:23]
	v_mul_f64 v[22:23], v[4:5], s[36:37]
	v_fma_f64 v[41:42], v[4:5], s[36:37], -v[22:23]
	v_fma_f64 v[2:3], v[2:3], s[36:37], v[41:42]
	v_fma_f64 v[2:3], v[4:5], s[34:35], v[2:3]
	v_add_f64 v[4:5], v[22:23], v[2:3]
	v_add_f64 v[22:23], v[4:5], -v[22:23]
	v_add_f64 v[2:3], v[2:3], -v[22:23]
	v_add_f64 v[22:23], v[39:40], v[4:5]
	v_add_f64 v[41:42], v[22:23], -v[39:40]
	v_add_f64 v[43:44], v[22:23], -v[41:42]
	;; [unrolled: 1-line block ×4, first 2 shown]
	v_add_f64 v[4:5], v[4:5], v[39:40]
	v_add_f64 v[39:40], v[6:7], v[2:3]
	v_add_f64 v[41:42], v[39:40], -v[6:7]
	v_add_f64 v[4:5], v[39:40], v[4:5]
	v_add_f64 v[43:44], v[39:40], -v[41:42]
	v_add_f64 v[2:3], v[2:3], -v[41:42]
	;; [unrolled: 1-line block ×3, first 2 shown]
	v_add_f64 v[2:3], v[2:3], v[6:7]
	v_add_f64 v[6:7], v[22:23], v[4:5]
	v_add_f64 v[22:23], v[6:7], -v[22:23]
	v_add_f64 v[4:5], v[4:5], -v[22:23]
	v_add_f64 v[2:3], v[2:3], v[4:5]
	v_add_f64 v[2:3], v[6:7], v[2:3]
	v_cndmask_b32_e32 v40, v51, v3, vcc
	v_cndmask_b32_e32 v39, 0, v2, vcc
	v_mul_f64 v[2:3], v[0:1], s[58:59]
	v_cmp_nlt_f64_e32 vcc, s[26:27], v[0:1]
	v_rndne_f64_e32 v[2:3], v[2:3]
	v_fma_f64 v[4:5], v[2:3], s[60:61], v[0:1]
	v_fma_f64 v[4:5], v[2:3], s[62:63], v[4:5]
	v_cvt_i32_f64_e32 v2, v[2:3]
	v_fma_f64 v[6:7], v[4:5], s[2:3], v[8:9]
	v_fma_f64 v[6:7], v[4:5], v[6:7], s[4:5]
	;; [unrolled: 1-line block ×9, first 2 shown]
	v_fma_f64 v[6:7], v[4:5], v[6:7], 1.0
	v_fma_f64 v[4:5], v[4:5], v[6:7], 1.0
	v_ldexp_f64 v[2:3], v[4:5], v2
	v_mul_f64 v[2:3], v[2:3], s[0:1]
	v_cmp_ngt_f64_e64 s[0:1], s[28:29], v[0:1]
	v_cndmask_b32_e32 v3, v51, v3, vcc
	s_and_b64 vcc, s[0:1], vcc
	v_cndmask_b32_e64 v42, 0, v3, s[0:1]
	s_mov_b32 s0, 0x60b57f60
	s_mov_b32 s1, 0xbf389c1e
	v_mul_f64 v[0:1], v[53:54], s[0:1]
	v_cndmask_b32_e32 v41, 0, v2, vcc
	s_mov_b32 s0, 0xdd2f1aa0
	s_mov_b32 s1, 0x3fe90624
	v_mul_f64 v[2:3], v[0:1], s[58:59]
	v_cmp_nlt_f64_e32 vcc, s[26:27], v[0:1]
	v_rndne_f64_e32 v[2:3], v[2:3]
	v_fma_f64 v[4:5], v[2:3], s[60:61], v[0:1]
	v_fma_f64 v[4:5], v[2:3], s[62:63], v[4:5]
	v_cvt_i32_f64_e32 v2, v[2:3]
	v_fma_f64 v[6:7], v[4:5], s[2:3], v[8:9]
	v_fma_f64 v[6:7], v[4:5], v[6:7], s[4:5]
	;; [unrolled: 1-line block ×9, first 2 shown]
	v_fma_f64 v[6:7], v[4:5], v[6:7], 1.0
	v_fma_f64 v[4:5], v[4:5], v[6:7], 1.0
	v_ldexp_f64 v[2:3], v[4:5], v2
	v_mul_f64 v[2:3], v[2:3], s[0:1]
	v_cmp_ngt_f64_e64 s[0:1], s[28:29], v[0:1]
	v_cndmask_b32_e32 v3, v51, v3, vcc
	s_and_b64 vcc, s[0:1], vcc
	v_cndmask_b32_e64 v1, 0, v3, s[0:1]
	s_mov_b32 s0, 0
	s_mov_b32 s1, 0xc0b7cf00
	v_cndmask_b32_e32 v0, 0, v2, vcc
	v_mul_f64 v[2:3], v[20:21], s[0:1]
	v_add_f64 v[0:1], v[41:42], v[0:1]
	v_mul_f64 v[4:5], v[2:3], s[58:59]
	v_cmp_nlt_f64_e32 vcc, s[26:27], v[2:3]
	v_cmp_ngt_f64_e64 s[0:1], s[28:29], v[2:3]
	v_rndne_f64_e32 v[4:5], v[4:5]
	v_fma_f64 v[6:7], v[4:5], s[60:61], v[2:3]
	v_fma_f64 v[6:7], v[4:5], s[62:63], v[6:7]
	v_cvt_i32_f64_e32 v4, v[4:5]
	v_fma_f64 v[22:23], v[6:7], s[2:3], v[8:9]
	v_fma_f64 v[22:23], v[6:7], v[22:23], s[4:5]
	v_fma_f64 v[22:23], v[6:7], v[22:23], s[6:7]
	v_fma_f64 v[22:23], v[6:7], v[22:23], s[8:9]
	v_fma_f64 v[22:23], v[6:7], v[22:23], s[10:11]
	v_fma_f64 v[22:23], v[6:7], v[22:23], s[18:19]
	v_fma_f64 v[22:23], v[6:7], v[22:23], s[20:21]
	v_fma_f64 v[22:23], v[6:7], v[22:23], s[22:23]
	v_fma_f64 v[22:23], v[6:7], v[22:23], s[24:25]
	v_fma_f64 v[22:23], v[6:7], v[22:23], 1.0
	v_fma_f64 v[6:7], v[6:7], v[22:23], 1.0
	v_ldexp_f64 v[4:5], v[6:7], v4
	v_cndmask_b32_e32 v5, v51, v5, vcc
	s_and_b64 vcc, s[0:1], vcc
	v_cndmask_b32_e32 v2, 0, v4, vcc
	v_cndmask_b32_e64 v3, 0, v5, s[0:1]
	v_add_f64 v[0:1], v[2:3], v[0:1]
	v_max_f64 v[41:42], v[0:1], s[56:57]
	v_frexp_mant_f64_e32 v[0:1], v[41:42]
	v_frexp_exp_i32_f64_e32 v2, v[41:42]
	v_cmp_gt_f64_e32 vcc, s[54:55], v[0:1]
	v_cndmask_b32_e64 v3, 0, 1, vcc
	v_ldexp_f64 v[0:1], v[0:1], v3
	v_subbrev_co_u32_e32 v14, vcc, 0, v2, vcc
	v_cmp_neq_f64_e32 vcc, s[30:31], v[41:42]
	v_add_f64 v[4:5], v[0:1], 1.0
	v_add_f64 v[2:3], v[0:1], -1.0
	v_add_f64 v[6:7], v[4:5], -1.0
	v_add_f64 v[0:1], v[0:1], -v[6:7]
	v_rcp_f64_e32 v[6:7], v[4:5]
	v_fma_f64 v[22:23], -v[4:5], v[6:7], 1.0
	v_fma_f64 v[6:7], v[22:23], v[6:7], v[6:7]
	v_fma_f64 v[22:23], -v[4:5], v[6:7], 1.0
	v_fma_f64 v[6:7], v[22:23], v[6:7], v[6:7]
	v_mul_f64 v[22:23], v[2:3], v[6:7]
	v_mul_f64 v[43:44], v[4:5], v[22:23]
	v_fma_f64 v[4:5], v[22:23], v[4:5], -v[43:44]
	v_fma_f64 v[0:1], v[22:23], v[0:1], v[4:5]
	v_add_f64 v[4:5], v[43:44], v[0:1]
	v_add_f64 v[45:46], v[2:3], -v[4:5]
	v_add_f64 v[43:44], v[4:5], -v[43:44]
	;; [unrolled: 1-line block ×5, first 2 shown]
	v_add_f64 v[0:1], v[0:1], v[2:3]
	v_add_f64 v[0:1], v[45:46], v[0:1]
	v_mul_f64 v[0:1], v[6:7], v[0:1]
	v_add_f64 v[2:3], v[22:23], v[0:1]
	v_add_f64 v[4:5], v[2:3], -v[22:23]
	v_ldexp_f64 v[22:23], v[2:3], 1
	v_add_f64 v[0:1], v[0:1], -v[4:5]
	v_mul_f64 v[4:5], v[2:3], v[2:3]
	v_ldexp_f64 v[0:1], v[0:1], 1
	v_fma_f64 v[6:7], v[4:5], s[42:43], v[10:11]
	v_mul_f64 v[2:3], v[2:3], v[4:5]
	v_fma_f64 v[6:7], v[4:5], v[6:7], s[44:45]
	v_fma_f64 v[6:7], v[4:5], v[6:7], s[46:47]
	;; [unrolled: 1-line block ×5, first 2 shown]
	v_mul_f64 v[2:3], v[2:3], v[6:7]
	v_add_f64 v[4:5], v[22:23], v[2:3]
	v_add_f64 v[6:7], v[4:5], -v[22:23]
	v_add_f64 v[2:3], v[2:3], -v[6:7]
	v_add_f64 v[0:1], v[0:1], v[2:3]
	v_add_f64 v[2:3], v[4:5], v[0:1]
	v_add_f64 v[4:5], v[2:3], -v[4:5]
	v_add_f64 v[0:1], v[0:1], -v[4:5]
	v_cvt_f64_i32_e32 v[4:5], v14
	v_mul_f64 v[6:7], v[4:5], s[38:39]
	v_fma_f64 v[22:23], v[4:5], s[38:39], -v[6:7]
	v_fma_f64 v[4:5], v[4:5], s[40:41], v[22:23]
	v_add_f64 v[22:23], v[6:7], v[4:5]
	v_add_f64 v[6:7], v[22:23], -v[6:7]
	v_add_f64 v[43:44], v[4:5], -v[6:7]
	v_mul_f64 v[4:5], v[2:3], s[36:37]
	v_fma_f64 v[6:7], v[2:3], s[36:37], -v[4:5]
	v_fma_f64 v[0:1], v[0:1], s[36:37], v[6:7]
	v_fma_f64 v[0:1], v[2:3], s[34:35], v[0:1]
	v_add_f64 v[2:3], v[4:5], v[0:1]
	v_add_f64 v[4:5], v[2:3], -v[4:5]
	v_add_f64 v[45:46], v[22:23], v[2:3]
	v_add_f64 v[49:50], v[0:1], -v[4:5]
	v_add_f64 v[0:1], v[45:46], -v[22:23]
	;; [unrolled: 1-line block ×5, first 2 shown]
	v_add_f64 v[47:48], v[0:1], v[4:5]
	v_add_f64 v[0:1], v[43:44], v[49:50]
	v_add_f64 v[2:3], v[0:1], -v[43:44]
	v_add_f64 v[4:5], v[0:1], -v[2:3]
	;; [unrolled: 1-line block ×3, first 2 shown]
	v_add_f64 v[0:1], v[0:1], v[47:48]
	v_add_f64 v[4:5], v[43:44], -v[4:5]
	v_add_f64 v[2:3], v[2:3], v[4:5]
	v_add_f64 v[4:5], v[45:46], v[0:1]
	v_add_f64 v[6:7], v[4:5], -v[45:46]
	v_add_f64 v[0:1], v[0:1], -v[6:7]
	v_add_f64 v[0:1], v[2:3], v[0:1]
	v_add_f64 v[0:1], v[4:5], v[0:1]
	v_cndmask_b32_e32 v1, v51, v1, vcc
	v_cndmask_b32_e32 v0, 0, v0, vcc
	v_fma_f64 v[4:5], v[0:1], s[76:77], v[18:19]
	v_fma_f64 v[2:3], v[0:1], s[74:75], v[16:17]
	v_add_f64 v[4:5], v[39:40], -v[4:5]
	v_fma_f64 v[2:3], v[4:5], s[78:79], v[2:3]
	v_div_scale_f64 v[6:7], s[0:1], v[2:3], v[2:3], 1.0
	v_rcp_f64_e32 v[22:23], v[6:7]
	v_fma_f64 v[39:40], -v[6:7], v[22:23], 1.0
	v_fma_f64 v[22:23], v[22:23], v[39:40], v[22:23]
	v_fma_f64 v[39:40], -v[6:7], v[22:23], 1.0
	v_fma_f64 v[22:23], v[22:23], v[39:40], v[22:23]
	v_div_scale_f64 v[39:40], vcc, 1.0, v[2:3], 1.0
	v_mul_f64 v[41:42], v[39:40], v[22:23]
	v_fma_f64 v[6:7], -v[6:7], v[41:42], v[39:40]
	s_nop 1
	v_div_fmas_f64 v[6:7], v[6:7], v[22:23], v[41:42]
	v_div_fixup_f64 v[2:3], v[6:7], v[2:3], 1.0
	v_mul_f64 v[2:3], v[4:5], v[2:3]
	v_fma_f64 v[2:3], v[2:3], v[2:3], 1.0
	v_div_scale_f64 v[4:5], s[0:1], v[2:3], v[2:3], 1.0
	v_rcp_f64_e32 v[6:7], v[4:5]
	v_fma_f64 v[22:23], -v[4:5], v[6:7], 1.0
	v_fma_f64 v[6:7], v[6:7], v[22:23], v[6:7]
	v_fma_f64 v[22:23], -v[4:5], v[6:7], 1.0
	v_fma_f64 v[6:7], v[6:7], v[22:23], v[6:7]
	v_div_scale_f64 v[22:23], vcc, 1.0, v[2:3], 1.0
	v_mul_f64 v[39:40], v[22:23], v[6:7]
	v_fma_f64 v[4:5], -v[4:5], v[39:40], v[22:23]
	s_nop 1
	v_div_fmas_f64 v[4:5], v[4:5], v[6:7], v[39:40]
	v_div_fixup_f64 v[2:3], v[4:5], v[2:3], 1.0
	v_mul_f64 v[0:1], v[0:1], v[2:3]
	v_mul_f64 v[2:3], v[0:1], s[64:65]
	v_cmp_nlt_f64_e32 vcc, s[26:27], v[0:1]
	v_cmp_ngt_f64_e64 s[0:1], s[28:29], v[0:1]
	v_rndne_f64_e32 v[2:3], v[2:3]
	v_fma_f64 v[4:5], v[2:3], s[66:67], v[0:1]
	v_fma_f64 v[4:5], v[2:3], s[68:69], v[4:5]
	v_cvt_i32_f64_e32 v2, v[2:3]
	v_mul_f64 v[6:7], v[4:5], s[70:71]
	v_fma_f64 v[4:5], v[4:5], s[72:73], v[6:7]
	v_fma_f64 v[6:7], v[4:5], s[2:3], v[8:9]
	v_fma_f64 v[6:7], v[4:5], v[6:7], s[4:5]
	v_fma_f64 v[6:7], v[4:5], v[6:7], s[6:7]
	v_fma_f64 v[6:7], v[4:5], v[6:7], s[8:9]
	v_fma_f64 v[6:7], v[4:5], v[6:7], s[10:11]
	v_fma_f64 v[6:7], v[4:5], v[6:7], s[18:19]
	v_fma_f64 v[6:7], v[4:5], v[6:7], s[20:21]
	v_fma_f64 v[6:7], v[4:5], v[6:7], s[22:23]
	v_fma_f64 v[6:7], v[4:5], v[6:7], s[24:25]
	v_fma_f64 v[6:7], v[4:5], v[6:7], 1.0
	v_fma_f64 v[4:5], v[4:5], v[6:7], 1.0
	v_ldexp_f64 v[2:3], v[4:5], v2
	v_cndmask_b32_e32 v3, v51, v3, vcc
	s_and_b64 vcc, s[0:1], vcc
	v_cndmask_b32_e32 v0, 0, v2, vcc
	v_cndmask_b32_e64 v1, 0, v3, s[0:1]
	v_mul_f64 v[0:1], v[37:38], v[0:1]
	v_mul_f64 v[2:3], v[35:36], v[0:1]
	global_store_dwordx2 v[33:34], v[2:3], off
	v_add_co_u32_e32 v2, vcc, s14, v31
	v_addc_co_u32_e32 v3, vcc, v56, v32, vcc
	global_load_dwordx2 v[4:5], v[2:3], off
	s_waitcnt vmcnt(0)
	v_mul_f64 v[0:1], v[4:5], v[0:1]
	global_store_dwordx2 v[2:3], v[0:1], off
	v_add_co_u32_e32 v0, vcc, s16, v28
	v_addc_co_u32_e32 v1, vcc, v52, v29, vcc
	v_mad_u64_u32 v[28:29], s[0:1], s33, 13, v[30:31]
	v_mov_b32_e32 v29, v15
	global_load_dwordx2 v[0:1], v[0:1], off
	v_lshlrev_b64 v[29:30], 3, v[28:29]
	v_add_co_u32_e32 v31, vcc, s12, v29
	v_addc_co_u32_e32 v32, vcc, v57, v30, vcc
	global_load_dwordx2 v[33:34], v[31:32], off
	s_waitcnt vmcnt(0)
	v_div_scale_f64 v[2:3], s[0:1], v[33:34], v[33:34], 1.0
	v_rcp_f64_e32 v[4:5], v[2:3]
	v_fma_f64 v[6:7], -v[2:3], v[4:5], 1.0
	v_fma_f64 v[4:5], v[4:5], v[6:7], v[4:5]
	v_fma_f64 v[6:7], -v[2:3], v[4:5], 1.0
	v_fma_f64 v[4:5], v[4:5], v[6:7], v[4:5]
	v_div_scale_f64 v[6:7], vcc, 1.0, v[33:34], 1.0
	v_mul_f64 v[22:23], v[6:7], v[4:5]
	v_fma_f64 v[2:3], -v[2:3], v[22:23], v[6:7]
	s_nop 1
	v_div_fmas_f64 v[2:3], v[2:3], v[4:5], v[22:23]
	v_div_fixup_f64 v[2:3], v[2:3], v[33:34], 1.0
	v_mul_f64 v[2:3], v[12:13], v[2:3]
	v_mul_f64 v[4:5], v[0:1], v[2:3]
	v_fma_f64 v[0:1], v[0:1], v[2:3], 1.0
	v_div_scale_f64 v[2:3], s[0:1], v[0:1], v[0:1], 1.0
	s_mov_b32 s0, 0x79fc1abc
	s_mov_b32 s1, 0xbf48715a
	v_rcp_f64_e32 v[6:7], v[2:3]
	v_fma_f64 v[22:23], -v[2:3], v[6:7], 1.0
	v_fma_f64 v[6:7], v[6:7], v[22:23], v[6:7]
	v_fma_f64 v[22:23], -v[2:3], v[6:7], 1.0
	v_fma_f64 v[6:7], v[6:7], v[22:23], v[6:7]
	v_div_scale_f64 v[22:23], vcc, 1.0, v[0:1], 1.0
	v_mul_f64 v[35:36], v[22:23], v[6:7]
	v_fma_f64 v[2:3], -v[2:3], v[35:36], v[22:23]
	s_nop 1
	v_div_fmas_f64 v[2:3], v[2:3], v[6:7], v[35:36]
	v_div_fixup_f64 v[0:1], v[2:3], v[0:1], 1.0
	v_mul_f64 v[35:36], v[4:5], v[0:1]
	v_max_f64 v[0:1], v[4:5], s[56:57]
	v_frexp_mant_f64_e32 v[2:3], v[0:1]
	v_frexp_exp_i32_f64_e32 v4, v[0:1]
	v_cmp_gt_f64_e32 vcc, s[54:55], v[2:3]
	v_cndmask_b32_e64 v5, 0, 1, vcc
	v_ldexp_f64 v[2:3], v[2:3], v5
	v_subbrev_co_u32_e32 v14, vcc, 0, v4, vcc
	v_cmp_neq_f64_e32 vcc, s[30:31], v[0:1]
	v_mul_f64 v[0:1], v[53:54], s[0:1]
	v_add_f64 v[6:7], v[2:3], 1.0
	v_add_f64 v[4:5], v[2:3], -1.0
	v_cmp_ngt_f64_e64 s[0:1], s[28:29], v[0:1]
	v_add_f64 v[22:23], v[6:7], -1.0
	v_add_f64 v[2:3], v[2:3], -v[22:23]
	v_rcp_f64_e32 v[22:23], v[6:7]
	v_fma_f64 v[37:38], -v[6:7], v[22:23], 1.0
	v_fma_f64 v[22:23], v[37:38], v[22:23], v[22:23]
	v_fma_f64 v[37:38], -v[6:7], v[22:23], 1.0
	v_fma_f64 v[22:23], v[37:38], v[22:23], v[22:23]
	v_mul_f64 v[37:38], v[4:5], v[22:23]
	v_mul_f64 v[39:40], v[6:7], v[37:38]
	v_fma_f64 v[6:7], v[37:38], v[6:7], -v[39:40]
	v_fma_f64 v[2:3], v[37:38], v[2:3], v[6:7]
	v_add_f64 v[6:7], v[39:40], v[2:3]
	v_add_f64 v[41:42], v[4:5], -v[6:7]
	v_add_f64 v[39:40], v[6:7], -v[39:40]
	;; [unrolled: 1-line block ×5, first 2 shown]
	v_add_f64 v[2:3], v[2:3], v[4:5]
	v_add_f64 v[2:3], v[41:42], v[2:3]
	v_mul_f64 v[2:3], v[22:23], v[2:3]
	v_add_f64 v[4:5], v[37:38], v[2:3]
	v_add_f64 v[6:7], v[4:5], -v[37:38]
	v_ldexp_f64 v[37:38], v[4:5], 1
	v_add_f64 v[2:3], v[2:3], -v[6:7]
	v_mul_f64 v[6:7], v[4:5], v[4:5]
	v_ldexp_f64 v[2:3], v[2:3], 1
	v_fma_f64 v[22:23], v[6:7], s[42:43], v[10:11]
	v_mul_f64 v[4:5], v[4:5], v[6:7]
	v_fma_f64 v[22:23], v[6:7], v[22:23], s[44:45]
	v_fma_f64 v[22:23], v[6:7], v[22:23], s[46:47]
	;; [unrolled: 1-line block ×5, first 2 shown]
	v_mul_f64 v[4:5], v[4:5], v[22:23]
	v_add_f64 v[6:7], v[37:38], v[4:5]
	v_add_f64 v[22:23], v[6:7], -v[37:38]
	v_add_f64 v[4:5], v[4:5], -v[22:23]
	v_add_f64 v[2:3], v[2:3], v[4:5]
	v_add_f64 v[4:5], v[6:7], v[2:3]
	v_add_f64 v[6:7], v[4:5], -v[6:7]
	v_add_f64 v[2:3], v[2:3], -v[6:7]
	v_cvt_f64_i32_e32 v[6:7], v14
	v_mul_f64 v[22:23], v[6:7], s[38:39]
	v_fma_f64 v[37:38], v[6:7], s[38:39], -v[22:23]
	v_fma_f64 v[6:7], v[6:7], s[40:41], v[37:38]
	v_add_f64 v[37:38], v[22:23], v[6:7]
	v_add_f64 v[22:23], v[37:38], -v[22:23]
	v_add_f64 v[6:7], v[6:7], -v[22:23]
	v_mul_f64 v[22:23], v[4:5], s[36:37]
	v_fma_f64 v[39:40], v[4:5], s[36:37], -v[22:23]
	v_fma_f64 v[2:3], v[2:3], s[36:37], v[39:40]
	v_fma_f64 v[2:3], v[4:5], s[34:35], v[2:3]
	v_add_f64 v[4:5], v[22:23], v[2:3]
	v_add_f64 v[22:23], v[4:5], -v[22:23]
	v_add_f64 v[2:3], v[2:3], -v[22:23]
	v_add_f64 v[22:23], v[37:38], v[4:5]
	v_add_f64 v[39:40], v[22:23], -v[37:38]
	v_add_f64 v[41:42], v[22:23], -v[39:40]
	;; [unrolled: 1-line block ×4, first 2 shown]
	v_add_f64 v[4:5], v[4:5], v[37:38]
	v_add_f64 v[37:38], v[6:7], v[2:3]
	v_add_f64 v[39:40], v[37:38], -v[6:7]
	v_add_f64 v[4:5], v[37:38], v[4:5]
	v_add_f64 v[41:42], v[37:38], -v[39:40]
	v_add_f64 v[2:3], v[2:3], -v[39:40]
	;; [unrolled: 1-line block ×3, first 2 shown]
	v_add_f64 v[2:3], v[2:3], v[6:7]
	v_add_f64 v[6:7], v[22:23], v[4:5]
	v_add_f64 v[22:23], v[6:7], -v[22:23]
	v_add_f64 v[4:5], v[4:5], -v[22:23]
	v_add_f64 v[2:3], v[2:3], v[4:5]
	v_add_f64 v[2:3], v[6:7], v[2:3]
	v_cndmask_b32_e32 v38, v51, v3, vcc
	v_cndmask_b32_e32 v37, 0, v2, vcc
	v_mul_f64 v[2:3], v[0:1], s[58:59]
	v_cmp_nlt_f64_e32 vcc, s[26:27], v[0:1]
	v_rndne_f64_e32 v[2:3], v[2:3]
	v_fma_f64 v[4:5], v[2:3], s[60:61], v[0:1]
	v_fma_f64 v[4:5], v[2:3], s[62:63], v[4:5]
	v_cvt_i32_f64_e32 v2, v[2:3]
	v_fma_f64 v[6:7], v[4:5], s[2:3], v[8:9]
	v_fma_f64 v[6:7], v[4:5], v[6:7], s[4:5]
	;; [unrolled: 1-line block ×9, first 2 shown]
	v_fma_f64 v[6:7], v[4:5], v[6:7], 1.0
	v_fma_f64 v[4:5], v[4:5], v[6:7], 1.0
	v_ldexp_f64 v[2:3], v[4:5], v2
	v_mul_f64 v[2:3], v[2:3], s[84:85]
	s_mov_b32 s85, 0x3fc66666
	v_cndmask_b32_e32 v3, v51, v3, vcc
	s_and_b64 vcc, s[0:1], vcc
	v_cndmask_b32_e64 v1, 0, v3, s[0:1]
	s_mov_b32 s0, 0x9cbd821e
	s_mov_b32 s1, 0xbef179ec
	v_cndmask_b32_e32 v0, 0, v2, vcc
	v_mul_f64 v[2:3], v[53:54], s[0:1]
	v_mul_f64 v[4:5], v[2:3], s[58:59]
	v_cmp_nlt_f64_e32 vcc, s[26:27], v[2:3]
	v_cmp_ngt_f64_e64 s[0:1], s[28:29], v[2:3]
	v_rndne_f64_e32 v[4:5], v[4:5]
	v_fma_f64 v[6:7], v[4:5], s[60:61], v[2:3]
	v_fma_f64 v[6:7], v[4:5], s[62:63], v[6:7]
	v_cvt_i32_f64_e32 v4, v[4:5]
	v_fma_f64 v[22:23], v[6:7], s[2:3], v[8:9]
	v_fma_f64 v[22:23], v[6:7], v[22:23], s[4:5]
	;; [unrolled: 1-line block ×9, first 2 shown]
	v_fma_f64 v[22:23], v[6:7], v[22:23], 1.0
	v_fma_f64 v[6:7], v[6:7], v[22:23], 1.0
	v_ldexp_f64 v[4:5], v[6:7], v4
	v_mul_f64 v[4:5], v[4:5], s[84:85]
	s_mov_b32 s85, 0xc0c3cde6
	v_cndmask_b32_e32 v5, v51, v5, vcc
	s_and_b64 vcc, s[0:1], vcc
	v_cndmask_b32_e32 v2, 0, v4, vcc
	v_cndmask_b32_e64 v3, 0, v5, s[0:1]
	v_add_f64 v[0:1], v[0:1], v[2:3]
	v_mul_f64 v[2:3], v[20:21], s[84:85]
	v_mul_f64 v[4:5], v[2:3], s[58:59]
	v_cmp_nlt_f64_e32 vcc, s[26:27], v[2:3]
	v_cmp_ngt_f64_e64 s[0:1], s[28:29], v[2:3]
	v_rndne_f64_e32 v[4:5], v[4:5]
	v_fma_f64 v[6:7], v[4:5], s[60:61], v[2:3]
	v_fma_f64 v[6:7], v[4:5], s[62:63], v[6:7]
	v_cvt_i32_f64_e32 v4, v[4:5]
	v_fma_f64 v[22:23], v[6:7], s[2:3], v[8:9]
	v_fma_f64 v[22:23], v[6:7], v[22:23], s[4:5]
	;; [unrolled: 1-line block ×9, first 2 shown]
	v_fma_f64 v[22:23], v[6:7], v[22:23], 1.0
	v_fma_f64 v[6:7], v[6:7], v[22:23], 1.0
	v_ldexp_f64 v[4:5], v[6:7], v4
	v_cndmask_b32_e32 v5, v51, v5, vcc
	s_and_b64 vcc, s[0:1], vcc
	v_cndmask_b32_e32 v2, 0, v4, vcc
	v_cndmask_b32_e64 v3, 0, v5, s[0:1]
	v_add_f64 v[0:1], v[2:3], v[0:1]
	v_max_f64 v[39:40], v[0:1], s[56:57]
	v_frexp_mant_f64_e32 v[0:1], v[39:40]
	v_frexp_exp_i32_f64_e32 v2, v[39:40]
	v_cmp_gt_f64_e32 vcc, s[54:55], v[0:1]
	v_cndmask_b32_e64 v3, 0, 1, vcc
	v_ldexp_f64 v[0:1], v[0:1], v3
	v_subbrev_co_u32_e32 v14, vcc, 0, v2, vcc
	v_cmp_neq_f64_e32 vcc, s[30:31], v[39:40]
	v_add_f64 v[4:5], v[0:1], 1.0
	v_add_f64 v[2:3], v[0:1], -1.0
	v_add_f64 v[6:7], v[4:5], -1.0
	v_add_f64 v[0:1], v[0:1], -v[6:7]
	v_rcp_f64_e32 v[6:7], v[4:5]
	v_fma_f64 v[22:23], -v[4:5], v[6:7], 1.0
	v_fma_f64 v[6:7], v[22:23], v[6:7], v[6:7]
	v_fma_f64 v[22:23], -v[4:5], v[6:7], 1.0
	v_fma_f64 v[6:7], v[22:23], v[6:7], v[6:7]
	v_mul_f64 v[22:23], v[2:3], v[6:7]
	v_mul_f64 v[41:42], v[4:5], v[22:23]
	v_fma_f64 v[4:5], v[22:23], v[4:5], -v[41:42]
	v_fma_f64 v[0:1], v[22:23], v[0:1], v[4:5]
	v_add_f64 v[4:5], v[41:42], v[0:1]
	v_add_f64 v[43:44], v[2:3], -v[4:5]
	v_add_f64 v[41:42], v[4:5], -v[41:42]
	;; [unrolled: 1-line block ×5, first 2 shown]
	v_add_f64 v[0:1], v[0:1], v[2:3]
	v_add_f64 v[0:1], v[43:44], v[0:1]
	v_mul_f64 v[0:1], v[6:7], v[0:1]
	v_add_f64 v[2:3], v[22:23], v[0:1]
	v_add_f64 v[4:5], v[2:3], -v[22:23]
	v_ldexp_f64 v[22:23], v[2:3], 1
	v_add_f64 v[0:1], v[0:1], -v[4:5]
	v_mul_f64 v[4:5], v[2:3], v[2:3]
	v_ldexp_f64 v[0:1], v[0:1], 1
	v_fma_f64 v[6:7], v[4:5], s[42:43], v[10:11]
	v_mul_f64 v[2:3], v[2:3], v[4:5]
	v_fma_f64 v[6:7], v[4:5], v[6:7], s[44:45]
	v_fma_f64 v[6:7], v[4:5], v[6:7], s[46:47]
	;; [unrolled: 1-line block ×5, first 2 shown]
	v_mul_f64 v[2:3], v[2:3], v[6:7]
	v_add_f64 v[4:5], v[22:23], v[2:3]
	v_add_f64 v[6:7], v[4:5], -v[22:23]
	v_add_f64 v[2:3], v[2:3], -v[6:7]
	v_add_f64 v[0:1], v[0:1], v[2:3]
	v_add_f64 v[2:3], v[4:5], v[0:1]
	v_add_f64 v[4:5], v[2:3], -v[4:5]
	v_add_f64 v[0:1], v[0:1], -v[4:5]
	v_cvt_f64_i32_e32 v[4:5], v14
	v_mul_f64 v[6:7], v[4:5], s[38:39]
	v_fma_f64 v[22:23], v[4:5], s[38:39], -v[6:7]
	v_fma_f64 v[4:5], v[4:5], s[40:41], v[22:23]
	v_add_f64 v[22:23], v[6:7], v[4:5]
	v_add_f64 v[6:7], v[22:23], -v[6:7]
	v_add_f64 v[41:42], v[4:5], -v[6:7]
	v_mul_f64 v[4:5], v[2:3], s[36:37]
	v_fma_f64 v[6:7], v[2:3], s[36:37], -v[4:5]
	v_fma_f64 v[0:1], v[0:1], s[36:37], v[6:7]
	v_fma_f64 v[0:1], v[2:3], s[34:35], v[0:1]
	v_add_f64 v[2:3], v[4:5], v[0:1]
	v_add_f64 v[4:5], v[2:3], -v[4:5]
	v_add_f64 v[43:44], v[22:23], v[2:3]
	v_add_f64 v[47:48], v[0:1], -v[4:5]
	v_add_f64 v[0:1], v[43:44], -v[22:23]
	;; [unrolled: 1-line block ×5, first 2 shown]
	v_add_f64 v[45:46], v[0:1], v[4:5]
	v_add_f64 v[0:1], v[41:42], v[47:48]
	v_add_f64 v[2:3], v[0:1], -v[41:42]
	v_add_f64 v[4:5], v[0:1], -v[2:3]
	;; [unrolled: 1-line block ×3, first 2 shown]
	v_add_f64 v[0:1], v[0:1], v[45:46]
	v_add_f64 v[4:5], v[41:42], -v[4:5]
	v_add_f64 v[2:3], v[2:3], v[4:5]
	v_add_f64 v[4:5], v[43:44], v[0:1]
	v_add_f64 v[6:7], v[4:5], -v[43:44]
	v_add_f64 v[0:1], v[0:1], -v[6:7]
	v_add_f64 v[0:1], v[2:3], v[0:1]
	v_add_f64 v[0:1], v[4:5], v[0:1]
	v_cndmask_b32_e32 v1, v51, v1, vcc
	v_cndmask_b32_e32 v0, 0, v0, vcc
	v_fma_f64 v[4:5], v[0:1], s[76:77], v[18:19]
	v_fma_f64 v[2:3], v[0:1], s[74:75], v[16:17]
	v_add_f64 v[4:5], v[37:38], -v[4:5]
	v_fma_f64 v[2:3], v[4:5], s[78:79], v[2:3]
	v_div_scale_f64 v[6:7], s[0:1], v[2:3], v[2:3], 1.0
	v_rcp_f64_e32 v[22:23], v[6:7]
	v_fma_f64 v[37:38], -v[6:7], v[22:23], 1.0
	v_fma_f64 v[22:23], v[22:23], v[37:38], v[22:23]
	v_fma_f64 v[37:38], -v[6:7], v[22:23], 1.0
	v_fma_f64 v[22:23], v[22:23], v[37:38], v[22:23]
	v_div_scale_f64 v[37:38], vcc, 1.0, v[2:3], 1.0
	v_mul_f64 v[39:40], v[37:38], v[22:23]
	v_fma_f64 v[6:7], -v[6:7], v[39:40], v[37:38]
	s_nop 1
	v_div_fmas_f64 v[6:7], v[6:7], v[22:23], v[39:40]
	v_div_fixup_f64 v[2:3], v[6:7], v[2:3], 1.0
	v_mul_f64 v[2:3], v[4:5], v[2:3]
	v_fma_f64 v[2:3], v[2:3], v[2:3], 1.0
	v_div_scale_f64 v[4:5], s[0:1], v[2:3], v[2:3], 1.0
	v_rcp_f64_e32 v[6:7], v[4:5]
	v_fma_f64 v[22:23], -v[4:5], v[6:7], 1.0
	v_fma_f64 v[6:7], v[6:7], v[22:23], v[6:7]
	v_fma_f64 v[22:23], -v[4:5], v[6:7], 1.0
	v_fma_f64 v[6:7], v[6:7], v[22:23], v[6:7]
	v_div_scale_f64 v[22:23], vcc, 1.0, v[2:3], 1.0
	v_mul_f64 v[37:38], v[22:23], v[6:7]
	v_fma_f64 v[4:5], -v[4:5], v[37:38], v[22:23]
	s_nop 1
	v_div_fmas_f64 v[4:5], v[4:5], v[6:7], v[37:38]
	v_div_fixup_f64 v[2:3], v[4:5], v[2:3], 1.0
	v_mul_f64 v[0:1], v[0:1], v[2:3]
	v_mul_f64 v[2:3], v[0:1], s[64:65]
	v_cmp_nlt_f64_e32 vcc, s[26:27], v[0:1]
	v_cmp_ngt_f64_e64 s[0:1], s[28:29], v[0:1]
	v_rndne_f64_e32 v[2:3], v[2:3]
	v_fma_f64 v[4:5], v[2:3], s[66:67], v[0:1]
	v_fma_f64 v[4:5], v[2:3], s[68:69], v[4:5]
	v_cvt_i32_f64_e32 v2, v[2:3]
	v_mul_f64 v[6:7], v[4:5], s[70:71]
	v_fma_f64 v[4:5], v[4:5], s[72:73], v[6:7]
	v_fma_f64 v[6:7], v[4:5], s[2:3], v[8:9]
	;; [unrolled: 1-line block ×10, first 2 shown]
	v_fma_f64 v[6:7], v[4:5], v[6:7], 1.0
	v_fma_f64 v[4:5], v[4:5], v[6:7], 1.0
	v_ldexp_f64 v[2:3], v[4:5], v2
	v_cndmask_b32_e32 v3, v51, v3, vcc
	s_and_b64 vcc, s[0:1], vcc
	v_cndmask_b32_e32 v0, 0, v2, vcc
	v_cndmask_b32_e64 v1, 0, v3, s[0:1]
	v_mul_f64 v[0:1], v[35:36], v[0:1]
	v_mul_f64 v[2:3], v[33:34], v[0:1]
	global_store_dwordx2 v[31:32], v[2:3], off
	v_add_co_u32_e32 v2, vcc, s14, v29
	v_addc_co_u32_e32 v3, vcc, v56, v30, vcc
	global_load_dwordx2 v[4:5], v[2:3], off
	s_waitcnt vmcnt(0)
	v_mul_f64 v[0:1], v[4:5], v[0:1]
	global_store_dwordx2 v[2:3], v[0:1], off
	v_add_co_u32_e32 v0, vcc, s16, v26
	v_addc_co_u32_e32 v1, vcc, v52, v27, vcc
	v_mad_u64_u32 v[26:27], s[0:1], s33, 3, v[28:29]
	v_mov_b32_e32 v27, v15
	global_load_dwordx2 v[0:1], v[0:1], off
	v_lshlrev_b64 v[27:28], 3, v[26:27]
	v_add_co_u32_e32 v29, vcc, s12, v27
	v_addc_co_u32_e32 v30, vcc, v57, v28, vcc
	global_load_dwordx2 v[31:32], v[29:30], off
	s_waitcnt vmcnt(0)
	v_div_scale_f64 v[2:3], s[0:1], v[31:32], v[31:32], 1.0
	v_rcp_f64_e32 v[4:5], v[2:3]
	v_fma_f64 v[6:7], -v[2:3], v[4:5], 1.0
	v_fma_f64 v[4:5], v[4:5], v[6:7], v[4:5]
	v_fma_f64 v[6:7], -v[2:3], v[4:5], 1.0
	v_fma_f64 v[4:5], v[4:5], v[6:7], v[4:5]
	v_div_scale_f64 v[6:7], vcc, 1.0, v[31:32], 1.0
	v_mul_f64 v[22:23], v[6:7], v[4:5]
	v_fma_f64 v[2:3], -v[2:3], v[22:23], v[6:7]
	s_nop 1
	v_div_fmas_f64 v[2:3], v[2:3], v[4:5], v[22:23]
	v_div_fixup_f64 v[2:3], v[2:3], v[31:32], 1.0
	v_mul_f64 v[2:3], v[12:13], v[2:3]
	v_mul_f64 v[4:5], v[0:1], v[2:3]
	v_fma_f64 v[0:1], v[0:1], v[2:3], 1.0
	v_div_scale_f64 v[2:3], s[0:1], v[0:1], v[0:1], 1.0
	s_mov_b32 s0, 0x6156683e
	s_mov_b32 s1, 0xbf1d7452
	v_rcp_f64_e32 v[6:7], v[2:3]
	v_fma_f64 v[22:23], -v[2:3], v[6:7], 1.0
	v_fma_f64 v[6:7], v[6:7], v[22:23], v[6:7]
	v_fma_f64 v[22:23], -v[2:3], v[6:7], 1.0
	v_fma_f64 v[6:7], v[6:7], v[22:23], v[6:7]
	v_div_scale_f64 v[22:23], vcc, 1.0, v[0:1], 1.0
	v_mul_f64 v[33:34], v[22:23], v[6:7]
	v_fma_f64 v[2:3], -v[2:3], v[33:34], v[22:23]
	s_nop 1
	v_div_fmas_f64 v[2:3], v[2:3], v[6:7], v[33:34]
	v_div_fixup_f64 v[0:1], v[2:3], v[0:1], 1.0
	v_mul_f64 v[33:34], v[4:5], v[0:1]
	v_max_f64 v[0:1], v[4:5], s[56:57]
	v_frexp_mant_f64_e32 v[2:3], v[0:1]
	v_frexp_exp_i32_f64_e32 v4, v[0:1]
	v_cmp_gt_f64_e32 vcc, s[54:55], v[2:3]
	v_cndmask_b32_e64 v5, 0, 1, vcc
	v_ldexp_f64 v[2:3], v[2:3], v5
	v_subbrev_co_u32_e32 v14, vcc, 0, v4, vcc
	v_cmp_neq_f64_e32 vcc, s[30:31], v[0:1]
	v_mul_f64 v[0:1], v[53:54], s[0:1]
	v_add_f64 v[6:7], v[2:3], 1.0
	v_add_f64 v[4:5], v[2:3], -1.0
	v_cmp_ngt_f64_e64 s[0:1], s[28:29], v[0:1]
	v_add_f64 v[22:23], v[6:7], -1.0
	v_add_f64 v[2:3], v[2:3], -v[22:23]
	v_rcp_f64_e32 v[22:23], v[6:7]
	v_fma_f64 v[35:36], -v[6:7], v[22:23], 1.0
	v_fma_f64 v[22:23], v[35:36], v[22:23], v[22:23]
	v_fma_f64 v[35:36], -v[6:7], v[22:23], 1.0
	v_fma_f64 v[22:23], v[35:36], v[22:23], v[22:23]
	v_mul_f64 v[35:36], v[4:5], v[22:23]
	v_mul_f64 v[37:38], v[6:7], v[35:36]
	v_fma_f64 v[6:7], v[35:36], v[6:7], -v[37:38]
	v_fma_f64 v[2:3], v[35:36], v[2:3], v[6:7]
	v_add_f64 v[6:7], v[37:38], v[2:3]
	v_add_f64 v[39:40], v[4:5], -v[6:7]
	v_add_f64 v[37:38], v[6:7], -v[37:38]
	;; [unrolled: 1-line block ×5, first 2 shown]
	v_add_f64 v[2:3], v[2:3], v[4:5]
	v_add_f64 v[2:3], v[39:40], v[2:3]
	v_mul_f64 v[2:3], v[22:23], v[2:3]
	v_add_f64 v[4:5], v[35:36], v[2:3]
	v_add_f64 v[6:7], v[4:5], -v[35:36]
	v_ldexp_f64 v[35:36], v[4:5], 1
	v_add_f64 v[2:3], v[2:3], -v[6:7]
	v_mul_f64 v[6:7], v[4:5], v[4:5]
	v_ldexp_f64 v[2:3], v[2:3], 1
	v_fma_f64 v[22:23], v[6:7], s[42:43], v[10:11]
	v_mul_f64 v[4:5], v[4:5], v[6:7]
	v_fma_f64 v[22:23], v[6:7], v[22:23], s[44:45]
	v_fma_f64 v[22:23], v[6:7], v[22:23], s[46:47]
	;; [unrolled: 1-line block ×5, first 2 shown]
	v_mul_f64 v[4:5], v[4:5], v[22:23]
	v_add_f64 v[6:7], v[35:36], v[4:5]
	v_add_f64 v[22:23], v[6:7], -v[35:36]
	v_add_f64 v[4:5], v[4:5], -v[22:23]
	v_add_f64 v[2:3], v[2:3], v[4:5]
	v_add_f64 v[4:5], v[6:7], v[2:3]
	v_add_f64 v[6:7], v[4:5], -v[6:7]
	v_add_f64 v[2:3], v[2:3], -v[6:7]
	v_cvt_f64_i32_e32 v[6:7], v14
	v_mul_f64 v[22:23], v[6:7], s[38:39]
	v_fma_f64 v[35:36], v[6:7], s[38:39], -v[22:23]
	v_fma_f64 v[6:7], v[6:7], s[40:41], v[35:36]
	v_add_f64 v[35:36], v[22:23], v[6:7]
	v_add_f64 v[22:23], v[35:36], -v[22:23]
	v_add_f64 v[6:7], v[6:7], -v[22:23]
	v_mul_f64 v[22:23], v[4:5], s[36:37]
	v_fma_f64 v[37:38], v[4:5], s[36:37], -v[22:23]
	v_fma_f64 v[2:3], v[2:3], s[36:37], v[37:38]
	v_fma_f64 v[2:3], v[4:5], s[34:35], v[2:3]
	v_add_f64 v[4:5], v[22:23], v[2:3]
	v_add_f64 v[22:23], v[4:5], -v[22:23]
	v_add_f64 v[2:3], v[2:3], -v[22:23]
	v_add_f64 v[22:23], v[35:36], v[4:5]
	v_add_f64 v[37:38], v[22:23], -v[35:36]
	v_add_f64 v[39:40], v[22:23], -v[37:38]
	;; [unrolled: 1-line block ×4, first 2 shown]
	v_add_f64 v[4:5], v[4:5], v[35:36]
	v_add_f64 v[35:36], v[6:7], v[2:3]
	v_add_f64 v[37:38], v[35:36], -v[6:7]
	v_add_f64 v[4:5], v[35:36], v[4:5]
	v_add_f64 v[39:40], v[35:36], -v[37:38]
	v_add_f64 v[2:3], v[2:3], -v[37:38]
	;; [unrolled: 1-line block ×3, first 2 shown]
	v_add_f64 v[2:3], v[2:3], v[6:7]
	v_add_f64 v[6:7], v[22:23], v[4:5]
	v_add_f64 v[22:23], v[6:7], -v[22:23]
	v_add_f64 v[4:5], v[4:5], -v[22:23]
	v_add_f64 v[2:3], v[2:3], v[4:5]
	v_add_f64 v[2:3], v[6:7], v[2:3]
	v_cndmask_b32_e32 v36, v51, v3, vcc
	v_cndmask_b32_e32 v35, 0, v2, vcc
	v_mul_f64 v[2:3], v[0:1], s[58:59]
	v_cmp_nlt_f64_e32 vcc, s[26:27], v[0:1]
	v_rndne_f64_e32 v[2:3], v[2:3]
	v_fma_f64 v[4:5], v[2:3], s[60:61], v[0:1]
	v_fma_f64 v[4:5], v[2:3], s[62:63], v[4:5]
	v_cvt_i32_f64_e32 v2, v[2:3]
	v_fma_f64 v[6:7], v[4:5], s[2:3], v[8:9]
	v_fma_f64 v[6:7], v[4:5], v[6:7], s[4:5]
	;; [unrolled: 1-line block ×9, first 2 shown]
	v_fma_f64 v[6:7], v[4:5], v[6:7], 1.0
	v_fma_f64 v[4:5], v[4:5], v[6:7], 1.0
	v_ldexp_f64 v[2:3], v[4:5], v2
	v_mul_f64 v[2:3], v[2:3], s[82:83]
	s_mov_b32 s83, 0xbf80624d
	s_mov_b32 s82, 0xd2f1a9fc
	v_cndmask_b32_e32 v3, v51, v3, vcc
	s_and_b64 vcc, s[0:1], vcc
	v_cndmask_b32_e64 v38, 0, v3, s[0:1]
	s_mov_b32 s0, 0x9b7bb433
	s_mov_b32 s1, 0xbf2e21a9
	v_mul_f64 v[0:1], v[53:54], s[0:1]
	v_cndmask_b32_e32 v37, 0, v2, vcc
	v_mul_f64 v[2:3], v[0:1], s[58:59]
	v_cmp_nlt_f64_e32 vcc, s[26:27], v[0:1]
	v_cmp_ngt_f64_e64 s[0:1], s[28:29], v[0:1]
	v_rndne_f64_e32 v[2:3], v[2:3]
	v_fma_f64 v[4:5], v[2:3], s[60:61], v[0:1]
	v_fma_f64 v[4:5], v[2:3], s[62:63], v[4:5]
	v_cvt_i32_f64_e32 v2, v[2:3]
	v_fma_f64 v[6:7], v[4:5], s[2:3], v[8:9]
	v_fma_f64 v[6:7], v[4:5], v[6:7], s[4:5]
	;; [unrolled: 1-line block ×9, first 2 shown]
	v_fma_f64 v[6:7], v[4:5], v[6:7], 1.0
	v_fma_f64 v[4:5], v[4:5], v[6:7], 1.0
	v_ldexp_f64 v[2:3], v[4:5], v2
	v_mul_f64 v[2:3], v[2:3], s[86:87]
	v_cndmask_b32_e32 v3, v51, v3, vcc
	s_and_b64 vcc, s[0:1], vcc
	v_cndmask_b32_e64 v1, 0, v3, s[0:1]
	s_mov_b32 s0, 0
	s_mov_b32 s1, 0xc0bc4c00
	v_cndmask_b32_e32 v0, 0, v2, vcc
	v_mul_f64 v[2:3], v[20:21], s[0:1]
	v_add_f64 v[0:1], v[37:38], v[0:1]
	v_mul_f64 v[4:5], v[2:3], s[58:59]
	v_cmp_nlt_f64_e32 vcc, s[26:27], v[2:3]
	v_cmp_ngt_f64_e64 s[0:1], s[28:29], v[2:3]
	v_rndne_f64_e32 v[4:5], v[4:5]
	v_fma_f64 v[6:7], v[4:5], s[60:61], v[2:3]
	v_fma_f64 v[6:7], v[4:5], s[62:63], v[6:7]
	v_cvt_i32_f64_e32 v4, v[4:5]
	v_fma_f64 v[22:23], v[6:7], s[2:3], v[8:9]
	v_fma_f64 v[22:23], v[6:7], v[22:23], s[4:5]
	;; [unrolled: 1-line block ×9, first 2 shown]
	v_fma_f64 v[22:23], v[6:7], v[22:23], 1.0
	v_fma_f64 v[6:7], v[6:7], v[22:23], 1.0
	v_ldexp_f64 v[4:5], v[6:7], v4
	v_cndmask_b32_e32 v5, v51, v5, vcc
	s_and_b64 vcc, s[0:1], vcc
	v_cndmask_b32_e32 v2, 0, v4, vcc
	v_cndmask_b32_e64 v3, 0, v5, s[0:1]
	v_add_f64 v[0:1], v[2:3], v[0:1]
	v_max_f64 v[37:38], v[0:1], s[56:57]
	v_frexp_mant_f64_e32 v[0:1], v[37:38]
	v_frexp_exp_i32_f64_e32 v2, v[37:38]
	v_cmp_gt_f64_e32 vcc, s[54:55], v[0:1]
	v_cndmask_b32_e64 v3, 0, 1, vcc
	v_ldexp_f64 v[0:1], v[0:1], v3
	v_subbrev_co_u32_e32 v14, vcc, 0, v2, vcc
	v_cmp_neq_f64_e32 vcc, s[30:31], v[37:38]
	v_add_f64 v[4:5], v[0:1], 1.0
	v_add_f64 v[2:3], v[0:1], -1.0
	v_add_f64 v[6:7], v[4:5], -1.0
	v_add_f64 v[0:1], v[0:1], -v[6:7]
	v_rcp_f64_e32 v[6:7], v[4:5]
	v_fma_f64 v[22:23], -v[4:5], v[6:7], 1.0
	v_fma_f64 v[6:7], v[22:23], v[6:7], v[6:7]
	v_fma_f64 v[22:23], -v[4:5], v[6:7], 1.0
	v_fma_f64 v[6:7], v[22:23], v[6:7], v[6:7]
	v_mul_f64 v[22:23], v[2:3], v[6:7]
	v_mul_f64 v[39:40], v[4:5], v[22:23]
	v_fma_f64 v[4:5], v[22:23], v[4:5], -v[39:40]
	v_fma_f64 v[0:1], v[22:23], v[0:1], v[4:5]
	v_add_f64 v[4:5], v[39:40], v[0:1]
	v_add_f64 v[41:42], v[2:3], -v[4:5]
	v_add_f64 v[39:40], v[4:5], -v[39:40]
	;; [unrolled: 1-line block ×5, first 2 shown]
	v_add_f64 v[0:1], v[0:1], v[2:3]
	v_add_f64 v[0:1], v[41:42], v[0:1]
	v_mul_f64 v[0:1], v[6:7], v[0:1]
	v_add_f64 v[2:3], v[22:23], v[0:1]
	v_add_f64 v[4:5], v[2:3], -v[22:23]
	v_ldexp_f64 v[22:23], v[2:3], 1
	v_add_f64 v[0:1], v[0:1], -v[4:5]
	v_mul_f64 v[4:5], v[2:3], v[2:3]
	v_ldexp_f64 v[0:1], v[0:1], 1
	v_fma_f64 v[6:7], v[4:5], s[42:43], v[10:11]
	v_mul_f64 v[2:3], v[2:3], v[4:5]
	v_fma_f64 v[6:7], v[4:5], v[6:7], s[44:45]
	v_fma_f64 v[6:7], v[4:5], v[6:7], s[46:47]
	;; [unrolled: 1-line block ×5, first 2 shown]
	v_mul_f64 v[2:3], v[2:3], v[6:7]
	v_add_f64 v[4:5], v[22:23], v[2:3]
	v_add_f64 v[6:7], v[4:5], -v[22:23]
	v_add_f64 v[2:3], v[2:3], -v[6:7]
	v_add_f64 v[0:1], v[0:1], v[2:3]
	v_add_f64 v[2:3], v[4:5], v[0:1]
	v_add_f64 v[4:5], v[2:3], -v[4:5]
	v_add_f64 v[0:1], v[0:1], -v[4:5]
	v_cvt_f64_i32_e32 v[4:5], v14
	v_mul_f64 v[6:7], v[4:5], s[38:39]
	v_fma_f64 v[22:23], v[4:5], s[38:39], -v[6:7]
	v_fma_f64 v[4:5], v[4:5], s[40:41], v[22:23]
	v_add_f64 v[22:23], v[6:7], v[4:5]
	v_add_f64 v[6:7], v[22:23], -v[6:7]
	v_add_f64 v[39:40], v[4:5], -v[6:7]
	v_mul_f64 v[4:5], v[2:3], s[36:37]
	v_fma_f64 v[6:7], v[2:3], s[36:37], -v[4:5]
	v_fma_f64 v[0:1], v[0:1], s[36:37], v[6:7]
	v_fma_f64 v[0:1], v[2:3], s[34:35], v[0:1]
	v_add_f64 v[2:3], v[4:5], v[0:1]
	v_add_f64 v[4:5], v[2:3], -v[4:5]
	v_add_f64 v[41:42], v[22:23], v[2:3]
	v_add_f64 v[45:46], v[0:1], -v[4:5]
	v_add_f64 v[0:1], v[41:42], -v[22:23]
	;; [unrolled: 1-line block ×5, first 2 shown]
	v_add_f64 v[43:44], v[0:1], v[4:5]
	v_add_f64 v[0:1], v[39:40], v[45:46]
	v_add_f64 v[2:3], v[0:1], -v[39:40]
	v_add_f64 v[4:5], v[0:1], -v[2:3]
	;; [unrolled: 1-line block ×3, first 2 shown]
	v_add_f64 v[0:1], v[0:1], v[43:44]
	v_add_f64 v[4:5], v[39:40], -v[4:5]
	v_add_f64 v[2:3], v[2:3], v[4:5]
	v_add_f64 v[4:5], v[41:42], v[0:1]
	v_add_f64 v[6:7], v[4:5], -v[41:42]
	v_add_f64 v[0:1], v[0:1], -v[6:7]
	v_add_f64 v[0:1], v[2:3], v[0:1]
	v_add_f64 v[0:1], v[4:5], v[0:1]
	v_cndmask_b32_e32 v1, v51, v1, vcc
	v_cndmask_b32_e32 v0, 0, v0, vcc
	v_fma_f64 v[4:5], v[0:1], s[76:77], v[18:19]
	v_fma_f64 v[2:3], v[0:1], s[74:75], v[16:17]
	v_add_f64 v[4:5], v[35:36], -v[4:5]
	v_fma_f64 v[2:3], v[4:5], s[78:79], v[2:3]
	v_div_scale_f64 v[6:7], s[0:1], v[2:3], v[2:3], 1.0
	v_rcp_f64_e32 v[22:23], v[6:7]
	v_fma_f64 v[35:36], -v[6:7], v[22:23], 1.0
	v_fma_f64 v[22:23], v[22:23], v[35:36], v[22:23]
	v_fma_f64 v[35:36], -v[6:7], v[22:23], 1.0
	v_fma_f64 v[22:23], v[22:23], v[35:36], v[22:23]
	v_div_scale_f64 v[35:36], vcc, 1.0, v[2:3], 1.0
	v_mul_f64 v[37:38], v[35:36], v[22:23]
	v_fma_f64 v[6:7], -v[6:7], v[37:38], v[35:36]
	s_nop 1
	v_div_fmas_f64 v[6:7], v[6:7], v[22:23], v[37:38]
	v_div_fixup_f64 v[2:3], v[6:7], v[2:3], 1.0
	v_mul_f64 v[2:3], v[4:5], v[2:3]
	v_fma_f64 v[2:3], v[2:3], v[2:3], 1.0
	v_div_scale_f64 v[4:5], s[0:1], v[2:3], v[2:3], 1.0
	v_rcp_f64_e32 v[6:7], v[4:5]
	v_fma_f64 v[22:23], -v[4:5], v[6:7], 1.0
	v_fma_f64 v[6:7], v[6:7], v[22:23], v[6:7]
	v_fma_f64 v[22:23], -v[4:5], v[6:7], 1.0
	v_fma_f64 v[6:7], v[6:7], v[22:23], v[6:7]
	v_div_scale_f64 v[22:23], vcc, 1.0, v[2:3], 1.0
	v_mul_f64 v[35:36], v[22:23], v[6:7]
	v_fma_f64 v[4:5], -v[4:5], v[35:36], v[22:23]
	s_nop 1
	v_div_fmas_f64 v[4:5], v[4:5], v[6:7], v[35:36]
	v_div_fixup_f64 v[2:3], v[4:5], v[2:3], 1.0
	v_mul_f64 v[0:1], v[0:1], v[2:3]
	v_mul_f64 v[2:3], v[0:1], s[64:65]
	v_cmp_nlt_f64_e32 vcc, s[26:27], v[0:1]
	v_cmp_ngt_f64_e64 s[0:1], s[28:29], v[0:1]
	v_rndne_f64_e32 v[2:3], v[2:3]
	v_fma_f64 v[4:5], v[2:3], s[66:67], v[0:1]
	v_fma_f64 v[4:5], v[2:3], s[68:69], v[4:5]
	v_cvt_i32_f64_e32 v2, v[2:3]
	v_mul_f64 v[6:7], v[4:5], s[70:71]
	v_fma_f64 v[4:5], v[4:5], s[72:73], v[6:7]
	v_fma_f64 v[6:7], v[4:5], s[2:3], v[8:9]
	;; [unrolled: 1-line block ×10, first 2 shown]
	v_fma_f64 v[6:7], v[4:5], v[6:7], 1.0
	v_fma_f64 v[4:5], v[4:5], v[6:7], 1.0
	v_ldexp_f64 v[2:3], v[4:5], v2
	v_cndmask_b32_e32 v3, v51, v3, vcc
	s_and_b64 vcc, s[0:1], vcc
	v_cndmask_b32_e32 v0, 0, v2, vcc
	v_cndmask_b32_e64 v1, 0, v3, s[0:1]
	v_mul_f64 v[0:1], v[33:34], v[0:1]
	s_mul_i32 s0, s33, 0xffffff7d
	v_add_u32_e32 v14, s0, v26
	s_mul_i32 s0, s33, 0x8a
	v_mul_f64 v[2:3], v[31:32], v[0:1]
	global_store_dwordx2 v[29:30], v[2:3], off
	v_add_co_u32_e32 v2, vcc, s14, v27
	v_addc_co_u32_e32 v3, vcc, v56, v28, vcc
	global_load_dwordx2 v[4:5], v[2:3], off
	s_waitcnt vmcnt(0)
	v_mul_f64 v[0:1], v[4:5], v[0:1]
	global_store_dwordx2 v[2:3], v[0:1], off
	v_lshlrev_b64 v[0:1], 3, v[14:15]
	v_add_u32_e32 v14, s0, v14
	v_add_co_u32_e32 v0, vcc, s16, v0
	v_lshlrev_b64 v[26:27], 3, v[14:15]
	v_addc_co_u32_e32 v1, vcc, v52, v1, vcc
	v_add_co_u32_e32 v28, vcc, s12, v26
	v_addc_co_u32_e32 v29, vcc, v57, v27, vcc
	global_load_dwordx2 v[30:31], v[28:29], off
	v_add_u32_e32 v14, s33, v14
	global_load_dwordx2 v[0:1], v[0:1], off
	v_lshlrev_b64 v[24:25], 3, v[14:15]
	s_waitcnt vmcnt(1)
	v_div_scale_f64 v[2:3], s[0:1], v[30:31], v[30:31], 1.0
	v_rcp_f64_e32 v[4:5], v[2:3]
	v_fma_f64 v[6:7], -v[2:3], v[4:5], 1.0
	v_fma_f64 v[4:5], v[4:5], v[6:7], v[4:5]
	v_fma_f64 v[6:7], -v[2:3], v[4:5], 1.0
	v_fma_f64 v[4:5], v[4:5], v[6:7], v[4:5]
	v_div_scale_f64 v[6:7], vcc, 1.0, v[30:31], 1.0
	v_mul_f64 v[22:23], v[6:7], v[4:5]
	v_fma_f64 v[2:3], -v[2:3], v[22:23], v[6:7]
	s_nop 1
	v_div_fmas_f64 v[2:3], v[2:3], v[4:5], v[22:23]
	v_div_fixup_f64 v[2:3], v[2:3], v[30:31], 1.0
	v_mul_f64 v[2:3], v[12:13], v[2:3]
	s_waitcnt vmcnt(0)
	v_mul_f64 v[4:5], v[0:1], v[2:3]
	v_fma_f64 v[0:1], v[0:1], v[2:3], 1.0
	v_div_scale_f64 v[2:3], s[0:1], v[0:1], v[0:1], 1.0
	s_mov_b32 s0, 0x16c16c17
	s_mov_b32 s1, 0xbf76c16c
	v_rcp_f64_e32 v[6:7], v[2:3]
	v_fma_f64 v[22:23], -v[2:3], v[6:7], 1.0
	v_fma_f64 v[6:7], v[6:7], v[22:23], v[6:7]
	v_fma_f64 v[22:23], -v[2:3], v[6:7], 1.0
	v_fma_f64 v[6:7], v[6:7], v[22:23], v[6:7]
	v_div_scale_f64 v[22:23], vcc, 1.0, v[0:1], 1.0
	v_mul_f64 v[32:33], v[22:23], v[6:7]
	v_fma_f64 v[2:3], -v[2:3], v[32:33], v[22:23]
	s_nop 1
	v_div_fmas_f64 v[2:3], v[2:3], v[6:7], v[32:33]
	v_div_fixup_f64 v[0:1], v[2:3], v[0:1], 1.0
	v_mul_f64 v[32:33], v[4:5], v[0:1]
	v_max_f64 v[0:1], v[4:5], s[56:57]
	v_frexp_mant_f64_e32 v[2:3], v[0:1]
	v_frexp_exp_i32_f64_e32 v4, v[0:1]
	v_cmp_gt_f64_e32 vcc, s[54:55], v[2:3]
	v_cndmask_b32_e64 v5, 0, 1, vcc
	v_ldexp_f64 v[2:3], v[2:3], v5
	v_subbrev_co_u32_e32 v40, vcc, 0, v4, vcc
	v_cmp_neq_f64_e32 vcc, s[30:31], v[0:1]
	v_mul_f64 v[0:1], v[53:54], s[0:1]
	s_mov_b32 s0, 0xb645a1cb
	s_mov_b32 s1, 0x3fd0fdf3
	v_add_f64 v[6:7], v[2:3], 1.0
	v_add_f64 v[4:5], v[2:3], -1.0
	v_add_f64 v[22:23], v[6:7], -1.0
	v_add_f64 v[2:3], v[2:3], -v[22:23]
	v_rcp_f64_e32 v[22:23], v[6:7]
	v_fma_f64 v[34:35], -v[6:7], v[22:23], 1.0
	v_fma_f64 v[22:23], v[34:35], v[22:23], v[22:23]
	v_fma_f64 v[34:35], -v[6:7], v[22:23], 1.0
	v_fma_f64 v[22:23], v[34:35], v[22:23], v[22:23]
	v_mul_f64 v[34:35], v[4:5], v[22:23]
	v_mul_f64 v[36:37], v[6:7], v[34:35]
	v_fma_f64 v[6:7], v[34:35], v[6:7], -v[36:37]
	v_fma_f64 v[2:3], v[34:35], v[2:3], v[6:7]
	v_add_f64 v[6:7], v[36:37], v[2:3]
	v_add_f64 v[38:39], v[4:5], -v[6:7]
	v_add_f64 v[36:37], v[6:7], -v[36:37]
	;; [unrolled: 1-line block ×5, first 2 shown]
	v_add_f64 v[2:3], v[2:3], v[4:5]
	v_add_f64 v[2:3], v[38:39], v[2:3]
	v_mul_f64 v[2:3], v[22:23], v[2:3]
	v_add_f64 v[4:5], v[34:35], v[2:3]
	v_add_f64 v[6:7], v[4:5], -v[34:35]
	v_ldexp_f64 v[34:35], v[4:5], 1
	v_add_f64 v[2:3], v[2:3], -v[6:7]
	v_mul_f64 v[6:7], v[4:5], v[4:5]
	v_ldexp_f64 v[2:3], v[2:3], 1
	v_fma_f64 v[22:23], v[6:7], s[42:43], v[10:11]
	v_mul_f64 v[4:5], v[4:5], v[6:7]
	v_fma_f64 v[22:23], v[6:7], v[22:23], s[44:45]
	v_fma_f64 v[22:23], v[6:7], v[22:23], s[46:47]
	;; [unrolled: 1-line block ×5, first 2 shown]
	v_mul_f64 v[4:5], v[4:5], v[22:23]
	v_add_f64 v[6:7], v[34:35], v[4:5]
	v_add_f64 v[22:23], v[6:7], -v[34:35]
	v_add_f64 v[4:5], v[4:5], -v[22:23]
	v_add_f64 v[2:3], v[2:3], v[4:5]
	v_add_f64 v[4:5], v[6:7], v[2:3]
	v_add_f64 v[6:7], v[4:5], -v[6:7]
	v_add_f64 v[2:3], v[2:3], -v[6:7]
	v_cvt_f64_i32_e32 v[6:7], v40
	v_mul_f64 v[22:23], v[6:7], s[38:39]
	v_fma_f64 v[34:35], v[6:7], s[38:39], -v[22:23]
	v_fma_f64 v[6:7], v[6:7], s[40:41], v[34:35]
	v_add_f64 v[34:35], v[22:23], v[6:7]
	v_add_f64 v[22:23], v[34:35], -v[22:23]
	v_add_f64 v[6:7], v[6:7], -v[22:23]
	v_mul_f64 v[22:23], v[4:5], s[36:37]
	v_fma_f64 v[36:37], v[4:5], s[36:37], -v[22:23]
	v_fma_f64 v[2:3], v[2:3], s[36:37], v[36:37]
	v_fma_f64 v[2:3], v[4:5], s[34:35], v[2:3]
	v_add_f64 v[4:5], v[22:23], v[2:3]
	v_add_f64 v[22:23], v[4:5], -v[22:23]
	v_add_f64 v[2:3], v[2:3], -v[22:23]
	v_add_f64 v[22:23], v[34:35], v[4:5]
	v_add_f64 v[36:37], v[22:23], -v[34:35]
	v_add_f64 v[38:39], v[22:23], -v[36:37]
	;; [unrolled: 1-line block ×4, first 2 shown]
	v_add_f64 v[4:5], v[4:5], v[34:35]
	v_add_f64 v[34:35], v[6:7], v[2:3]
	v_add_f64 v[36:37], v[34:35], -v[6:7]
	v_add_f64 v[4:5], v[34:35], v[4:5]
	v_add_f64 v[38:39], v[34:35], -v[36:37]
	v_add_f64 v[2:3], v[2:3], -v[36:37]
	;; [unrolled: 1-line block ×3, first 2 shown]
	v_add_f64 v[2:3], v[2:3], v[6:7]
	v_add_f64 v[6:7], v[22:23], v[4:5]
	v_add_f64 v[22:23], v[6:7], -v[22:23]
	v_add_f64 v[4:5], v[4:5], -v[22:23]
	v_add_f64 v[2:3], v[2:3], v[4:5]
	v_add_f64 v[2:3], v[6:7], v[2:3]
	v_cndmask_b32_e32 v35, v51, v3, vcc
	v_cndmask_b32_e32 v34, 0, v2, vcc
	v_mul_f64 v[2:3], v[0:1], s[58:59]
	v_cmp_nlt_f64_e32 vcc, s[26:27], v[0:1]
	v_rndne_f64_e32 v[2:3], v[2:3]
	v_fma_f64 v[4:5], v[2:3], s[60:61], v[0:1]
	v_fma_f64 v[4:5], v[2:3], s[62:63], v[4:5]
	v_cvt_i32_f64_e32 v2, v[2:3]
	v_fma_f64 v[6:7], v[4:5], s[2:3], v[8:9]
	v_fma_f64 v[6:7], v[4:5], v[6:7], s[4:5]
	;; [unrolled: 1-line block ×9, first 2 shown]
	v_fma_f64 v[6:7], v[4:5], v[6:7], 1.0
	v_fma_f64 v[4:5], v[4:5], v[6:7], 1.0
	v_ldexp_f64 v[2:3], v[4:5], v2
	v_mul_f64 v[2:3], v[2:3], s[0:1]
	v_cmp_ngt_f64_e64 s[0:1], s[28:29], v[0:1]
	v_cndmask_b32_e32 v3, v51, v3, vcc
	s_and_b64 vcc, s[0:1], vcc
	v_cndmask_b32_e64 v37, 0, v3, s[0:1]
	s_mov_b32 s0, 0x6d92aca5
	s_mov_b32 s1, 0xbf4fa8ef
	v_mul_f64 v[0:1], v[53:54], s[0:1]
	v_cndmask_b32_e32 v36, 0, v2, vcc
	s_mov_b32 s0, 0x24dd2f1b
	s_mov_b32 s1, 0x3fe78106
	v_mul_f64 v[2:3], v[0:1], s[58:59]
	v_cmp_nlt_f64_e32 vcc, s[26:27], v[0:1]
	v_rndne_f64_e32 v[2:3], v[2:3]
	v_fma_f64 v[4:5], v[2:3], s[60:61], v[0:1]
	v_fma_f64 v[4:5], v[2:3], s[62:63], v[4:5]
	v_cvt_i32_f64_e32 v2, v[2:3]
	v_fma_f64 v[6:7], v[4:5], s[2:3], v[8:9]
	v_fma_f64 v[6:7], v[4:5], v[6:7], s[4:5]
	;; [unrolled: 1-line block ×9, first 2 shown]
	v_fma_f64 v[6:7], v[4:5], v[6:7], 1.0
	v_fma_f64 v[4:5], v[4:5], v[6:7], 1.0
	v_ldexp_f64 v[2:3], v[4:5], v2
	v_mul_f64 v[2:3], v[2:3], s[0:1]
	v_cmp_ngt_f64_e64 s[0:1], s[28:29], v[0:1]
	v_cndmask_b32_e32 v3, v51, v3, vcc
	s_and_b64 vcc, s[0:1], vcc
	v_cndmask_b32_e64 v1, 0, v3, s[0:1]
	s_mov_b32 s0, 0
	s_mov_b32 s1, 0xc0b52900
	v_cndmask_b32_e32 v0, 0, v2, vcc
	v_mul_f64 v[2:3], v[20:21], s[0:1]
	v_add_f64 v[0:1], v[36:37], v[0:1]
	v_mul_f64 v[4:5], v[2:3], s[58:59]
	v_cmp_nlt_f64_e32 vcc, s[26:27], v[2:3]
	v_cmp_ngt_f64_e64 s[0:1], s[28:29], v[2:3]
	v_rndne_f64_e32 v[4:5], v[4:5]
	v_fma_f64 v[6:7], v[4:5], s[60:61], v[2:3]
	v_fma_f64 v[6:7], v[4:5], s[62:63], v[6:7]
	v_cvt_i32_f64_e32 v4, v[4:5]
	v_fma_f64 v[22:23], v[6:7], s[2:3], v[8:9]
	v_fma_f64 v[22:23], v[6:7], v[22:23], s[4:5]
	;; [unrolled: 1-line block ×9, first 2 shown]
	v_fma_f64 v[22:23], v[6:7], v[22:23], 1.0
	v_fma_f64 v[6:7], v[6:7], v[22:23], 1.0
	v_ldexp_f64 v[4:5], v[6:7], v4
	v_cndmask_b32_e32 v5, v51, v5, vcc
	s_and_b64 vcc, s[0:1], vcc
	v_cndmask_b32_e32 v2, 0, v4, vcc
	v_cndmask_b32_e64 v3, 0, v5, s[0:1]
	v_add_f64 v[0:1], v[2:3], v[0:1]
	v_max_f64 v[36:37], v[0:1], s[56:57]
	v_frexp_mant_f64_e32 v[0:1], v[36:37]
	v_frexp_exp_i32_f64_e32 v2, v[36:37]
	v_cmp_gt_f64_e32 vcc, s[54:55], v[0:1]
	v_cndmask_b32_e64 v3, 0, 1, vcc
	v_ldexp_f64 v[0:1], v[0:1], v3
	v_subbrev_co_u32_e32 v42, vcc, 0, v2, vcc
	v_cmp_neq_f64_e32 vcc, s[30:31], v[36:37]
	v_add_f64 v[4:5], v[0:1], 1.0
	v_add_f64 v[2:3], v[0:1], -1.0
	v_add_f64 v[6:7], v[4:5], -1.0
	v_add_f64 v[0:1], v[0:1], -v[6:7]
	v_rcp_f64_e32 v[6:7], v[4:5]
	v_fma_f64 v[22:23], -v[4:5], v[6:7], 1.0
	v_fma_f64 v[6:7], v[22:23], v[6:7], v[6:7]
	v_fma_f64 v[22:23], -v[4:5], v[6:7], 1.0
	v_fma_f64 v[6:7], v[22:23], v[6:7], v[6:7]
	v_mul_f64 v[22:23], v[2:3], v[6:7]
	v_mul_f64 v[38:39], v[4:5], v[22:23]
	v_fma_f64 v[4:5], v[22:23], v[4:5], -v[38:39]
	v_fma_f64 v[0:1], v[22:23], v[0:1], v[4:5]
	v_add_f64 v[4:5], v[38:39], v[0:1]
	v_add_f64 v[40:41], v[2:3], -v[4:5]
	v_add_f64 v[38:39], v[4:5], -v[38:39]
	;; [unrolled: 1-line block ×5, first 2 shown]
	v_add_f64 v[0:1], v[0:1], v[2:3]
	v_add_f64 v[0:1], v[40:41], v[0:1]
	v_mul_f64 v[0:1], v[6:7], v[0:1]
	v_add_f64 v[2:3], v[22:23], v[0:1]
	v_add_f64 v[4:5], v[2:3], -v[22:23]
	v_ldexp_f64 v[22:23], v[2:3], 1
	v_add_f64 v[0:1], v[0:1], -v[4:5]
	v_mul_f64 v[4:5], v[2:3], v[2:3]
	v_ldexp_f64 v[0:1], v[0:1], 1
	v_fma_f64 v[6:7], v[4:5], s[42:43], v[10:11]
	v_mul_f64 v[2:3], v[2:3], v[4:5]
	v_fma_f64 v[6:7], v[4:5], v[6:7], s[44:45]
	v_fma_f64 v[6:7], v[4:5], v[6:7], s[46:47]
	;; [unrolled: 1-line block ×5, first 2 shown]
	v_mul_f64 v[2:3], v[2:3], v[6:7]
	v_add_f64 v[4:5], v[22:23], v[2:3]
	v_add_f64 v[6:7], v[4:5], -v[22:23]
	v_add_f64 v[2:3], v[2:3], -v[6:7]
	v_add_f64 v[0:1], v[0:1], v[2:3]
	v_add_f64 v[2:3], v[4:5], v[0:1]
	v_add_f64 v[4:5], v[2:3], -v[4:5]
	v_add_f64 v[0:1], v[0:1], -v[4:5]
	v_cvt_f64_i32_e32 v[4:5], v42
	v_mul_f64 v[6:7], v[4:5], s[38:39]
	v_fma_f64 v[22:23], v[4:5], s[38:39], -v[6:7]
	v_fma_f64 v[4:5], v[4:5], s[40:41], v[22:23]
	v_add_f64 v[22:23], v[6:7], v[4:5]
	v_add_f64 v[6:7], v[22:23], -v[6:7]
	v_add_f64 v[38:39], v[4:5], -v[6:7]
	v_mul_f64 v[4:5], v[2:3], s[36:37]
	v_fma_f64 v[6:7], v[2:3], s[36:37], -v[4:5]
	v_fma_f64 v[0:1], v[0:1], s[36:37], v[6:7]
	v_fma_f64 v[0:1], v[2:3], s[34:35], v[0:1]
	v_add_f64 v[2:3], v[4:5], v[0:1]
	v_add_f64 v[4:5], v[2:3], -v[4:5]
	v_add_f64 v[40:41], v[22:23], v[2:3]
	v_add_f64 v[44:45], v[0:1], -v[4:5]
	v_add_f64 v[0:1], v[40:41], -v[22:23]
	;; [unrolled: 1-line block ×5, first 2 shown]
	v_add_f64 v[42:43], v[0:1], v[4:5]
	v_add_f64 v[0:1], v[38:39], v[44:45]
	v_add_f64 v[2:3], v[0:1], -v[38:39]
	v_add_f64 v[4:5], v[0:1], -v[2:3]
	;; [unrolled: 1-line block ×3, first 2 shown]
	v_add_f64 v[0:1], v[0:1], v[42:43]
	v_add_f64 v[4:5], v[38:39], -v[4:5]
	v_add_f64 v[2:3], v[2:3], v[4:5]
	v_add_f64 v[4:5], v[40:41], v[0:1]
	v_add_f64 v[6:7], v[4:5], -v[40:41]
	v_add_f64 v[0:1], v[0:1], -v[6:7]
	v_add_f64 v[0:1], v[2:3], v[0:1]
	v_add_f64 v[0:1], v[4:5], v[0:1]
	v_cndmask_b32_e32 v1, v51, v1, vcc
	v_cndmask_b32_e32 v0, 0, v0, vcc
	v_fma_f64 v[4:5], v[0:1], s[76:77], v[18:19]
	v_fma_f64 v[2:3], v[0:1], s[74:75], v[16:17]
	v_add_f64 v[4:5], v[34:35], -v[4:5]
	v_fma_f64 v[2:3], v[4:5], s[78:79], v[2:3]
	v_div_scale_f64 v[6:7], s[0:1], v[2:3], v[2:3], 1.0
	v_rcp_f64_e32 v[22:23], v[6:7]
	v_fma_f64 v[34:35], -v[6:7], v[22:23], 1.0
	v_fma_f64 v[22:23], v[22:23], v[34:35], v[22:23]
	v_fma_f64 v[34:35], -v[6:7], v[22:23], 1.0
	v_fma_f64 v[22:23], v[22:23], v[34:35], v[22:23]
	v_div_scale_f64 v[34:35], vcc, 1.0, v[2:3], 1.0
	v_mul_f64 v[36:37], v[34:35], v[22:23]
	v_fma_f64 v[6:7], -v[6:7], v[36:37], v[34:35]
	s_nop 1
	v_div_fmas_f64 v[6:7], v[6:7], v[22:23], v[36:37]
	v_div_fixup_f64 v[2:3], v[6:7], v[2:3], 1.0
	v_mul_f64 v[2:3], v[4:5], v[2:3]
	v_fma_f64 v[2:3], v[2:3], v[2:3], 1.0
	v_div_scale_f64 v[4:5], s[0:1], v[2:3], v[2:3], 1.0
	v_rcp_f64_e32 v[6:7], v[4:5]
	v_fma_f64 v[22:23], -v[4:5], v[6:7], 1.0
	v_fma_f64 v[6:7], v[6:7], v[22:23], v[6:7]
	v_fma_f64 v[22:23], -v[4:5], v[6:7], 1.0
	v_fma_f64 v[6:7], v[6:7], v[22:23], v[6:7]
	v_div_scale_f64 v[22:23], vcc, 1.0, v[2:3], 1.0
	v_mul_f64 v[34:35], v[22:23], v[6:7]
	v_fma_f64 v[4:5], -v[4:5], v[34:35], v[22:23]
	s_nop 1
	v_div_fmas_f64 v[4:5], v[4:5], v[6:7], v[34:35]
	v_div_fixup_f64 v[2:3], v[4:5], v[2:3], 1.0
	v_mul_f64 v[0:1], v[0:1], v[2:3]
	v_mul_f64 v[2:3], v[0:1], s[64:65]
	v_cmp_nlt_f64_e32 vcc, s[26:27], v[0:1]
	v_cmp_ngt_f64_e64 s[0:1], s[28:29], v[0:1]
	v_rndne_f64_e32 v[2:3], v[2:3]
	v_fma_f64 v[4:5], v[2:3], s[66:67], v[0:1]
	v_fma_f64 v[4:5], v[2:3], s[68:69], v[4:5]
	v_cvt_i32_f64_e32 v2, v[2:3]
	v_mul_f64 v[6:7], v[4:5], s[70:71]
	v_fma_f64 v[4:5], v[4:5], s[72:73], v[6:7]
	v_fma_f64 v[6:7], v[4:5], s[2:3], v[8:9]
	;; [unrolled: 1-line block ×10, first 2 shown]
	v_fma_f64 v[6:7], v[4:5], v[6:7], 1.0
	v_fma_f64 v[4:5], v[4:5], v[6:7], 1.0
	v_ldexp_f64 v[2:3], v[4:5], v2
	v_cndmask_b32_e32 v3, v51, v3, vcc
	s_and_b64 vcc, s[0:1], vcc
	v_cndmask_b32_e32 v0, 0, v2, vcc
	v_cndmask_b32_e64 v1, 0, v3, s[0:1]
	v_mul_f64 v[0:1], v[32:33], v[0:1]
	v_mul_f64 v[2:3], v[30:31], v[0:1]
	global_store_dwordx2 v[28:29], v[2:3], off
	v_add_co_u32_e32 v2, vcc, s14, v26
	v_addc_co_u32_e32 v3, vcc, v56, v27, vcc
	global_load_dwordx2 v[4:5], v[2:3], off
	s_waitcnt vmcnt(0)
	v_mul_f64 v[0:1], v[4:5], v[0:1]
	global_store_dwordx2 v[2:3], v[0:1], off
	buffer_load_dword v0, off, s[88:91], 0 offset:32 ; 4-byte Folded Reload
	s_nop 0
	buffer_load_dword v1, off, s[88:91], 0 offset:36 ; 4-byte Folded Reload
	s_waitcnt vmcnt(1)
	v_add_co_u32_e32 v0, vcc, s16, v0
	s_waitcnt vmcnt(0)
	v_addc_co_u32_e32 v1, vcc, v52, v1, vcc
	v_add_co_u32_e32 v26, vcc, s12, v24
	v_addc_co_u32_e32 v27, vcc, v57, v25, vcc
	global_load_dwordx2 v[28:29], v[26:27], off
	s_waitcnt vmcnt(0)
	v_div_scale_f64 v[2:3], s[0:1], v[28:29], v[28:29], 1.0
	global_load_dwordx2 v[0:1], v[0:1], off
	v_rcp_f64_e32 v[4:5], v[2:3]
	v_fma_f64 v[6:7], -v[2:3], v[4:5], 1.0
	v_fma_f64 v[4:5], v[4:5], v[6:7], v[4:5]
	v_fma_f64 v[6:7], -v[2:3], v[4:5], 1.0
	v_fma_f64 v[4:5], v[4:5], v[6:7], v[4:5]
	v_div_scale_f64 v[6:7], vcc, 1.0, v[28:29], 1.0
	v_mul_f64 v[22:23], v[6:7], v[4:5]
	v_fma_f64 v[2:3], -v[2:3], v[22:23], v[6:7]
	s_nop 1
	v_div_fmas_f64 v[2:3], v[2:3], v[4:5], v[22:23]
	v_div_fixup_f64 v[2:3], v[2:3], v[28:29], 1.0
	v_mul_f64 v[2:3], v[12:13], v[2:3]
	s_waitcnt vmcnt(0)
	v_mul_f64 v[4:5], v[0:1], v[2:3]
	v_fma_f64 v[0:1], v[0:1], v[2:3], 1.0
	v_div_scale_f64 v[2:3], s[0:1], v[0:1], v[0:1], 1.0
	s_mov_b32 s0, 0x13813814
	s_mov_b32 s1, 0xbf738138
	v_rcp_f64_e32 v[6:7], v[2:3]
	v_fma_f64 v[22:23], -v[2:3], v[6:7], 1.0
	v_fma_f64 v[6:7], v[6:7], v[22:23], v[6:7]
	v_fma_f64 v[22:23], -v[2:3], v[6:7], 1.0
	v_fma_f64 v[6:7], v[6:7], v[22:23], v[6:7]
	v_div_scale_f64 v[22:23], vcc, 1.0, v[0:1], 1.0
	v_mul_f64 v[30:31], v[22:23], v[6:7]
	v_fma_f64 v[2:3], -v[2:3], v[30:31], v[22:23]
	s_nop 1
	v_div_fmas_f64 v[2:3], v[2:3], v[6:7], v[30:31]
	v_div_fixup_f64 v[0:1], v[2:3], v[0:1], 1.0
	v_mul_f64 v[30:31], v[4:5], v[0:1]
	v_max_f64 v[0:1], v[4:5], s[56:57]
	v_frexp_mant_f64_e32 v[2:3], v[0:1]
	v_frexp_exp_i32_f64_e32 v4, v[0:1]
	v_cmp_gt_f64_e32 vcc, s[54:55], v[2:3]
	v_cndmask_b32_e64 v5, 0, 1, vcc
	v_ldexp_f64 v[2:3], v[2:3], v5
	v_subbrev_co_u32_e32 v38, vcc, 0, v4, vcc
	v_cmp_neq_f64_e32 vcc, s[30:31], v[0:1]
	v_mul_f64 v[0:1], v[53:54], s[0:1]
	s_mov_b32 s0, 0xf0d844d0
	s_mov_b32 s1, 0x3f994af4
	v_add_f64 v[6:7], v[2:3], 1.0
	v_add_f64 v[4:5], v[2:3], -1.0
	v_add_f64 v[22:23], v[6:7], -1.0
	v_add_f64 v[2:3], v[2:3], -v[22:23]
	v_rcp_f64_e32 v[22:23], v[6:7]
	v_fma_f64 v[32:33], -v[6:7], v[22:23], 1.0
	v_fma_f64 v[22:23], v[32:33], v[22:23], v[22:23]
	v_fma_f64 v[32:33], -v[6:7], v[22:23], 1.0
	v_fma_f64 v[22:23], v[32:33], v[22:23], v[22:23]
	v_mul_f64 v[32:33], v[4:5], v[22:23]
	v_mul_f64 v[34:35], v[6:7], v[32:33]
	v_fma_f64 v[6:7], v[32:33], v[6:7], -v[34:35]
	v_fma_f64 v[2:3], v[32:33], v[2:3], v[6:7]
	v_add_f64 v[6:7], v[34:35], v[2:3]
	v_add_f64 v[36:37], v[4:5], -v[6:7]
	v_add_f64 v[34:35], v[6:7], -v[34:35]
	;; [unrolled: 1-line block ×5, first 2 shown]
	v_add_f64 v[2:3], v[2:3], v[4:5]
	v_add_f64 v[2:3], v[36:37], v[2:3]
	v_mul_f64 v[2:3], v[22:23], v[2:3]
	v_add_f64 v[4:5], v[32:33], v[2:3]
	v_add_f64 v[6:7], v[4:5], -v[32:33]
	v_ldexp_f64 v[32:33], v[4:5], 1
	v_add_f64 v[2:3], v[2:3], -v[6:7]
	v_mul_f64 v[6:7], v[4:5], v[4:5]
	v_ldexp_f64 v[2:3], v[2:3], 1
	v_fma_f64 v[22:23], v[6:7], s[42:43], v[10:11]
	v_mul_f64 v[4:5], v[4:5], v[6:7]
	v_fma_f64 v[22:23], v[6:7], v[22:23], s[44:45]
	v_fma_f64 v[22:23], v[6:7], v[22:23], s[46:47]
	;; [unrolled: 1-line block ×5, first 2 shown]
	v_mul_f64 v[4:5], v[4:5], v[22:23]
	v_add_f64 v[6:7], v[32:33], v[4:5]
	v_add_f64 v[22:23], v[6:7], -v[32:33]
	v_add_f64 v[4:5], v[4:5], -v[22:23]
	v_add_f64 v[2:3], v[2:3], v[4:5]
	v_add_f64 v[4:5], v[6:7], v[2:3]
	v_add_f64 v[6:7], v[4:5], -v[6:7]
	v_add_f64 v[2:3], v[2:3], -v[6:7]
	v_cvt_f64_i32_e32 v[6:7], v38
	v_mul_f64 v[22:23], v[6:7], s[38:39]
	v_fma_f64 v[32:33], v[6:7], s[38:39], -v[22:23]
	v_fma_f64 v[6:7], v[6:7], s[40:41], v[32:33]
	v_add_f64 v[32:33], v[22:23], v[6:7]
	v_add_f64 v[22:23], v[32:33], -v[22:23]
	v_add_f64 v[6:7], v[6:7], -v[22:23]
	v_mul_f64 v[22:23], v[4:5], s[36:37]
	v_fma_f64 v[34:35], v[4:5], s[36:37], -v[22:23]
	v_fma_f64 v[2:3], v[2:3], s[36:37], v[34:35]
	v_fma_f64 v[2:3], v[4:5], s[34:35], v[2:3]
	v_add_f64 v[4:5], v[22:23], v[2:3]
	v_add_f64 v[22:23], v[4:5], -v[22:23]
	v_add_f64 v[2:3], v[2:3], -v[22:23]
	v_add_f64 v[22:23], v[32:33], v[4:5]
	v_add_f64 v[34:35], v[22:23], -v[32:33]
	v_add_f64 v[36:37], v[22:23], -v[34:35]
	;; [unrolled: 1-line block ×4, first 2 shown]
	v_add_f64 v[4:5], v[4:5], v[32:33]
	v_add_f64 v[32:33], v[6:7], v[2:3]
	v_add_f64 v[34:35], v[32:33], -v[6:7]
	v_add_f64 v[4:5], v[32:33], v[4:5]
	v_add_f64 v[36:37], v[32:33], -v[34:35]
	v_add_f64 v[2:3], v[2:3], -v[34:35]
	;; [unrolled: 1-line block ×3, first 2 shown]
	v_add_f64 v[2:3], v[2:3], v[6:7]
	v_add_f64 v[6:7], v[22:23], v[4:5]
	v_add_f64 v[22:23], v[6:7], -v[22:23]
	v_add_f64 v[4:5], v[4:5], -v[22:23]
	v_add_f64 v[2:3], v[2:3], v[4:5]
	v_add_f64 v[2:3], v[6:7], v[2:3]
	v_cndmask_b32_e32 v33, v51, v3, vcc
	v_cndmask_b32_e32 v32, 0, v2, vcc
	v_mul_f64 v[2:3], v[0:1], s[58:59]
	v_cmp_nlt_f64_e32 vcc, s[26:27], v[0:1]
	v_rndne_f64_e32 v[2:3], v[2:3]
	v_fma_f64 v[4:5], v[2:3], s[60:61], v[0:1]
	v_fma_f64 v[4:5], v[2:3], s[62:63], v[4:5]
	v_cvt_i32_f64_e32 v2, v[2:3]
	v_fma_f64 v[6:7], v[4:5], s[2:3], v[8:9]
	v_fma_f64 v[6:7], v[4:5], v[6:7], s[4:5]
	v_fma_f64 v[6:7], v[4:5], v[6:7], s[6:7]
	v_fma_f64 v[6:7], v[4:5], v[6:7], s[8:9]
	v_fma_f64 v[6:7], v[4:5], v[6:7], s[10:11]
	v_fma_f64 v[6:7], v[4:5], v[6:7], s[18:19]
	v_fma_f64 v[6:7], v[4:5], v[6:7], s[20:21]
	v_fma_f64 v[6:7], v[4:5], v[6:7], s[22:23]
	v_fma_f64 v[6:7], v[4:5], v[6:7], s[24:25]
	v_fma_f64 v[6:7], v[4:5], v[6:7], 1.0
	v_fma_f64 v[4:5], v[4:5], v[6:7], 1.0
	v_ldexp_f64 v[2:3], v[4:5], v2
	v_mul_f64 v[2:3], v[2:3], s[0:1]
	v_cmp_ngt_f64_e64 s[0:1], s[28:29], v[0:1]
	v_cndmask_b32_e32 v3, v51, v3, vcc
	s_and_b64 vcc, s[0:1], vcc
	v_cndmask_b32_e64 v35, 0, v3, s[0:1]
	s_mov_b32 s0, 0xa6810a7
	s_mov_b32 s1, 0xbf50a681
	v_mul_f64 v[0:1], v[53:54], s[0:1]
	v_cndmask_b32_e32 v34, 0, v2, vcc
	s_mov_b32 s0, 0x58793dd9
	s_mov_b32 s1, 0x3fef35a8
	v_mul_f64 v[2:3], v[0:1], s[58:59]
	v_cmp_nlt_f64_e32 vcc, s[26:27], v[0:1]
	v_rndne_f64_e32 v[2:3], v[2:3]
	v_fma_f64 v[4:5], v[2:3], s[60:61], v[0:1]
	v_fma_f64 v[4:5], v[2:3], s[62:63], v[4:5]
	v_cvt_i32_f64_e32 v2, v[2:3]
	v_fma_f64 v[6:7], v[4:5], s[2:3], v[8:9]
	v_fma_f64 v[6:7], v[4:5], v[6:7], s[4:5]
	;; [unrolled: 1-line block ×9, first 2 shown]
	v_fma_f64 v[6:7], v[4:5], v[6:7], 1.0
	v_fma_f64 v[4:5], v[4:5], v[6:7], 1.0
	v_ldexp_f64 v[2:3], v[4:5], v2
	v_mul_f64 v[2:3], v[2:3], s[0:1]
	v_cmp_ngt_f64_e64 s[0:1], s[28:29], v[0:1]
	v_cndmask_b32_e32 v3, v51, v3, vcc
	s_and_b64 vcc, s[0:1], vcc
	v_cndmask_b32_e64 v1, 0, v3, s[0:1]
	s_mov_b32 s0, 0
	s_mov_b32 s1, 0xc0b11600
	v_cndmask_b32_e32 v0, 0, v2, vcc
	v_mul_f64 v[2:3], v[20:21], s[0:1]
	v_add_f64 v[0:1], v[34:35], v[0:1]
	v_mul_f64 v[4:5], v[2:3], s[58:59]
	v_cmp_nlt_f64_e32 vcc, s[26:27], v[2:3]
	v_cmp_ngt_f64_e64 s[0:1], s[28:29], v[2:3]
	v_rndne_f64_e32 v[4:5], v[4:5]
	v_fma_f64 v[6:7], v[4:5], s[60:61], v[2:3]
	v_fma_f64 v[6:7], v[4:5], s[62:63], v[6:7]
	v_cvt_i32_f64_e32 v4, v[4:5]
	v_fma_f64 v[22:23], v[6:7], s[2:3], v[8:9]
	v_fma_f64 v[22:23], v[6:7], v[22:23], s[4:5]
	;; [unrolled: 1-line block ×9, first 2 shown]
	v_fma_f64 v[22:23], v[6:7], v[22:23], 1.0
	v_fma_f64 v[6:7], v[6:7], v[22:23], 1.0
	v_ldexp_f64 v[4:5], v[6:7], v4
	v_cndmask_b32_e32 v5, v51, v5, vcc
	s_and_b64 vcc, s[0:1], vcc
	v_cndmask_b32_e32 v2, 0, v4, vcc
	v_cndmask_b32_e64 v3, 0, v5, s[0:1]
	v_add_f64 v[0:1], v[2:3], v[0:1]
	v_max_f64 v[34:35], v[0:1], s[56:57]
	v_frexp_mant_f64_e32 v[0:1], v[34:35]
	v_frexp_exp_i32_f64_e32 v2, v[34:35]
	v_cmp_gt_f64_e32 vcc, s[54:55], v[0:1]
	v_cndmask_b32_e64 v3, 0, 1, vcc
	v_ldexp_f64 v[0:1], v[0:1], v3
	v_subbrev_co_u32_e32 v40, vcc, 0, v2, vcc
	v_cmp_neq_f64_e32 vcc, s[30:31], v[34:35]
	v_add_f64 v[4:5], v[0:1], 1.0
	v_add_f64 v[2:3], v[0:1], -1.0
	v_add_f64 v[6:7], v[4:5], -1.0
	v_add_f64 v[0:1], v[0:1], -v[6:7]
	v_rcp_f64_e32 v[6:7], v[4:5]
	v_fma_f64 v[22:23], -v[4:5], v[6:7], 1.0
	v_fma_f64 v[6:7], v[22:23], v[6:7], v[6:7]
	v_fma_f64 v[22:23], -v[4:5], v[6:7], 1.0
	v_fma_f64 v[6:7], v[22:23], v[6:7], v[6:7]
	v_mul_f64 v[22:23], v[2:3], v[6:7]
	v_mul_f64 v[36:37], v[4:5], v[22:23]
	v_fma_f64 v[4:5], v[22:23], v[4:5], -v[36:37]
	v_fma_f64 v[0:1], v[22:23], v[0:1], v[4:5]
	v_add_f64 v[4:5], v[36:37], v[0:1]
	v_add_f64 v[38:39], v[2:3], -v[4:5]
	v_add_f64 v[36:37], v[4:5], -v[36:37]
	;; [unrolled: 1-line block ×5, first 2 shown]
	v_add_f64 v[0:1], v[0:1], v[2:3]
	v_add_f64 v[0:1], v[38:39], v[0:1]
	v_mul_f64 v[0:1], v[6:7], v[0:1]
	v_add_f64 v[2:3], v[22:23], v[0:1]
	v_add_f64 v[4:5], v[2:3], -v[22:23]
	v_ldexp_f64 v[22:23], v[2:3], 1
	v_add_f64 v[0:1], v[0:1], -v[4:5]
	v_mul_f64 v[4:5], v[2:3], v[2:3]
	v_ldexp_f64 v[0:1], v[0:1], 1
	v_fma_f64 v[6:7], v[4:5], s[42:43], v[10:11]
	v_mul_f64 v[2:3], v[2:3], v[4:5]
	v_fma_f64 v[6:7], v[4:5], v[6:7], s[44:45]
	v_fma_f64 v[6:7], v[4:5], v[6:7], s[46:47]
	;; [unrolled: 1-line block ×5, first 2 shown]
	v_mul_f64 v[2:3], v[2:3], v[6:7]
	v_add_f64 v[4:5], v[22:23], v[2:3]
	v_add_f64 v[6:7], v[4:5], -v[22:23]
	v_add_f64 v[2:3], v[2:3], -v[6:7]
	v_add_f64 v[0:1], v[0:1], v[2:3]
	v_add_f64 v[2:3], v[4:5], v[0:1]
	v_add_f64 v[4:5], v[2:3], -v[4:5]
	v_add_f64 v[0:1], v[0:1], -v[4:5]
	v_cvt_f64_i32_e32 v[4:5], v40
	v_mul_f64 v[6:7], v[4:5], s[38:39]
	v_fma_f64 v[22:23], v[4:5], s[38:39], -v[6:7]
	v_fma_f64 v[4:5], v[4:5], s[40:41], v[22:23]
	v_add_f64 v[22:23], v[6:7], v[4:5]
	v_add_f64 v[6:7], v[22:23], -v[6:7]
	v_add_f64 v[36:37], v[4:5], -v[6:7]
	v_mul_f64 v[4:5], v[2:3], s[36:37]
	v_fma_f64 v[6:7], v[2:3], s[36:37], -v[4:5]
	v_fma_f64 v[0:1], v[0:1], s[36:37], v[6:7]
	v_fma_f64 v[0:1], v[2:3], s[34:35], v[0:1]
	v_add_f64 v[2:3], v[4:5], v[0:1]
	v_add_f64 v[4:5], v[2:3], -v[4:5]
	v_add_f64 v[38:39], v[22:23], v[2:3]
	v_add_f64 v[42:43], v[0:1], -v[4:5]
	v_add_f64 v[0:1], v[38:39], -v[22:23]
	;; [unrolled: 1-line block ×5, first 2 shown]
	v_add_f64 v[40:41], v[0:1], v[4:5]
	v_add_f64 v[0:1], v[36:37], v[42:43]
	v_add_f64 v[2:3], v[0:1], -v[36:37]
	v_add_f64 v[4:5], v[0:1], -v[2:3]
	;; [unrolled: 1-line block ×3, first 2 shown]
	v_add_f64 v[0:1], v[0:1], v[40:41]
	v_add_f64 v[4:5], v[36:37], -v[4:5]
	v_add_f64 v[2:3], v[2:3], v[4:5]
	v_add_f64 v[4:5], v[38:39], v[0:1]
	v_add_f64 v[6:7], v[4:5], -v[38:39]
	v_add_f64 v[0:1], v[0:1], -v[6:7]
	v_add_f64 v[0:1], v[2:3], v[0:1]
	v_add_f64 v[0:1], v[4:5], v[0:1]
	v_cndmask_b32_e32 v1, v51, v1, vcc
	v_cndmask_b32_e32 v0, 0, v0, vcc
	v_fma_f64 v[4:5], v[0:1], s[76:77], v[18:19]
	v_fma_f64 v[2:3], v[0:1], s[74:75], v[16:17]
	v_add_f64 v[4:5], v[32:33], -v[4:5]
	v_fma_f64 v[2:3], v[4:5], s[78:79], v[2:3]
	v_div_scale_f64 v[6:7], s[0:1], v[2:3], v[2:3], 1.0
	v_rcp_f64_e32 v[22:23], v[6:7]
	v_fma_f64 v[32:33], -v[6:7], v[22:23], 1.0
	v_fma_f64 v[22:23], v[22:23], v[32:33], v[22:23]
	v_fma_f64 v[32:33], -v[6:7], v[22:23], 1.0
	v_fma_f64 v[22:23], v[22:23], v[32:33], v[22:23]
	v_div_scale_f64 v[32:33], vcc, 1.0, v[2:3], 1.0
	v_mul_f64 v[34:35], v[32:33], v[22:23]
	v_fma_f64 v[6:7], -v[6:7], v[34:35], v[32:33]
	s_nop 1
	v_div_fmas_f64 v[6:7], v[6:7], v[22:23], v[34:35]
	v_div_fixup_f64 v[2:3], v[6:7], v[2:3], 1.0
	v_mul_f64 v[2:3], v[4:5], v[2:3]
	v_fma_f64 v[2:3], v[2:3], v[2:3], 1.0
	v_div_scale_f64 v[4:5], s[0:1], v[2:3], v[2:3], 1.0
	v_rcp_f64_e32 v[6:7], v[4:5]
	v_fma_f64 v[22:23], -v[4:5], v[6:7], 1.0
	v_fma_f64 v[6:7], v[6:7], v[22:23], v[6:7]
	v_fma_f64 v[22:23], -v[4:5], v[6:7], 1.0
	v_fma_f64 v[6:7], v[6:7], v[22:23], v[6:7]
	v_div_scale_f64 v[22:23], vcc, 1.0, v[2:3], 1.0
	v_mul_f64 v[32:33], v[22:23], v[6:7]
	v_fma_f64 v[4:5], -v[4:5], v[32:33], v[22:23]
	s_nop 1
	v_div_fmas_f64 v[4:5], v[4:5], v[6:7], v[32:33]
	v_div_fixup_f64 v[2:3], v[4:5], v[2:3], 1.0
	v_mul_f64 v[0:1], v[0:1], v[2:3]
	v_mul_f64 v[2:3], v[0:1], s[64:65]
	v_cmp_nlt_f64_e32 vcc, s[26:27], v[0:1]
	v_cmp_ngt_f64_e64 s[0:1], s[28:29], v[0:1]
	v_rndne_f64_e32 v[2:3], v[2:3]
	v_fma_f64 v[4:5], v[2:3], s[66:67], v[0:1]
	v_fma_f64 v[4:5], v[2:3], s[68:69], v[4:5]
	v_cvt_i32_f64_e32 v2, v[2:3]
	v_mul_f64 v[6:7], v[4:5], s[70:71]
	v_fma_f64 v[4:5], v[4:5], s[72:73], v[6:7]
	v_fma_f64 v[6:7], v[4:5], s[2:3], v[8:9]
	;; [unrolled: 1-line block ×10, first 2 shown]
	v_fma_f64 v[6:7], v[4:5], v[6:7], 1.0
	v_fma_f64 v[4:5], v[4:5], v[6:7], 1.0
	v_ldexp_f64 v[2:3], v[4:5], v2
	v_cndmask_b32_e32 v3, v51, v3, vcc
	s_and_b64 vcc, s[0:1], vcc
	v_cndmask_b32_e32 v0, 0, v2, vcc
	v_cndmask_b32_e64 v1, 0, v3, s[0:1]
	v_mul_f64 v[0:1], v[30:31], v[0:1]
	v_mad_u64_u32 v[22:23], s[0:1], s33, 14, v[14:15]
	v_mov_b32_e32 v23, v15
	v_mul_f64 v[2:3], v[28:29], v[0:1]
	global_store_dwordx2 v[26:27], v[2:3], off
	v_add_co_u32_e32 v2, vcc, s14, v24
	v_addc_co_u32_e32 v3, vcc, v56, v25, vcc
	global_load_dwordx2 v[4:5], v[2:3], off
	v_lshlrev_b64 v[23:24], 3, v[22:23]
	s_waitcnt vmcnt(0)
	v_mul_f64 v[0:1], v[4:5], v[0:1]
	global_store_dwordx2 v[2:3], v[0:1], off
	buffer_load_dword v0, off, s[88:91], 0 offset:24 ; 4-byte Folded Reload
	s_nop 0
	buffer_load_dword v1, off, s[88:91], 0 offset:28 ; 4-byte Folded Reload
	s_waitcnt vmcnt(1)
	v_add_co_u32_e32 v0, vcc, s16, v0
	s_waitcnt vmcnt(0)
	v_addc_co_u32_e32 v1, vcc, v52, v1, vcc
	v_add_co_u32_e32 v25, vcc, s12, v23
	v_addc_co_u32_e32 v26, vcc, v57, v24, vcc
	global_load_dwordx2 v[27:28], v[25:26], off
	s_waitcnt vmcnt(0)
	v_div_scale_f64 v[2:3], s[0:1], v[27:28], v[27:28], 1.0
	global_load_dwordx2 v[0:1], v[0:1], off
	v_rcp_f64_e32 v[4:5], v[2:3]
	v_fma_f64 v[6:7], -v[2:3], v[4:5], 1.0
	v_fma_f64 v[4:5], v[4:5], v[6:7], v[4:5]
	v_fma_f64 v[6:7], -v[2:3], v[4:5], 1.0
	v_fma_f64 v[4:5], v[4:5], v[6:7], v[4:5]
	v_div_scale_f64 v[6:7], vcc, 1.0, v[27:28], 1.0
	v_mul_f64 v[29:30], v[6:7], v[4:5]
	v_fma_f64 v[2:3], -v[2:3], v[29:30], v[6:7]
	s_nop 1
	v_div_fmas_f64 v[2:3], v[2:3], v[4:5], v[29:30]
	v_div_fixup_f64 v[2:3], v[2:3], v[27:28], 1.0
	v_mul_f64 v[2:3], v[12:13], v[2:3]
	s_waitcnt vmcnt(0)
	v_mul_f64 v[4:5], v[0:1], v[2:3]
	v_fma_f64 v[0:1], v[0:1], v[2:3], 1.0
	v_div_scale_f64 v[2:3], s[0:1], v[0:1], v[0:1], 1.0
	s_mov_b32 s0, 0x57a786c2
	s_mov_b32 s1, 0x3fc432ca
	v_rcp_f64_e32 v[6:7], v[2:3]
	v_fma_f64 v[29:30], -v[2:3], v[6:7], 1.0
	v_fma_f64 v[6:7], v[6:7], v[29:30], v[6:7]
	v_fma_f64 v[29:30], -v[2:3], v[6:7], 1.0
	v_fma_f64 v[6:7], v[6:7], v[29:30], v[6:7]
	v_div_scale_f64 v[29:30], vcc, 1.0, v[0:1], 1.0
	v_mul_f64 v[31:32], v[29:30], v[6:7]
	v_fma_f64 v[2:3], -v[2:3], v[31:32], v[29:30]
	s_nop 1
	v_div_fmas_f64 v[2:3], v[2:3], v[6:7], v[31:32]
	v_div_fixup_f64 v[0:1], v[2:3], v[0:1], 1.0
	v_mul_f64 v[29:30], v[4:5], v[0:1]
	v_max_f64 v[0:1], v[4:5], s[56:57]
	v_frexp_mant_f64_e32 v[2:3], v[0:1]
	v_frexp_exp_i32_f64_e32 v4, v[0:1]
	v_cmp_gt_f64_e32 vcc, s[54:55], v[2:3]
	v_cndmask_b32_e64 v5, 0, 1, vcc
	v_ldexp_f64 v[2:3], v[2:3], v5
	v_subbrev_co_u32_e32 v14, vcc, 0, v4, vcc
	v_cmp_neq_f64_e32 vcc, s[30:31], v[0:1]
	v_mul_f64 v[0:1], v[53:54], s[82:83]
	s_mov_b32 s83, 0xbf50624d
	v_add_f64 v[6:7], v[2:3], 1.0
	v_add_f64 v[4:5], v[2:3], -1.0
	v_add_f64 v[31:32], v[6:7], -1.0
	v_add_f64 v[2:3], v[2:3], -v[31:32]
	v_rcp_f64_e32 v[31:32], v[6:7]
	v_fma_f64 v[33:34], -v[6:7], v[31:32], 1.0
	v_fma_f64 v[31:32], v[33:34], v[31:32], v[31:32]
	v_fma_f64 v[33:34], -v[6:7], v[31:32], 1.0
	v_fma_f64 v[31:32], v[33:34], v[31:32], v[31:32]
	v_mul_f64 v[33:34], v[4:5], v[31:32]
	v_mul_f64 v[35:36], v[6:7], v[33:34]
	v_fma_f64 v[6:7], v[33:34], v[6:7], -v[35:36]
	v_fma_f64 v[2:3], v[33:34], v[2:3], v[6:7]
	v_add_f64 v[6:7], v[35:36], v[2:3]
	v_add_f64 v[37:38], v[4:5], -v[6:7]
	v_add_f64 v[35:36], v[6:7], -v[35:36]
	;; [unrolled: 1-line block ×5, first 2 shown]
	v_add_f64 v[2:3], v[2:3], v[4:5]
	v_add_f64 v[2:3], v[37:38], v[2:3]
	v_mul_f64 v[2:3], v[31:32], v[2:3]
	v_add_f64 v[4:5], v[33:34], v[2:3]
	v_add_f64 v[6:7], v[4:5], -v[33:34]
	v_ldexp_f64 v[33:34], v[4:5], 1
	v_add_f64 v[2:3], v[2:3], -v[6:7]
	v_mul_f64 v[6:7], v[4:5], v[4:5]
	v_ldexp_f64 v[2:3], v[2:3], 1
	v_fma_f64 v[31:32], v[6:7], s[42:43], v[10:11]
	v_mul_f64 v[4:5], v[4:5], v[6:7]
	v_fma_f64 v[31:32], v[6:7], v[31:32], s[44:45]
	v_fma_f64 v[31:32], v[6:7], v[31:32], s[46:47]
	;; [unrolled: 1-line block ×5, first 2 shown]
	v_mul_f64 v[4:5], v[4:5], v[31:32]
	v_add_f64 v[6:7], v[33:34], v[4:5]
	v_add_f64 v[31:32], v[6:7], -v[33:34]
	v_add_f64 v[4:5], v[4:5], -v[31:32]
	v_add_f64 v[2:3], v[2:3], v[4:5]
	v_add_f64 v[4:5], v[6:7], v[2:3]
	v_add_f64 v[6:7], v[4:5], -v[6:7]
	v_add_f64 v[2:3], v[2:3], -v[6:7]
	v_cvt_f64_i32_e32 v[6:7], v14
	v_mul_f64 v[31:32], v[6:7], s[38:39]
	v_fma_f64 v[33:34], v[6:7], s[38:39], -v[31:32]
	v_fma_f64 v[6:7], v[6:7], s[40:41], v[33:34]
	v_add_f64 v[33:34], v[31:32], v[6:7]
	v_add_f64 v[31:32], v[33:34], -v[31:32]
	v_add_f64 v[6:7], v[6:7], -v[31:32]
	v_mul_f64 v[31:32], v[4:5], s[36:37]
	v_fma_f64 v[35:36], v[4:5], s[36:37], -v[31:32]
	v_fma_f64 v[2:3], v[2:3], s[36:37], v[35:36]
	v_fma_f64 v[2:3], v[4:5], s[34:35], v[2:3]
	v_add_f64 v[4:5], v[31:32], v[2:3]
	v_add_f64 v[31:32], v[4:5], -v[31:32]
	v_add_f64 v[2:3], v[2:3], -v[31:32]
	v_add_f64 v[31:32], v[33:34], v[4:5]
	v_add_f64 v[35:36], v[31:32], -v[33:34]
	v_add_f64 v[37:38], v[31:32], -v[35:36]
	;; [unrolled: 1-line block ×4, first 2 shown]
	v_add_f64 v[4:5], v[4:5], v[33:34]
	v_add_f64 v[33:34], v[6:7], v[2:3]
	v_add_f64 v[35:36], v[33:34], -v[6:7]
	v_add_f64 v[4:5], v[33:34], v[4:5]
	v_add_f64 v[37:38], v[33:34], -v[35:36]
	v_add_f64 v[2:3], v[2:3], -v[35:36]
	;; [unrolled: 1-line block ×3, first 2 shown]
	v_add_f64 v[2:3], v[2:3], v[6:7]
	v_add_f64 v[6:7], v[31:32], v[4:5]
	v_add_f64 v[31:32], v[6:7], -v[31:32]
	v_add_f64 v[4:5], v[4:5], -v[31:32]
	v_add_f64 v[2:3], v[2:3], v[4:5]
	v_add_f64 v[2:3], v[6:7], v[2:3]
	v_cndmask_b32_e32 v32, v51, v3, vcc
	v_cndmask_b32_e32 v31, 0, v2, vcc
	v_mul_f64 v[2:3], v[0:1], s[58:59]
	v_cmp_nlt_f64_e32 vcc, s[26:27], v[0:1]
	v_rndne_f64_e32 v[2:3], v[2:3]
	v_fma_f64 v[4:5], v[2:3], s[60:61], v[0:1]
	v_fma_f64 v[4:5], v[2:3], s[62:63], v[4:5]
	v_cvt_i32_f64_e32 v2, v[2:3]
	v_fma_f64 v[6:7], v[4:5], s[2:3], v[8:9]
	v_fma_f64 v[6:7], v[4:5], v[6:7], s[4:5]
	;; [unrolled: 1-line block ×9, first 2 shown]
	v_fma_f64 v[6:7], v[4:5], v[6:7], 1.0
	v_fma_f64 v[4:5], v[4:5], v[6:7], 1.0
	v_ldexp_f64 v[2:3], v[4:5], v2
	v_mul_f64 v[2:3], v[2:3], s[0:1]
	v_cmp_ngt_f64_e64 s[0:1], s[28:29], v[0:1]
	v_cndmask_b32_e32 v3, v51, v3, vcc
	s_and_b64 vcc, s[0:1], vcc
	v_cndmask_b32_e64 v34, 0, v3, s[0:1]
	s_mov_b32 s0, 0xd19f527d
	s_mov_b32 s1, 0xbf3d88b5
	v_mul_f64 v[0:1], v[53:54], s[0:1]
	v_cndmask_b32_e32 v33, 0, v2, vcc
	s_mov_b32 s0, 0x6a161e4f
	s_mov_b32 s1, 0x3feaf34d
	v_mul_f64 v[2:3], v[0:1], s[58:59]
	v_cmp_nlt_f64_e32 vcc, s[26:27], v[0:1]
	v_rndne_f64_e32 v[2:3], v[2:3]
	v_fma_f64 v[4:5], v[2:3], s[60:61], v[0:1]
	v_fma_f64 v[4:5], v[2:3], s[62:63], v[4:5]
	v_cvt_i32_f64_e32 v2, v[2:3]
	v_fma_f64 v[6:7], v[4:5], s[2:3], v[8:9]
	v_fma_f64 v[6:7], v[4:5], v[6:7], s[4:5]
	;; [unrolled: 1-line block ×9, first 2 shown]
	v_fma_f64 v[6:7], v[4:5], v[6:7], 1.0
	v_fma_f64 v[4:5], v[4:5], v[6:7], 1.0
	v_ldexp_f64 v[2:3], v[4:5], v2
	v_mul_f64 v[2:3], v[2:3], s[0:1]
	v_cmp_ngt_f64_e64 s[0:1], s[28:29], v[0:1]
	v_cndmask_b32_e32 v3, v51, v3, vcc
	s_and_b64 vcc, s[0:1], vcc
	v_cndmask_b32_e64 v1, 0, v3, s[0:1]
	s_mov_b32 s0, 0
	s_mov_b32 s1, 0xc0bae200
	v_cndmask_b32_e32 v0, 0, v2, vcc
	v_mul_f64 v[2:3], v[20:21], s[0:1]
	v_add_f64 v[0:1], v[33:34], v[0:1]
	v_mul_f64 v[4:5], v[2:3], s[58:59]
	v_cmp_nlt_f64_e32 vcc, s[26:27], v[2:3]
	v_cmp_ngt_f64_e64 s[0:1], s[28:29], v[2:3]
	v_rndne_f64_e32 v[4:5], v[4:5]
	v_fma_f64 v[6:7], v[4:5], s[60:61], v[2:3]
	v_fma_f64 v[6:7], v[4:5], s[62:63], v[6:7]
	v_cvt_i32_f64_e32 v4, v[4:5]
	v_fma_f64 v[33:34], v[6:7], s[2:3], v[8:9]
	v_fma_f64 v[33:34], v[6:7], v[33:34], s[4:5]
	;; [unrolled: 1-line block ×9, first 2 shown]
	v_fma_f64 v[33:34], v[6:7], v[33:34], 1.0
	v_fma_f64 v[6:7], v[6:7], v[33:34], 1.0
	v_ldexp_f64 v[4:5], v[6:7], v4
	v_cndmask_b32_e32 v5, v51, v5, vcc
	s_and_b64 vcc, s[0:1], vcc
	v_cndmask_b32_e32 v2, 0, v4, vcc
	v_cndmask_b32_e64 v3, 0, v5, s[0:1]
	v_add_f64 v[0:1], v[2:3], v[0:1]
	v_max_f64 v[33:34], v[0:1], s[56:57]
	v_frexp_mant_f64_e32 v[0:1], v[33:34]
	v_frexp_exp_i32_f64_e32 v2, v[33:34]
	v_cmp_gt_f64_e32 vcc, s[54:55], v[0:1]
	v_cndmask_b32_e64 v3, 0, 1, vcc
	v_ldexp_f64 v[0:1], v[0:1], v3
	v_subbrev_co_u32_e32 v14, vcc, 0, v2, vcc
	v_cmp_neq_f64_e32 vcc, s[30:31], v[33:34]
	v_add_f64 v[4:5], v[0:1], 1.0
	v_add_f64 v[2:3], v[0:1], -1.0
	v_add_f64 v[6:7], v[4:5], -1.0
	v_add_f64 v[0:1], v[0:1], -v[6:7]
	v_rcp_f64_e32 v[6:7], v[4:5]
	v_fma_f64 v[35:36], -v[4:5], v[6:7], 1.0
	v_fma_f64 v[6:7], v[35:36], v[6:7], v[6:7]
	v_fma_f64 v[35:36], -v[4:5], v[6:7], 1.0
	v_fma_f64 v[6:7], v[35:36], v[6:7], v[6:7]
	v_mul_f64 v[35:36], v[2:3], v[6:7]
	v_mul_f64 v[37:38], v[4:5], v[35:36]
	v_fma_f64 v[4:5], v[35:36], v[4:5], -v[37:38]
	v_fma_f64 v[0:1], v[35:36], v[0:1], v[4:5]
	v_add_f64 v[4:5], v[37:38], v[0:1]
	v_add_f64 v[39:40], v[2:3], -v[4:5]
	v_add_f64 v[37:38], v[4:5], -v[37:38]
	;; [unrolled: 1-line block ×5, first 2 shown]
	v_add_f64 v[0:1], v[0:1], v[2:3]
	v_add_f64 v[0:1], v[39:40], v[0:1]
	v_mul_f64 v[0:1], v[6:7], v[0:1]
	v_add_f64 v[2:3], v[35:36], v[0:1]
	v_add_f64 v[4:5], v[2:3], -v[35:36]
	v_ldexp_f64 v[35:36], v[2:3], 1
	v_add_f64 v[0:1], v[0:1], -v[4:5]
	v_mul_f64 v[4:5], v[2:3], v[2:3]
	v_ldexp_f64 v[0:1], v[0:1], 1
	v_fma_f64 v[6:7], v[4:5], s[42:43], v[10:11]
	v_mul_f64 v[2:3], v[2:3], v[4:5]
	v_fma_f64 v[6:7], v[4:5], v[6:7], s[44:45]
	v_fma_f64 v[6:7], v[4:5], v[6:7], s[46:47]
	;; [unrolled: 1-line block ×5, first 2 shown]
	v_mul_f64 v[2:3], v[2:3], v[6:7]
	v_add_f64 v[4:5], v[35:36], v[2:3]
	v_add_f64 v[6:7], v[4:5], -v[35:36]
	v_add_f64 v[2:3], v[2:3], -v[6:7]
	v_add_f64 v[0:1], v[0:1], v[2:3]
	v_add_f64 v[2:3], v[4:5], v[0:1]
	v_add_f64 v[4:5], v[2:3], -v[4:5]
	v_add_f64 v[0:1], v[0:1], -v[4:5]
	v_cvt_f64_i32_e32 v[4:5], v14
	v_mul_f64 v[6:7], v[4:5], s[38:39]
	v_fma_f64 v[35:36], v[4:5], s[38:39], -v[6:7]
	v_fma_f64 v[4:5], v[4:5], s[40:41], v[35:36]
	v_add_f64 v[39:40], v[6:7], v[4:5]
	v_add_f64 v[6:7], v[39:40], -v[6:7]
	v_add_f64 v[35:36], v[4:5], -v[6:7]
	v_mul_f64 v[4:5], v[2:3], s[36:37]
	v_fma_f64 v[6:7], v[2:3], s[36:37], -v[4:5]
	v_fma_f64 v[0:1], v[0:1], s[36:37], v[6:7]
	v_fma_f64 v[0:1], v[2:3], s[34:35], v[0:1]
	v_add_f64 v[2:3], v[4:5], v[0:1]
	v_add_f64 v[4:5], v[2:3], -v[4:5]
	v_add_f64 v[37:38], v[39:40], v[2:3]
	v_add_f64 v[41:42], v[0:1], -v[4:5]
	v_add_f64 v[0:1], v[37:38], -v[39:40]
	;; [unrolled: 1-line block ×5, first 2 shown]
	v_add_f64 v[39:40], v[0:1], v[4:5]
	v_add_f64 v[0:1], v[35:36], v[41:42]
	v_add_f64 v[2:3], v[0:1], -v[35:36]
	v_add_f64 v[4:5], v[0:1], -v[2:3]
	;; [unrolled: 1-line block ×3, first 2 shown]
	v_add_f64 v[0:1], v[0:1], v[39:40]
	v_add_f64 v[4:5], v[35:36], -v[4:5]
	v_add_f64 v[2:3], v[2:3], v[4:5]
	v_add_f64 v[4:5], v[37:38], v[0:1]
	v_add_f64 v[6:7], v[4:5], -v[37:38]
	v_add_f64 v[0:1], v[0:1], -v[6:7]
	v_add_f64 v[0:1], v[2:3], v[0:1]
	v_add_f64 v[0:1], v[4:5], v[0:1]
	v_cndmask_b32_e32 v1, v51, v1, vcc
	v_cndmask_b32_e32 v0, 0, v0, vcc
	v_fma_f64 v[4:5], v[0:1], s[76:77], v[18:19]
	v_fma_f64 v[2:3], v[0:1], s[74:75], v[16:17]
	v_add_f64 v[4:5], v[31:32], -v[4:5]
	v_fma_f64 v[2:3], v[4:5], s[78:79], v[2:3]
	v_div_scale_f64 v[6:7], s[0:1], v[2:3], v[2:3], 1.0
	v_rcp_f64_e32 v[31:32], v[6:7]
	v_fma_f64 v[33:34], -v[6:7], v[31:32], 1.0
	v_fma_f64 v[31:32], v[31:32], v[33:34], v[31:32]
	v_fma_f64 v[33:34], -v[6:7], v[31:32], 1.0
	v_fma_f64 v[31:32], v[31:32], v[33:34], v[31:32]
	v_div_scale_f64 v[33:34], vcc, 1.0, v[2:3], 1.0
	v_mul_f64 v[35:36], v[33:34], v[31:32]
	v_fma_f64 v[6:7], -v[6:7], v[35:36], v[33:34]
	s_nop 1
	v_div_fmas_f64 v[6:7], v[6:7], v[31:32], v[35:36]
	v_div_fixup_f64 v[2:3], v[6:7], v[2:3], 1.0
	v_mul_f64 v[2:3], v[4:5], v[2:3]
	v_fma_f64 v[2:3], v[2:3], v[2:3], 1.0
	v_div_scale_f64 v[4:5], s[0:1], v[2:3], v[2:3], 1.0
	v_rcp_f64_e32 v[6:7], v[4:5]
	v_fma_f64 v[31:32], -v[4:5], v[6:7], 1.0
	v_fma_f64 v[6:7], v[6:7], v[31:32], v[6:7]
	v_fma_f64 v[31:32], -v[4:5], v[6:7], 1.0
	v_fma_f64 v[6:7], v[6:7], v[31:32], v[6:7]
	v_div_scale_f64 v[31:32], vcc, 1.0, v[2:3], 1.0
	v_mul_f64 v[33:34], v[31:32], v[6:7]
	v_fma_f64 v[4:5], -v[4:5], v[33:34], v[31:32]
	s_nop 1
	v_div_fmas_f64 v[4:5], v[4:5], v[6:7], v[33:34]
	v_div_fixup_f64 v[2:3], v[4:5], v[2:3], 1.0
	v_mul_f64 v[0:1], v[0:1], v[2:3]
	v_mul_f64 v[2:3], v[0:1], s[64:65]
	v_cmp_nlt_f64_e32 vcc, s[26:27], v[0:1]
	v_cmp_ngt_f64_e64 s[0:1], s[28:29], v[0:1]
	v_rndne_f64_e32 v[2:3], v[2:3]
	v_fma_f64 v[4:5], v[2:3], s[66:67], v[0:1]
	v_fma_f64 v[4:5], v[2:3], s[68:69], v[4:5]
	v_cvt_i32_f64_e32 v2, v[2:3]
	v_mul_f64 v[6:7], v[4:5], s[70:71]
	v_fma_f64 v[4:5], v[4:5], s[72:73], v[6:7]
	v_fma_f64 v[6:7], v[4:5], s[2:3], v[8:9]
	;; [unrolled: 1-line block ×10, first 2 shown]
	v_fma_f64 v[6:7], v[4:5], v[6:7], 1.0
	v_fma_f64 v[4:5], v[4:5], v[6:7], 1.0
	v_ldexp_f64 v[2:3], v[4:5], v2
	v_cndmask_b32_e32 v3, v51, v3, vcc
	s_and_b64 vcc, s[0:1], vcc
	v_cndmask_b32_e32 v0, 0, v2, vcc
	v_cndmask_b32_e64 v1, 0, v3, s[0:1]
	v_mul_f64 v[0:1], v[29:30], v[0:1]
	v_mul_f64 v[2:3], v[27:28], v[0:1]
	global_store_dwordx2 v[25:26], v[2:3], off
	v_add_co_u32_e32 v2, vcc, s14, v23
	v_addc_co_u32_e32 v3, vcc, v56, v24, vcc
	global_load_dwordx2 v[4:5], v[2:3], off
	s_waitcnt vmcnt(0)
	v_mul_f64 v[0:1], v[4:5], v[0:1]
	global_store_dwordx2 v[2:3], v[0:1], off
	buffer_load_dword v0, off, s[88:91], 0 offset:16 ; 4-byte Folded Reload
	s_nop 0
	buffer_load_dword v1, off, s[88:91], 0 offset:20 ; 4-byte Folded Reload
	s_waitcnt vmcnt(1)
	v_add_co_u32_e32 v0, vcc, s16, v0
	s_waitcnt vmcnt(0)
	v_addc_co_u32_e32 v1, vcc, v52, v1, vcc
	global_load_dwordx2 v[2:3], v[0:1], off
	v_mad_u64_u32 v[0:1], s[0:1], s33, 15, v[22:23]
	v_mov_b32_e32 v1, v15
	v_lshlrev_b64 v[22:23], 3, v[0:1]
	v_add_u32_e32 v14, s13, v0
	v_add_co_u32_e32 v24, vcc, s12, v22
	v_addc_co_u32_e32 v25, vcc, v57, v23, vcc
	global_load_dwordx2 v[26:27], v[24:25], off
	s_waitcnt vmcnt(0)
	v_div_scale_f64 v[4:5], s[0:1], v[26:27], v[26:27], 1.0
	v_rcp_f64_e32 v[6:7], v[4:5]
	v_fma_f64 v[28:29], -v[4:5], v[6:7], 1.0
	v_fma_f64 v[6:7], v[6:7], v[28:29], v[6:7]
	v_fma_f64 v[28:29], -v[4:5], v[6:7], 1.0
	v_fma_f64 v[6:7], v[6:7], v[28:29], v[6:7]
	v_div_scale_f64 v[28:29], vcc, 1.0, v[26:27], 1.0
	v_mul_f64 v[30:31], v[28:29], v[6:7]
	v_fma_f64 v[4:5], -v[4:5], v[30:31], v[28:29]
	s_nop 1
	v_div_fmas_f64 v[4:5], v[4:5], v[6:7], v[30:31]
	v_div_fixup_f64 v[4:5], v[4:5], v[26:27], 1.0
	v_mul_f64 v[4:5], v[12:13], v[4:5]
	v_mul_f64 v[6:7], v[2:3], v[4:5]
	v_fma_f64 v[1:2], v[2:3], v[4:5], 1.0
	v_div_scale_f64 v[3:4], s[0:1], v[1:2], v[1:2], 1.0
	s_mov_b32 s0, 0xd2922395
	s_mov_b32 s1, 0xbf4de1a6
	v_rcp_f64_e32 v[12:13], v[3:4]
	v_fma_f64 v[28:29], -v[3:4], v[12:13], 1.0
	v_fma_f64 v[12:13], v[12:13], v[28:29], v[12:13]
	v_fma_f64 v[28:29], -v[3:4], v[12:13], 1.0
	v_fma_f64 v[12:13], v[12:13], v[28:29], v[12:13]
	v_div_scale_f64 v[28:29], vcc, 1.0, v[1:2], 1.0
	v_mul_f64 v[30:31], v[28:29], v[12:13]
	v_fma_f64 v[3:4], -v[3:4], v[30:31], v[28:29]
	s_nop 1
	v_div_fmas_f64 v[3:4], v[3:4], v[12:13], v[30:31]
	v_div_fixup_f64 v[1:2], v[3:4], v[1:2], 1.0
	v_mul_f64 v[12:13], v[6:7], v[1:2]
	v_max_f64 v[1:2], v[6:7], s[56:57]
	v_frexp_mant_f64_e32 v[3:4], v[1:2]
	v_frexp_exp_i32_f64_e32 v5, v[1:2]
	v_cmp_gt_f64_e32 vcc, s[54:55], v[3:4]
	v_cndmask_b32_e64 v6, 0, 1, vcc
	v_ldexp_f64 v[3:4], v[3:4], v6
	v_subbrev_co_u32_e32 v7, vcc, 0, v5, vcc
	v_cmp_neq_f64_e32 vcc, s[30:31], v[1:2]
	v_mul_f64 v[1:2], v[53:54], s[0:1]
	v_add_f64 v[28:29], v[3:4], 1.0
	v_add_f64 v[5:6], v[3:4], -1.0
	v_cmp_ngt_f64_e64 s[0:1], s[28:29], v[1:2]
	v_add_f64 v[30:31], v[28:29], -1.0
	v_add_f64 v[3:4], v[3:4], -v[30:31]
	v_rcp_f64_e32 v[30:31], v[28:29]
	v_fma_f64 v[32:33], -v[28:29], v[30:31], 1.0
	v_fma_f64 v[30:31], v[32:33], v[30:31], v[30:31]
	v_fma_f64 v[32:33], -v[28:29], v[30:31], 1.0
	v_fma_f64 v[30:31], v[32:33], v[30:31], v[30:31]
	v_mul_f64 v[32:33], v[5:6], v[30:31]
	v_mul_f64 v[34:35], v[28:29], v[32:33]
	v_fma_f64 v[28:29], v[32:33], v[28:29], -v[34:35]
	v_fma_f64 v[3:4], v[32:33], v[3:4], v[28:29]
	v_add_f64 v[28:29], v[34:35], v[3:4]
	v_add_f64 v[36:37], v[5:6], -v[28:29]
	v_add_f64 v[34:35], v[28:29], -v[34:35]
	;; [unrolled: 1-line block ×5, first 2 shown]
	v_add_f64 v[3:4], v[3:4], v[5:6]
	v_add_f64 v[3:4], v[36:37], v[3:4]
	v_mul_f64 v[3:4], v[30:31], v[3:4]
	v_add_f64 v[5:6], v[32:33], v[3:4]
	v_add_f64 v[28:29], v[5:6], -v[32:33]
	v_ldexp_f64 v[32:33], v[5:6], 1
	v_add_f64 v[3:4], v[3:4], -v[28:29]
	v_mul_f64 v[28:29], v[5:6], v[5:6]
	v_ldexp_f64 v[3:4], v[3:4], 1
	v_fma_f64 v[30:31], v[28:29], s[42:43], v[10:11]
	v_mul_f64 v[5:6], v[5:6], v[28:29]
	v_fma_f64 v[30:31], v[28:29], v[30:31], s[44:45]
	v_fma_f64 v[30:31], v[28:29], v[30:31], s[46:47]
	;; [unrolled: 1-line block ×5, first 2 shown]
	v_mul_f64 v[5:6], v[5:6], v[30:31]
	v_add_f64 v[28:29], v[32:33], v[5:6]
	v_add_f64 v[30:31], v[28:29], -v[32:33]
	v_add_f64 v[5:6], v[5:6], -v[30:31]
	v_add_f64 v[3:4], v[3:4], v[5:6]
	v_add_f64 v[5:6], v[28:29], v[3:4]
	v_add_f64 v[28:29], v[5:6], -v[28:29]
	v_add_f64 v[3:4], v[3:4], -v[28:29]
	v_cvt_f64_i32_e32 v[28:29], v7
	v_mul_f64 v[30:31], v[28:29], s[38:39]
	v_fma_f64 v[32:33], v[28:29], s[38:39], -v[30:31]
	v_fma_f64 v[28:29], v[28:29], s[40:41], v[32:33]
	v_add_f64 v[32:33], v[30:31], v[28:29]
	v_add_f64 v[30:31], v[32:33], -v[30:31]
	v_add_f64 v[28:29], v[28:29], -v[30:31]
	v_mul_f64 v[30:31], v[5:6], s[36:37]
	v_fma_f64 v[34:35], v[5:6], s[36:37], -v[30:31]
	v_fma_f64 v[3:4], v[3:4], s[36:37], v[34:35]
	v_fma_f64 v[3:4], v[5:6], s[34:35], v[3:4]
	v_add_f64 v[5:6], v[30:31], v[3:4]
	v_add_f64 v[30:31], v[5:6], -v[30:31]
	v_add_f64 v[3:4], v[3:4], -v[30:31]
	v_add_f64 v[30:31], v[32:33], v[5:6]
	v_add_f64 v[34:35], v[30:31], -v[32:33]
	v_add_f64 v[36:37], v[30:31], -v[34:35]
	v_add_f64 v[5:6], v[5:6], -v[34:35]
	v_add_f64 v[32:33], v[32:33], -v[36:37]
	v_add_f64 v[5:6], v[5:6], v[32:33]
	v_add_f64 v[32:33], v[28:29], v[3:4]
	v_add_f64 v[34:35], v[32:33], -v[28:29]
	v_add_f64 v[5:6], v[32:33], v[5:6]
	v_add_f64 v[36:37], v[32:33], -v[34:35]
	v_add_f64 v[3:4], v[3:4], -v[34:35]
	;; [unrolled: 1-line block ×3, first 2 shown]
	v_add_f64 v[3:4], v[3:4], v[28:29]
	v_add_f64 v[28:29], v[30:31], v[5:6]
	v_add_f64 v[30:31], v[28:29], -v[30:31]
	v_add_f64 v[5:6], v[5:6], -v[30:31]
	v_add_f64 v[3:4], v[3:4], v[5:6]
	v_add_f64 v[3:4], v[28:29], v[3:4]
	v_cndmask_b32_e32 v29, v51, v4, vcc
	v_cndmask_b32_e32 v28, 0, v3, vcc
	v_mul_f64 v[3:4], v[1:2], s[58:59]
	v_cmp_nlt_f64_e32 vcc, s[26:27], v[1:2]
	v_rndne_f64_e32 v[3:4], v[3:4]
	v_fma_f64 v[5:6], v[3:4], s[60:61], v[1:2]
	v_fma_f64 v[5:6], v[3:4], s[62:63], v[5:6]
	v_cvt_i32_f64_e32 v3, v[3:4]
	v_fma_f64 v[30:31], v[5:6], s[2:3], v[8:9]
	v_fma_f64 v[30:31], v[5:6], v[30:31], s[4:5]
	;; [unrolled: 1-line block ×9, first 2 shown]
	v_fma_f64 v[30:31], v[5:6], v[30:31], 1.0
	v_fma_f64 v[5:6], v[5:6], v[30:31], 1.0
	v_ldexp_f64 v[3:4], v[5:6], v3
	v_cndmask_b32_e32 v4, v51, v4, vcc
	s_and_b64 vcc, s[0:1], vcc
	v_cndmask_b32_e32 v1, 0, v3, vcc
	v_cndmask_b32_e64 v2, 0, v4, s[0:1]
	v_mul_f64 v[3:4], v[1:2], s[80:81]
	s_mov_b32 s0, 0xf5c28f5c
	s_mov_b32 s1, 0x3fef5c28
	v_fma_f64 v[1:2], v[1:2], s[0:1], v[3:4]
	s_mov_b32 s0, 0
	s_mov_b32 s1, 0xc0bacb80
	v_mul_f64 v[3:4], v[20:21], s[0:1]
	v_mul_f64 v[5:6], v[3:4], s[58:59]
	v_cmp_nlt_f64_e32 vcc, s[26:27], v[3:4]
	v_cmp_ngt_f64_e64 s[0:1], s[28:29], v[3:4]
	v_rndne_f64_e32 v[5:6], v[5:6]
	v_fma_f64 v[30:31], v[5:6], s[60:61], v[3:4]
	v_fma_f64 v[30:31], v[5:6], s[62:63], v[30:31]
	v_cvt_i32_f64_e32 v5, v[5:6]
	v_fma_f64 v[32:33], v[30:31], s[2:3], v[8:9]
	v_fma_f64 v[32:33], v[30:31], v[32:33], s[4:5]
	;; [unrolled: 1-line block ×9, first 2 shown]
	v_fma_f64 v[32:33], v[30:31], v[32:33], 1.0
	v_fma_f64 v[30:31], v[30:31], v[32:33], 1.0
	v_ldexp_f64 v[5:6], v[30:31], v5
	v_cndmask_b32_e32 v6, v51, v6, vcc
	s_and_b64 vcc, s[0:1], vcc
	v_cndmask_b32_e32 v3, 0, v5, vcc
	v_cndmask_b32_e64 v4, 0, v6, s[0:1]
	v_add_f64 v[1:2], v[3:4], v[1:2]
	v_max_f64 v[30:31], v[1:2], s[56:57]
	v_frexp_mant_f64_e32 v[1:2], v[30:31]
	v_frexp_exp_i32_f64_e32 v3, v[30:31]
	v_cmp_gt_f64_e32 vcc, s[54:55], v[1:2]
	v_cndmask_b32_e64 v4, 0, 1, vcc
	v_ldexp_f64 v[1:2], v[1:2], v4
	v_subbrev_co_u32_e32 v7, vcc, 0, v3, vcc
	v_cmp_neq_f64_e32 vcc, s[30:31], v[30:31]
	v_add_f64 v[5:6], v[1:2], 1.0
	v_add_f64 v[3:4], v[1:2], -1.0
	v_add_f64 v[32:33], v[5:6], -1.0
	v_add_f64 v[1:2], v[1:2], -v[32:33]
	v_rcp_f64_e32 v[32:33], v[5:6]
	v_fma_f64 v[34:35], -v[5:6], v[32:33], 1.0
	v_fma_f64 v[32:33], v[34:35], v[32:33], v[32:33]
	v_fma_f64 v[34:35], -v[5:6], v[32:33], 1.0
	v_fma_f64 v[32:33], v[34:35], v[32:33], v[32:33]
	v_mul_f64 v[34:35], v[3:4], v[32:33]
	v_mul_f64 v[36:37], v[5:6], v[34:35]
	v_fma_f64 v[5:6], v[34:35], v[5:6], -v[36:37]
	v_fma_f64 v[1:2], v[34:35], v[1:2], v[5:6]
	v_add_f64 v[5:6], v[36:37], v[1:2]
	v_add_f64 v[38:39], v[3:4], -v[5:6]
	v_add_f64 v[36:37], v[5:6], -v[36:37]
	v_add_f64 v[3:4], v[3:4], -v[38:39]
	v_add_f64 v[1:2], v[36:37], -v[1:2]
	v_add_f64 v[3:4], v[3:4], -v[5:6]
	v_add_f64 v[1:2], v[1:2], v[3:4]
	v_add_f64 v[1:2], v[38:39], v[1:2]
	v_mul_f64 v[1:2], v[32:33], v[1:2]
	v_add_f64 v[3:4], v[34:35], v[1:2]
	v_add_f64 v[5:6], v[3:4], -v[34:35]
	v_ldexp_f64 v[34:35], v[3:4], 1
	v_add_f64 v[1:2], v[1:2], -v[5:6]
	v_mul_f64 v[5:6], v[3:4], v[3:4]
	v_ldexp_f64 v[1:2], v[1:2], 1
	v_fma_f64 v[32:33], v[5:6], s[42:43], v[10:11]
	v_mul_f64 v[3:4], v[3:4], v[5:6]
	v_fma_f64 v[32:33], v[5:6], v[32:33], s[44:45]
	v_fma_f64 v[32:33], v[5:6], v[32:33], s[46:47]
	;; [unrolled: 1-line block ×5, first 2 shown]
	v_mul_f64 v[3:4], v[3:4], v[32:33]
	v_add_f64 v[5:6], v[34:35], v[3:4]
	v_add_f64 v[32:33], v[5:6], -v[34:35]
	v_add_f64 v[3:4], v[3:4], -v[32:33]
	v_add_f64 v[1:2], v[1:2], v[3:4]
	v_add_f64 v[3:4], v[5:6], v[1:2]
	v_add_f64 v[5:6], v[3:4], -v[5:6]
	v_add_f64 v[1:2], v[1:2], -v[5:6]
	v_cvt_f64_i32_e32 v[5:6], v7
	v_mul_f64 v[32:33], v[5:6], s[38:39]
	v_fma_f64 v[34:35], v[5:6], s[38:39], -v[32:33]
	v_fma_f64 v[5:6], v[5:6], s[40:41], v[34:35]
	v_add_f64 v[36:37], v[32:33], v[5:6]
	v_add_f64 v[32:33], v[36:37], -v[32:33]
	v_add_f64 v[32:33], v[5:6], -v[32:33]
	v_mul_f64 v[5:6], v[3:4], s[36:37]
	v_fma_f64 v[34:35], v[3:4], s[36:37], -v[5:6]
	v_fma_f64 v[1:2], v[1:2], s[36:37], v[34:35]
	v_fma_f64 v[1:2], v[3:4], s[34:35], v[1:2]
	v_add_f64 v[3:4], v[5:6], v[1:2]
	v_add_f64 v[5:6], v[3:4], -v[5:6]
	v_add_f64 v[34:35], v[36:37], v[3:4]
	v_add_f64 v[38:39], v[1:2], -v[5:6]
	v_add_f64 v[1:2], v[34:35], -v[36:37]
	;; [unrolled: 1-line block ×5, first 2 shown]
	v_add_f64 v[36:37], v[1:2], v[5:6]
	v_add_f64 v[1:2], v[32:33], v[38:39]
	v_add_f64 v[3:4], v[1:2], -v[32:33]
	v_add_f64 v[5:6], v[1:2], -v[3:4]
	;; [unrolled: 1-line block ×3, first 2 shown]
	v_add_f64 v[1:2], v[1:2], v[36:37]
	v_add_f64 v[5:6], v[32:33], -v[5:6]
	v_add_f64 v[3:4], v[3:4], v[5:6]
	v_add_f64 v[5:6], v[34:35], v[1:2]
	v_add_f64 v[32:33], v[5:6], -v[34:35]
	v_add_f64 v[1:2], v[1:2], -v[32:33]
	v_add_f64 v[1:2], v[3:4], v[1:2]
	v_add_f64 v[1:2], v[5:6], v[1:2]
	v_cndmask_b32_e32 v2, v51, v2, vcc
	v_cndmask_b32_e32 v1, 0, v1, vcc
	v_fma_f64 v[5:6], v[1:2], s[76:77], v[18:19]
	v_fma_f64 v[3:4], v[1:2], s[74:75], v[16:17]
	v_add_f64 v[5:6], v[28:29], -v[5:6]
	v_fma_f64 v[3:4], v[5:6], s[78:79], v[3:4]
	v_div_scale_f64 v[28:29], s[0:1], v[3:4], v[3:4], 1.0
	v_rcp_f64_e32 v[30:31], v[28:29]
	v_fma_f64 v[32:33], -v[28:29], v[30:31], 1.0
	v_fma_f64 v[30:31], v[30:31], v[32:33], v[30:31]
	v_fma_f64 v[32:33], -v[28:29], v[30:31], 1.0
	v_fma_f64 v[30:31], v[30:31], v[32:33], v[30:31]
	v_div_scale_f64 v[32:33], vcc, 1.0, v[3:4], 1.0
	v_mul_f64 v[34:35], v[32:33], v[30:31]
	v_fma_f64 v[28:29], -v[28:29], v[34:35], v[32:33]
	s_nop 1
	v_div_fmas_f64 v[28:29], v[28:29], v[30:31], v[34:35]
	v_div_fixup_f64 v[3:4], v[28:29], v[3:4], 1.0
	v_mul_f64 v[3:4], v[5:6], v[3:4]
	v_fma_f64 v[3:4], v[3:4], v[3:4], 1.0
	v_div_scale_f64 v[5:6], s[0:1], v[3:4], v[3:4], 1.0
	v_rcp_f64_e32 v[28:29], v[5:6]
	v_fma_f64 v[30:31], -v[5:6], v[28:29], 1.0
	v_fma_f64 v[28:29], v[28:29], v[30:31], v[28:29]
	v_fma_f64 v[30:31], -v[5:6], v[28:29], 1.0
	v_fma_f64 v[28:29], v[28:29], v[30:31], v[28:29]
	v_div_scale_f64 v[30:31], vcc, 1.0, v[3:4], 1.0
	v_mul_f64 v[32:33], v[30:31], v[28:29]
	v_fma_f64 v[5:6], -v[5:6], v[32:33], v[30:31]
	s_nop 1
	v_div_fmas_f64 v[5:6], v[5:6], v[28:29], v[32:33]
	v_div_fixup_f64 v[3:4], v[5:6], v[3:4], 1.0
	v_mul_f64 v[1:2], v[1:2], v[3:4]
	v_mul_f64 v[3:4], v[1:2], s[64:65]
	v_cmp_nlt_f64_e32 vcc, s[26:27], v[1:2]
	v_cmp_ngt_f64_e64 s[0:1], s[28:29], v[1:2]
	v_rndne_f64_e32 v[3:4], v[3:4]
	v_fma_f64 v[5:6], v[3:4], s[66:67], v[1:2]
	v_fma_f64 v[5:6], v[3:4], s[68:69], v[5:6]
	v_cvt_i32_f64_e32 v3, v[3:4]
	v_mul_f64 v[28:29], v[5:6], s[70:71]
	v_fma_f64 v[5:6], v[5:6], s[72:73], v[28:29]
	v_fma_f64 v[28:29], v[5:6], s[2:3], v[8:9]
	;; [unrolled: 1-line block ×10, first 2 shown]
	v_fma_f64 v[28:29], v[5:6], v[28:29], 1.0
	v_fma_f64 v[5:6], v[5:6], v[28:29], 1.0
	v_ldexp_f64 v[3:4], v[5:6], v3
	v_cndmask_b32_e32 v4, v51, v4, vcc
	s_and_b64 vcc, s[0:1], vcc
	v_cndmask_b32_e32 v1, 0, v3, vcc
	v_cndmask_b32_e64 v2, 0, v4, s[0:1]
	v_mul_f64 v[1:2], v[12:13], v[1:2]
	v_mul_f64 v[3:4], v[26:27], v[1:2]
	global_store_dwordx2 v[24:25], v[3:4], off
	v_add_co_u32_e32 v3, vcc, s14, v22
	v_addc_co_u32_e32 v4, vcc, v56, v23, vcc
	global_load_dwordx2 v[5:6], v[3:4], off
	s_waitcnt vmcnt(0)
	v_mul_f64 v[1:2], v[5:6], v[1:2]
	global_store_dwordx2 v[3:4], v[1:2], off
	buffer_load_dword v1, off, s[88:91], 0  ; 4-byte Folded Reload
	s_nop 0
	buffer_load_dword v2, off, s[88:91], 0 offset:4 ; 4-byte Folded Reload
	s_waitcnt vmcnt(1)
	v_add_co_u32_e32 v1, vcc, s16, v1
	s_waitcnt vmcnt(0)
	v_addc_co_u32_e32 v2, vcc, v52, v2, vcc
	global_load_dwordx2 v[6:7], v[1:2], off
	v_lshlrev_b64 v[2:3], 3, v[14:15]
	v_add_co_u32_e32 v4, vcc, s12, v2
	v_addc_co_u32_e32 v5, vcc, v57, v3, vcc
	global_load_dwordx2 v[12:13], v[4:5], off
	s_waitcnt vmcnt(0)
	v_div_scale_f64 v[0:1], s[0:1], v[12:13], v[12:13], 1.0
	v_rcp_f64_e32 v[14:15], v[0:1]
	v_fma_f64 v[22:23], -v[0:1], v[14:15], 1.0
	v_fma_f64 v[14:15], v[14:15], v[22:23], v[14:15]
	v_fma_f64 v[22:23], -v[0:1], v[14:15], 1.0
	v_fma_f64 v[14:15], v[14:15], v[22:23], v[14:15]
	v_div_scale_f64 v[22:23], vcc, 1.0, v[12:13], 1.0
	v_mul_f64 v[24:25], v[22:23], v[14:15]
	v_fma_f64 v[0:1], -v[0:1], v[24:25], v[22:23]
	s_nop 1
	v_div_fmas_f64 v[0:1], v[0:1], v[14:15], v[24:25]
	buffer_load_dword v14, off, s[88:91], 0 offset:8 ; 4-byte Folded Reload
	buffer_load_dword v15, off, s[88:91], 0 offset:12 ; 4-byte Folded Reload
	v_div_fixup_f64 v[0:1], v[0:1], v[12:13], 1.0
	s_waitcnt vmcnt(0)
	v_mul_f64 v[0:1], v[14:15], v[0:1]
	v_mul_f64 v[14:15], v[6:7], v[0:1]
	v_fma_f64 v[0:1], v[6:7], v[0:1], 1.0
	v_div_scale_f64 v[6:7], s[0:1], v[0:1], v[0:1], 1.0
	v_rcp_f64_e32 v[22:23], v[6:7]
	v_fma_f64 v[24:25], -v[6:7], v[22:23], 1.0
	v_fma_f64 v[22:23], v[22:23], v[24:25], v[22:23]
	v_fma_f64 v[24:25], -v[6:7], v[22:23], 1.0
	v_fma_f64 v[22:23], v[22:23], v[24:25], v[22:23]
	v_div_scale_f64 v[24:25], vcc, 1.0, v[0:1], 1.0
	v_mul_f64 v[26:27], v[24:25], v[22:23]
	v_fma_f64 v[6:7], -v[6:7], v[26:27], v[24:25]
	s_nop 1
	v_div_fmas_f64 v[6:7], v[6:7], v[22:23], v[26:27]
	v_div_fixup_f64 v[0:1], v[6:7], v[0:1], 1.0
	v_mul_f64 v[6:7], v[14:15], v[0:1]
	v_max_f64 v[0:1], v[14:15], s[56:57]
	v_frexp_mant_f64_e32 v[14:15], v[0:1]
	v_frexp_exp_i32_f64_e32 v22, v[0:1]
	v_cmp_gt_f64_e32 vcc, s[54:55], v[14:15]
	v_cndmask_b32_e64 v23, 0, 1, vcc
	v_ldexp_f64 v[14:15], v[14:15], v23
	v_subbrev_co_u32_e32 v34, vcc, 0, v22, vcc
	v_cmp_neq_f64_e32 vcc, s[30:31], v[0:1]
	v_mul_f64 v[0:1], v[53:54], s[82:83]
	v_add_f64 v[24:25], v[14:15], 1.0
	v_add_f64 v[22:23], v[14:15], -1.0
	v_cmp_ngt_f64_e64 s[0:1], s[28:29], v[0:1]
	v_add_f64 v[26:27], v[24:25], -1.0
	v_add_f64 v[14:15], v[14:15], -v[26:27]
	v_rcp_f64_e32 v[26:27], v[24:25]
	v_fma_f64 v[28:29], -v[24:25], v[26:27], 1.0
	v_fma_f64 v[26:27], v[28:29], v[26:27], v[26:27]
	v_fma_f64 v[28:29], -v[24:25], v[26:27], 1.0
	v_fma_f64 v[26:27], v[28:29], v[26:27], v[26:27]
	v_mul_f64 v[28:29], v[22:23], v[26:27]
	v_mul_f64 v[30:31], v[24:25], v[28:29]
	v_fma_f64 v[24:25], v[28:29], v[24:25], -v[30:31]
	v_fma_f64 v[14:15], v[28:29], v[14:15], v[24:25]
	v_add_f64 v[24:25], v[30:31], v[14:15]
	v_add_f64 v[32:33], v[22:23], -v[24:25]
	v_add_f64 v[30:31], v[24:25], -v[30:31]
	;; [unrolled: 1-line block ×5, first 2 shown]
	v_add_f64 v[14:15], v[14:15], v[22:23]
	v_add_f64 v[14:15], v[32:33], v[14:15]
	v_mul_f64 v[14:15], v[26:27], v[14:15]
	v_add_f64 v[22:23], v[28:29], v[14:15]
	v_add_f64 v[24:25], v[22:23], -v[28:29]
	v_ldexp_f64 v[28:29], v[22:23], 1
	v_add_f64 v[14:15], v[14:15], -v[24:25]
	v_mul_f64 v[24:25], v[22:23], v[22:23]
	v_ldexp_f64 v[14:15], v[14:15], 1
	v_fma_f64 v[26:27], v[24:25], s[42:43], v[10:11]
	v_mul_f64 v[22:23], v[22:23], v[24:25]
	v_fma_f64 v[26:27], v[24:25], v[26:27], s[44:45]
	v_fma_f64 v[26:27], v[24:25], v[26:27], s[46:47]
	;; [unrolled: 1-line block ×5, first 2 shown]
	v_mul_f64 v[22:23], v[22:23], v[26:27]
	v_add_f64 v[24:25], v[28:29], v[22:23]
	v_add_f64 v[26:27], v[24:25], -v[28:29]
	v_add_f64 v[22:23], v[22:23], -v[26:27]
	v_add_f64 v[14:15], v[14:15], v[22:23]
	v_add_f64 v[22:23], v[24:25], v[14:15]
	v_add_f64 v[24:25], v[22:23], -v[24:25]
	v_add_f64 v[14:15], v[14:15], -v[24:25]
	v_cvt_f64_i32_e32 v[24:25], v34
	v_mul_f64 v[26:27], v[24:25], s[38:39]
	v_fma_f64 v[28:29], v[24:25], s[38:39], -v[26:27]
	v_fma_f64 v[24:25], v[24:25], s[40:41], v[28:29]
	v_add_f64 v[28:29], v[26:27], v[24:25]
	v_add_f64 v[26:27], v[28:29], -v[26:27]
	v_add_f64 v[24:25], v[24:25], -v[26:27]
	v_mul_f64 v[26:27], v[22:23], s[36:37]
	v_fma_f64 v[30:31], v[22:23], s[36:37], -v[26:27]
	v_fma_f64 v[14:15], v[14:15], s[36:37], v[30:31]
	v_fma_f64 v[14:15], v[22:23], s[34:35], v[14:15]
	v_add_f64 v[22:23], v[26:27], v[14:15]
	v_add_f64 v[26:27], v[22:23], -v[26:27]
	v_add_f64 v[14:15], v[14:15], -v[26:27]
	v_add_f64 v[26:27], v[28:29], v[22:23]
	v_add_f64 v[30:31], v[26:27], -v[28:29]
	v_add_f64 v[32:33], v[26:27], -v[30:31]
	;; [unrolled: 1-line block ×4, first 2 shown]
	v_add_f64 v[22:23], v[22:23], v[28:29]
	v_add_f64 v[28:29], v[24:25], v[14:15]
	v_add_f64 v[30:31], v[28:29], -v[24:25]
	v_add_f64 v[22:23], v[28:29], v[22:23]
	v_add_f64 v[32:33], v[28:29], -v[30:31]
	v_add_f64 v[14:15], v[14:15], -v[30:31]
	;; [unrolled: 1-line block ×3, first 2 shown]
	v_add_f64 v[14:15], v[14:15], v[24:25]
	v_add_f64 v[24:25], v[26:27], v[22:23]
	v_add_f64 v[26:27], v[24:25], -v[26:27]
	v_add_f64 v[22:23], v[22:23], -v[26:27]
	v_add_f64 v[14:15], v[14:15], v[22:23]
	v_mul_f64 v[22:23], v[0:1], s[58:59]
	v_add_f64 v[14:15], v[24:25], v[14:15]
	v_rndne_f64_e32 v[22:23], v[22:23]
	v_cndmask_b32_e32 v15, v51, v15, vcc
	v_fma_f64 v[24:25], v[22:23], s[60:61], v[0:1]
	v_cndmask_b32_e32 v14, 0, v14, vcc
	v_cmp_nlt_f64_e32 vcc, s[26:27], v[0:1]
	v_fma_f64 v[24:25], v[22:23], s[62:63], v[24:25]
	v_cvt_i32_f64_e32 v22, v[22:23]
	v_fma_f64 v[26:27], v[24:25], s[2:3], v[8:9]
	v_fma_f64 v[26:27], v[24:25], v[26:27], s[4:5]
	;; [unrolled: 1-line block ×9, first 2 shown]
	v_fma_f64 v[26:27], v[24:25], v[26:27], 1.0
	v_fma_f64 v[24:25], v[24:25], v[26:27], 1.0
	v_ldexp_f64 v[22:23], v[24:25], v22
	v_mov_b32_e32 v24, 0x7ff80000
	v_mul_f64 v[22:23], v[22:23], 0
	v_cndmask_b32_e32 v23, v24, v23, vcc
	s_and_b64 vcc, s[0:1], vcc
	v_cndmask_b32_e64 v23, 0, v23, s[0:1]
	s_mov_b32 s0, 0x7ea1cec1
	s_mov_b32 s1, 0xbf490384
	v_mul_f64 v[0:1], v[53:54], s[0:1]
	v_cndmask_b32_e32 v22, 0, v22, vcc
	v_mul_f64 v[24:25], v[0:1], s[58:59]
	v_cmp_nlt_f64_e32 vcc, s[26:27], v[0:1]
	v_cmp_ngt_f64_e64 s[0:1], s[28:29], v[0:1]
	v_rndne_f64_e32 v[24:25], v[24:25]
	v_fma_f64 v[26:27], v[24:25], s[60:61], v[0:1]
	v_fma_f64 v[26:27], v[24:25], s[62:63], v[26:27]
	v_cvt_i32_f64_e32 v24, v[24:25]
	v_fma_f64 v[28:29], v[26:27], s[2:3], v[8:9]
	v_fma_f64 v[28:29], v[26:27], v[28:29], s[4:5]
	;; [unrolled: 1-line block ×9, first 2 shown]
	v_fma_f64 v[28:29], v[26:27], v[28:29], 1.0
	v_fma_f64 v[26:27], v[26:27], v[28:29], 1.0
	v_ldexp_f64 v[24:25], v[26:27], v24
	v_cndmask_b32_e32 v25, v51, v25, vcc
	s_and_b64 vcc, s[0:1], vcc
	v_cndmask_b32_e64 v1, 0, v25, s[0:1]
	s_mov_b32 s0, 0
	s_mov_b32 s1, 0xc0e77c20
	v_mul_f64 v[20:21], v[20:21], s[0:1]
	v_cndmask_b32_e32 v0, 0, v24, vcc
	v_add_f64 v[0:1], v[0:1], v[22:23]
	v_mul_f64 v[22:23], v[20:21], s[58:59]
	v_cmp_nlt_f64_e32 vcc, s[26:27], v[20:21]
	v_cmp_ngt_f64_e64 s[0:1], s[28:29], v[20:21]
	v_rndne_f64_e32 v[22:23], v[22:23]
	v_fma_f64 v[24:25], v[22:23], s[60:61], v[20:21]
	v_fma_f64 v[24:25], v[22:23], s[62:63], v[24:25]
	v_cvt_i32_f64_e32 v22, v[22:23]
	v_fma_f64 v[26:27], v[24:25], s[2:3], v[8:9]
	v_fma_f64 v[26:27], v[24:25], v[26:27], s[4:5]
	;; [unrolled: 1-line block ×9, first 2 shown]
	v_fma_f64 v[26:27], v[24:25], v[26:27], 1.0
	v_fma_f64 v[24:25], v[24:25], v[26:27], 1.0
	v_ldexp_f64 v[22:23], v[24:25], v22
	v_cndmask_b32_e32 v23, v51, v23, vcc
	s_and_b64 vcc, s[0:1], vcc
	v_cndmask_b32_e32 v20, 0, v22, vcc
	v_cndmask_b32_e64 v21, 0, v23, s[0:1]
	v_add_f64 v[0:1], v[20:21], v[0:1]
	v_max_f64 v[0:1], v[0:1], s[56:57]
	v_frexp_mant_f64_e32 v[20:21], v[0:1]
	v_frexp_exp_i32_f64_e32 v23, v[0:1]
	v_cmp_gt_f64_e32 vcc, s[54:55], v[20:21]
	v_cndmask_b32_e64 v22, 0, 1, vcc
	v_ldexp_f64 v[21:22], v[20:21], v22
	v_subbrev_co_u32_e32 v20, vcc, 0, v23, vcc
	v_cmp_neq_f64_e32 vcc, s[30:31], v[0:1]
	v_add_f64 v[25:26], v[21:22], 1.0
	v_add_f64 v[23:24], v[21:22], -1.0
	v_add_f64 v[27:28], v[25:26], -1.0
	v_add_f64 v[21:22], v[21:22], -v[27:28]
	v_rcp_f64_e32 v[27:28], v[25:26]
	v_fma_f64 v[29:30], -v[25:26], v[27:28], 1.0
	v_fma_f64 v[27:28], v[29:30], v[27:28], v[27:28]
	v_fma_f64 v[29:30], -v[25:26], v[27:28], 1.0
	v_fma_f64 v[27:28], v[29:30], v[27:28], v[27:28]
	v_mul_f64 v[29:30], v[23:24], v[27:28]
	v_mul_f64 v[31:32], v[25:26], v[29:30]
	v_fma_f64 v[25:26], v[29:30], v[25:26], -v[31:32]
	v_fma_f64 v[21:22], v[29:30], v[21:22], v[25:26]
	v_add_f64 v[25:26], v[31:32], v[21:22]
	v_add_f64 v[33:34], v[23:24], -v[25:26]
	v_add_f64 v[31:32], v[25:26], -v[31:32]
	;; [unrolled: 1-line block ×5, first 2 shown]
	v_add_f64 v[21:22], v[21:22], v[23:24]
	v_add_f64 v[21:22], v[33:34], v[21:22]
	v_mul_f64 v[21:22], v[27:28], v[21:22]
	v_add_f64 v[23:24], v[29:30], v[21:22]
	v_add_f64 v[25:26], v[23:24], -v[29:30]
	v_ldexp_f64 v[27:28], v[23:24], 1
	v_add_f64 v[21:22], v[21:22], -v[25:26]
	v_mul_f64 v[25:26], v[23:24], v[23:24]
	v_ldexp_f64 v[21:22], v[21:22], 1
	v_fma_f64 v[10:11], v[25:26], s[42:43], v[10:11]
	v_mul_f64 v[23:24], v[23:24], v[25:26]
	v_fma_f64 v[10:11], v[25:26], v[10:11], s[44:45]
	v_fma_f64 v[10:11], v[25:26], v[10:11], s[46:47]
	;; [unrolled: 1-line block ×5, first 2 shown]
	v_mul_f64 v[10:11], v[23:24], v[10:11]
	v_add_f64 v[23:24], v[27:28], v[10:11]
	v_add_f64 v[25:26], v[23:24], -v[27:28]
	v_add_f64 v[10:11], v[10:11], -v[25:26]
	v_add_f64 v[10:11], v[21:22], v[10:11]
	v_add_f64 v[21:22], v[23:24], v[10:11]
	v_add_f64 v[23:24], v[21:22], -v[23:24]
	v_add_f64 v[23:24], v[10:11], -v[23:24]
	v_cvt_f64_i32_e32 v[10:11], v20
	v_mul_f64 v[25:26], v[10:11], s[38:39]
	v_fma_f64 v[27:28], v[10:11], s[38:39], -v[25:26]
	v_fma_f64 v[10:11], v[10:11], s[40:41], v[27:28]
	v_add_f64 v[27:28], v[25:26], v[10:11]
	v_add_f64 v[25:26], v[27:28], -v[25:26]
	v_add_f64 v[10:11], v[10:11], -v[25:26]
	v_mul_f64 v[25:26], v[21:22], s[36:37]
	v_fma_f64 v[29:30], v[21:22], s[36:37], -v[25:26]
	v_fma_f64 v[23:24], v[23:24], s[36:37], v[29:30]
	v_fma_f64 v[20:21], v[21:22], s[34:35], v[23:24]
	v_add_f64 v[22:23], v[25:26], v[20:21]
	v_add_f64 v[24:25], v[22:23], -v[25:26]
	v_add_f64 v[24:25], v[20:21], -v[24:25]
	v_add_f64 v[20:21], v[27:28], v[22:23]
	v_add_f64 v[29:30], v[20:21], -v[27:28]
	v_add_f64 v[31:32], v[20:21], -v[29:30]
	v_add_f64 v[22:23], v[22:23], -v[29:30]
	v_add_f64 v[26:27], v[27:28], -v[31:32]
	v_add_f64 v[22:23], v[22:23], v[26:27]
	v_add_f64 v[26:27], v[10:11], v[24:25]
	v_add_f64 v[28:29], v[26:27], -v[10:11]
	v_add_f64 v[22:23], v[26:27], v[22:23]
	v_add_f64 v[30:31], v[26:27], -v[28:29]
	v_add_f64 v[24:25], v[24:25], -v[28:29]
	;; [unrolled: 1-line block ×3, first 2 shown]
	v_add_f64 v[10:11], v[24:25], v[10:11]
	v_add_f64 v[24:25], v[20:21], v[22:23]
	v_add_f64 v[20:21], v[24:25], -v[20:21]
	v_add_f64 v[20:21], v[22:23], -v[20:21]
	v_add_f64 v[10:11], v[10:11], v[20:21]
	v_add_f64 v[10:11], v[24:25], v[10:11]
	v_cndmask_b32_e32 v1, v51, v11, vcc
	v_cndmask_b32_e32 v0, 0, v10, vcc
	v_fma_f64 v[10:11], v[0:1], s[74:75], v[16:17]
	v_fma_f64 v[16:17], v[0:1], s[76:77], v[18:19]
	v_add_f64 v[14:15], v[14:15], -v[16:17]
	v_fma_f64 v[10:11], v[14:15], s[78:79], v[10:11]
	v_div_scale_f64 v[16:17], s[0:1], v[10:11], v[10:11], 1.0
	v_rcp_f64_e32 v[18:19], v[16:17]
	v_fma_f64 v[20:21], -v[16:17], v[18:19], 1.0
	v_fma_f64 v[18:19], v[18:19], v[20:21], v[18:19]
	v_fma_f64 v[20:21], -v[16:17], v[18:19], 1.0
	v_fma_f64 v[18:19], v[18:19], v[20:21], v[18:19]
	v_div_scale_f64 v[20:21], vcc, 1.0, v[10:11], 1.0
	v_mul_f64 v[22:23], v[20:21], v[18:19]
	v_fma_f64 v[16:17], -v[16:17], v[22:23], v[20:21]
	s_nop 1
	v_div_fmas_f64 v[16:17], v[16:17], v[18:19], v[22:23]
	v_div_fixup_f64 v[10:11], v[16:17], v[10:11], 1.0
	v_mul_f64 v[10:11], v[14:15], v[10:11]
	v_fma_f64 v[10:11], v[10:11], v[10:11], 1.0
	v_div_scale_f64 v[14:15], s[0:1], v[10:11], v[10:11], 1.0
	v_rcp_f64_e32 v[16:17], v[14:15]
	v_fma_f64 v[18:19], -v[14:15], v[16:17], 1.0
	v_fma_f64 v[16:17], v[16:17], v[18:19], v[16:17]
	v_fma_f64 v[18:19], -v[14:15], v[16:17], 1.0
	v_fma_f64 v[16:17], v[16:17], v[18:19], v[16:17]
	v_div_scale_f64 v[18:19], vcc, 1.0, v[10:11], 1.0
	v_mul_f64 v[20:21], v[18:19], v[16:17]
	v_fma_f64 v[14:15], -v[14:15], v[20:21], v[18:19]
	s_nop 1
	v_div_fmas_f64 v[14:15], v[14:15], v[16:17], v[20:21]
	v_div_fixup_f64 v[10:11], v[14:15], v[10:11], 1.0
	v_mul_f64 v[0:1], v[0:1], v[10:11]
	v_mul_f64 v[10:11], v[0:1], s[64:65]
	v_cmp_nlt_f64_e32 vcc, s[26:27], v[0:1]
	v_cmp_ngt_f64_e64 s[0:1], s[28:29], v[0:1]
	v_rndne_f64_e32 v[10:11], v[10:11]
	v_fma_f64 v[14:15], v[10:11], s[66:67], v[0:1]
	v_fma_f64 v[14:15], v[10:11], s[68:69], v[14:15]
	v_cvt_i32_f64_e32 v10, v[10:11]
	v_mul_f64 v[16:17], v[14:15], s[70:71]
	v_fma_f64 v[14:15], v[14:15], s[72:73], v[16:17]
	v_fma_f64 v[8:9], v[14:15], s[2:3], v[8:9]
	;; [unrolled: 1-line block ×10, first 2 shown]
	v_fma_f64 v[8:9], v[14:15], v[8:9], 1.0
	v_fma_f64 v[8:9], v[14:15], v[8:9], 1.0
	v_ldexp_f64 v[8:9], v[8:9], v10
	v_cndmask_b32_e32 v9, v51, v9, vcc
	s_and_b64 vcc, s[0:1], vcc
	v_cndmask_b32_e32 v0, 0, v8, vcc
	v_cndmask_b32_e64 v1, 0, v9, s[0:1]
	v_mul_f64 v[0:1], v[6:7], v[0:1]
	v_add_co_u32_e32 v2, vcc, s14, v2
	v_addc_co_u32_e32 v3, vcc, v56, v3, vcc
	v_mul_f64 v[6:7], v[12:13], v[0:1]
	global_store_dwordx2 v[4:5], v[6:7], off
	global_load_dwordx2 v[4:5], v[2:3], off
	s_waitcnt vmcnt(0)
	v_mul_f64 v[0:1], v[4:5], v[0:1]
	global_store_dwordx2 v[2:3], v[0:1], off
	s_endpgm
	.section	.rodata,"a",@progbits
	.p2align	6, 0x0
	.amdhsa_kernel _Z12ratxb_kernelIdEvPKT_S2_PS0_S3_S2_S0_
		.amdhsa_group_segment_fixed_size 0
		.amdhsa_private_segment_fixed_size 44
		.amdhsa_kernarg_size 304
		.amdhsa_user_sgpr_count 6
		.amdhsa_user_sgpr_private_segment_buffer 1
		.amdhsa_user_sgpr_dispatch_ptr 0
		.amdhsa_user_sgpr_queue_ptr 0
		.amdhsa_user_sgpr_kernarg_segment_ptr 1
		.amdhsa_user_sgpr_dispatch_id 0
		.amdhsa_user_sgpr_flat_scratch_init 0
		.amdhsa_user_sgpr_private_segment_size 0
		.amdhsa_uses_dynamic_stack 0
		.amdhsa_system_sgpr_private_segment_wavefront_offset 1
		.amdhsa_system_sgpr_workgroup_id_x 1
		.amdhsa_system_sgpr_workgroup_id_y 0
		.amdhsa_system_sgpr_workgroup_id_z 0
		.amdhsa_system_sgpr_workgroup_info 0
		.amdhsa_system_vgpr_workitem_id 0
		.amdhsa_next_free_vgpr 63
		.amdhsa_next_free_sgpr 92
		.amdhsa_reserve_vcc 1
		.amdhsa_reserve_flat_scratch 0
		.amdhsa_float_round_mode_32 0
		.amdhsa_float_round_mode_16_64 0
		.amdhsa_float_denorm_mode_32 3
		.amdhsa_float_denorm_mode_16_64 3
		.amdhsa_dx10_clamp 1
		.amdhsa_ieee_mode 1
		.amdhsa_fp16_overflow 0
		.amdhsa_exception_fp_ieee_invalid_op 0
		.amdhsa_exception_fp_denorm_src 0
		.amdhsa_exception_fp_ieee_div_zero 0
		.amdhsa_exception_fp_ieee_overflow 0
		.amdhsa_exception_fp_ieee_underflow 0
		.amdhsa_exception_fp_ieee_inexact 0
		.amdhsa_exception_int_div_zero 0
	.end_amdhsa_kernel
	.section	.text._Z12ratxb_kernelIdEvPKT_S2_PS0_S3_S2_S0_,"axG",@progbits,_Z12ratxb_kernelIdEvPKT_S2_PS0_S3_S2_S0_,comdat
.Lfunc_end40:
	.size	_Z12ratxb_kernelIdEvPKT_S2_PS0_S3_S2_S0_, .Lfunc_end40-_Z12ratxb_kernelIdEvPKT_S2_PS0_S3_S2_S0_
                                        ; -- End function
	.set _Z12ratxb_kernelIdEvPKT_S2_PS0_S3_S2_S0_.num_vgpr, 63
	.set _Z12ratxb_kernelIdEvPKT_S2_PS0_S3_S2_S0_.num_agpr, 0
	.set _Z12ratxb_kernelIdEvPKT_S2_PS0_S3_S2_S0_.numbered_sgpr, 92
	.set _Z12ratxb_kernelIdEvPKT_S2_PS0_S3_S2_S0_.num_named_barrier, 0
	.set _Z12ratxb_kernelIdEvPKT_S2_PS0_S3_S2_S0_.private_seg_size, 44
	.set _Z12ratxb_kernelIdEvPKT_S2_PS0_S3_S2_S0_.uses_vcc, 1
	.set _Z12ratxb_kernelIdEvPKT_S2_PS0_S3_S2_S0_.uses_flat_scratch, 0
	.set _Z12ratxb_kernelIdEvPKT_S2_PS0_S3_S2_S0_.has_dyn_sized_stack, 0
	.set _Z12ratxb_kernelIdEvPKT_S2_PS0_S3_S2_S0_.has_recursion, 0
	.set _Z12ratxb_kernelIdEvPKT_S2_PS0_S3_S2_S0_.has_indirect_call, 0
	.section	.AMDGPU.csdata,"",@progbits
; Kernel info:
; codeLenInByte = 26848
; TotalNumSgprs: 96
; NumVgprs: 63
; ScratchSize: 44
; MemoryBound: 0
; FloatMode: 240
; IeeeMode: 1
; LDSByteSize: 0 bytes/workgroup (compile time only)
; SGPRBlocks: 11
; VGPRBlocks: 15
; NumSGPRsForWavesPerEU: 96
; NumVGPRsForWavesPerEU: 63
; Occupancy: 4
; WaveLimiterHint : 0
; COMPUTE_PGM_RSRC2:SCRATCH_EN: 1
; COMPUTE_PGM_RSRC2:USER_SGPR: 6
; COMPUTE_PGM_RSRC2:TRAP_HANDLER: 0
; COMPUTE_PGM_RSRC2:TGID_X_EN: 1
; COMPUTE_PGM_RSRC2:TGID_Y_EN: 0
; COMPUTE_PGM_RSRC2:TGID_Z_EN: 0
; COMPUTE_PGM_RSRC2:TIDIG_COMP_CNT: 0
	.section	.text._Z12ratx2_kernelIdEvPKT_PS0_S3_,"axG",@progbits,_Z12ratx2_kernelIdEvPKT_PS0_S3_,comdat
	.protected	_Z12ratx2_kernelIdEvPKT_PS0_S3_ ; -- Begin function _Z12ratx2_kernelIdEvPKT_PS0_S3_
	.globl	_Z12ratx2_kernelIdEvPKT_PS0_S3_
	.p2align	8
	.type	_Z12ratx2_kernelIdEvPKT_PS0_S3_,@function
_Z12ratx2_kernelIdEvPKT_PS0_S3_:        ; @_Z12ratx2_kernelIdEvPKT_PS0_S3_
; %bb.0:
	s_load_dwordx4 s[0:3], s[4:5], 0x0
	s_load_dword s7, s[4:5], 0x18
	s_load_dword s8, s[4:5], 0x24
	v_mov_b32_e32 v1, 0
	v_mov_b32_e32 v11, v1
	s_waitcnt lgkmcnt(0)
	v_mov_b32_e32 v48, s3
	v_mov_b32_e32 v49, s1
	s_and_b32 s4, s8, 0xffff
	s_mul_i32 s6, s6, s4
	v_add_u32_e32 v0, s6, v0
	v_lshlrev_b64 v[4:5], 3, v[0:1]
	s_mul_i32 s3, s7, s4
	v_add_u32_e32 v10, s3, v0
	v_add_co_u32_e32 v6, vcc, s2, v4
	v_lshlrev_b64 v[11:12], 3, v[10:11]
	v_addc_co_u32_e32 v7, vcc, v48, v5, vcc
	v_add_co_u32_e32 v8, vcc, s0, v11
	v_addc_co_u32_e32 v9, vcc, v49, v12, vcc
	global_load_dwordx2 v[2:3], v[6:7], off
	global_load_dwordx2 v[34:35], v[8:9], off
	s_lshl_b32 s1, s3, 1
	v_add_u32_e32 v0, s1, v0
	v_lshlrev_b64 v[19:20], 3, v[0:1]
	v_add_u32_e32 v0, s1, v0
	s_waitcnt vmcnt(0)
	v_mul_f64 v[13:14], v[2:3], v[34:35]
	v_add_u32_e32 v2, s1, v10
	v_mov_b32_e32 v3, v1
	v_lshlrev_b64 v[15:16], 3, v[2:3]
	v_add_co_u32_e32 v2, vcc, s0, v15
	v_addc_co_u32_e32 v3, vcc, v49, v16, vcc
	global_load_dwordx2 v[17:18], v[2:3], off
	v_add_co_u32_e32 v10, vcc, s2, v11
	v_addc_co_u32_e32 v11, vcc, v48, v12, vcc
	s_waitcnt vmcnt(0)
	v_mul_f64 v[13:14], v[13:14], v[17:18]
	global_store_dwordx2 v[6:7], v[13:14], off
	v_add_co_u32_e32 v6, vcc, s0, v19
	v_addc_co_u32_e32 v7, vcc, v49, v20, vcc
	global_load_dwordx2 v[12:13], v[10:11], off
	global_load_dwordx2 v[40:41], v[6:7], off
	v_add_co_u32_e32 v36, vcc, s0, v4
	v_addc_co_u32_e32 v37, vcc, v49, v5, vcc
	global_load_dwordx2 v[21:22], v[36:37], off
	s_waitcnt vmcnt(1)
	v_mul_f64 v[12:13], v[12:13], v[40:41]
	s_waitcnt vmcnt(0)
	v_mul_f64 v[4:5], v[12:13], v[21:22]
	global_store_dwordx2 v[10:11], v[4:5], off
	v_add_co_u32_e32 v10, vcc, s2, v19
	v_lshlrev_b64 v[4:5], 3, v[0:1]
	v_addc_co_u32_e32 v11, vcc, v48, v20, vcc
	v_add_co_u32_e32 v4, vcc, s0, v4
	v_addc_co_u32_e32 v5, vcc, v49, v5, vcc
	global_load_dwordx2 v[12:13], v[10:11], off
	global_load_dwordx2 v[42:43], v[4:5], off
	v_add_u32_e32 v0, s3, v0
	s_waitcnt vmcnt(0)
	v_mul_f64 v[12:13], v[12:13], v[42:43]
	v_mul_f64 v[12:13], v[21:22], v[12:13]
	global_store_dwordx2 v[10:11], v[12:13], off
	v_add_co_u32_e32 v10, vcc, s2, v15
	v_addc_co_u32_e32 v11, vcc, v48, v16, vcc
	global_load_dwordx2 v[12:13], v[10:11], off
	s_waitcnt vmcnt(0)
	v_mul_f64 v[12:13], v[42:43], v[12:13]
	v_mul_f64 v[12:13], v[42:43], v[12:13]
	global_store_dwordx2 v[10:11], v[12:13], off
	v_lshlrev_b64 v[10:11], 3, v[0:1]
	v_add_u32_e32 v0, s3, v0
	v_add_co_u32_e32 v12, vcc, s2, v10
	v_addc_co_u32_e32 v13, vcc, v48, v11, vcc
	global_load_dwordx2 v[14:15], v[12:13], off
	s_waitcnt vmcnt(0)
	v_mul_f64 v[14:15], v[34:35], v[14:15]
	v_mul_f64 v[14:15], v[34:35], v[14:15]
	;; [unrolled: 1-line block ×3, first 2 shown]
	global_store_dwordx2 v[12:13], v[14:15], off
	v_lshlrev_b64 v[12:13], 3, v[0:1]
	v_add_u32_e32 v0, s3, v0
	v_add_co_u32_e32 v14, vcc, s2, v12
	v_addc_co_u32_e32 v15, vcc, v48, v13, vcc
	global_load_dwordx2 v[19:20], v[14:15], off
	v_add_co_u32_e32 v32, vcc, s0, v10
	v_addc_co_u32_e32 v33, vcc, v49, v11, vcc
	global_load_dwordx2 v[10:11], v[32:33], off
	v_lshlrev_b64 v[44:45], 3, v[0:1]
	v_lshl_add_u32 v0, s3, 2, v0
	v_lshlrev_b64 v[21:22], 3, v[0:1]
	v_add_u32_e32 v0, s3, v0
	v_lshlrev_b64 v[28:29], 3, v[0:1]
	v_add_u32_e32 v0, s3, v0
	;; [unrolled: 2-line block ×3, first 2 shown]
	s_waitcnt vmcnt(1)
	v_mul_f64 v[19:20], v[34:35], v[19:20]
	v_mul_f64 v[19:20], v[34:35], v[19:20]
	s_waitcnt vmcnt(0)
	v_mul_f64 v[19:20], v[10:11], v[19:20]
	global_store_dwordx2 v[14:15], v[19:20], off
	v_add_co_u32_e32 v14, vcc, s2, v44
	v_addc_co_u32_e32 v15, vcc, v48, v45, vcc
	global_load_dwordx2 v[19:20], v[14:15], off
	v_add_co_u32_e32 v30, vcc, s0, v21
	v_addc_co_u32_e32 v31, vcc, v49, v22, vcc
	global_load_dwordx2 v[21:22], v[30:31], off
	s_waitcnt vmcnt(1)
	v_mul_f64 v[19:20], v[34:35], v[19:20]
	v_mul_f64 v[19:20], v[34:35], v[19:20]
	s_waitcnt vmcnt(0)
	v_mul_f64 v[19:20], v[21:22], v[19:20]
	global_store_dwordx2 v[14:15], v[19:20], off
	v_add_co_u32_e32 v14, vcc, s2, v28
	v_addc_co_u32_e32 v15, vcc, v48, v29, vcc
	global_load_dwordx2 v[19:20], v[14:15], off
	s_waitcnt vmcnt(0)
	v_mul_f64 v[19:20], v[34:35], v[19:20]
	v_mul_f64 v[19:20], v[17:18], v[19:20]
	;; [unrolled: 1-line block ×3, first 2 shown]
	global_store_dwordx2 v[14:15], v[19:20], off
	v_add_co_u32_e32 v14, vcc, s2, v24
	v_addc_co_u32_e32 v15, vcc, v48, v25, vcc
	global_load_dwordx2 v[19:20], v[14:15], off
	s_waitcnt vmcnt(0)
	v_mul_f64 v[19:20], v[34:35], v[19:20]
	v_mul_f64 v[19:20], v[17:18], v[19:20]
	;; [unrolled: 1-line block ×3, first 2 shown]
	v_lshlrev_b64 v[20:21], 3, v[0:1]
	global_store_dwordx2 v[14:15], v[10:11], off
	v_add_co_u32_e32 v10, vcc, s2, v20
	v_addc_co_u32_e32 v11, vcc, v48, v21, vcc
	global_load_dwordx2 v[14:15], v[10:11], off
	s_waitcnt vmcnt(0)
	v_mul_f64 v[14:15], v[34:35], v[14:15]
	v_mul_f64 v[14:15], v[17:18], v[14:15]
	v_mad_u64_u32 v[16:17], s[4:5], s3, 7, v[0:1]
	v_mov_b32_e32 v17, v1
	v_lshlrev_b64 v[18:19], 3, v[16:17]
	v_add_co_u32_e32 v38, vcc, s0, v18
	v_addc_co_u32_e32 v39, vcc, v49, v19, vcc
	global_load_dwordx2 v[22:23], v[38:39], off
	s_waitcnt vmcnt(0)
	v_mul_f64 v[14:15], v[22:23], v[14:15]
	global_store_dwordx2 v[10:11], v[14:15], off
	v_mad_u64_u32 v[10:11], s[4:5], s3, -6, v[16:17]
	v_mov_b32_e32 v11, v1
	s_mul_i32 s4, s3, 0xffffffed
	v_lshlrev_b64 v[16:17], 3, v[10:11]
	v_add_u32_e32 v0, s3, v10
	v_add_co_u32_e32 v14, vcc, s2, v16
	v_addc_co_u32_e32 v15, vcc, v48, v17, vcc
	global_load_dwordx2 v[22:23], v[14:15], off
	v_lshlrev_b64 v[26:27], 3, v[0:1]
	v_add_u32_e32 v0, s3, v0
	s_waitcnt vmcnt(0)
	v_mul_f64 v[22:23], v[42:43], v[22:23]
	v_mul_f64 v[22:23], v[42:43], v[22:23]
	global_store_dwordx2 v[14:15], v[22:23], off
	v_add_co_u32_e32 v14, vcc, s2, v26
	v_addc_co_u32_e32 v15, vcc, v48, v27, vcc
	v_add_co_u32_e32 v10, vcc, s0, v12
	v_addc_co_u32_e32 v11, vcc, v49, v13, vcc
	global_load_dwordx2 v[22:23], v[14:15], off
	global_load_dwordx2 v[46:47], v[10:11], off
	;; [unrolled: 1-line block ×3, first 2 shown]
	s_waitcnt vmcnt(1)
	v_mul_f64 v[12:13], v[22:23], v[46:47]
	v_lshlrev_b64 v[22:23], 3, v[0:1]
	v_add_u32_e32 v0, s3, v0
	v_mul_f64 v[12:13], v[34:35], v[12:13]
	global_store_dwordx2 v[14:15], v[12:13], off
	v_add_co_u32_e32 v12, vcc, s2, v22
	v_addc_co_u32_e32 v13, vcc, v48, v23, vcc
	global_load_dwordx2 v[14:15], v[12:13], off
	s_waitcnt vmcnt(0)
	v_mul_f64 v[14:15], v[46:47], v[14:15]
	v_mul_f64 v[14:15], v[34:35], v[14:15]
	global_store_dwordx2 v[12:13], v[14:15], off
	v_lshlrev_b64 v[12:13], 3, v[0:1]
	v_add_u32_e32 v0, s3, v0
	v_add_co_u32_e32 v12, vcc, s2, v12
	v_addc_co_u32_e32 v13, vcc, v48, v13, vcc
	global_load_dwordx2 v[14:15], v[12:13], off
	s_waitcnt vmcnt(0)
	v_mul_f64 v[14:15], v[46:47], v[14:15]
	v_mul_f64 v[14:15], v[34:35], v[14:15]
	global_store_dwordx2 v[12:13], v[14:15], off
	v_lshlrev_b64 v[14:15], 3, v[0:1]
	v_add_u32_e32 v0, s3, v0
	;; [unrolled: 9-line block ×3, first 2 shown]
	v_add_co_u32_e32 v50, vcc, s2, v12
	v_addc_co_u32_e32 v51, vcc, v48, v13, vcc
	global_load_dwordx2 v[52:53], v[50:51], off
	v_add_co_u32_e32 v18, vcc, s2, v18
	v_addc_co_u32_e32 v19, vcc, v48, v19, vcc
	s_waitcnt vmcnt(0)
	v_mul_f64 v[52:53], v[46:47], v[52:53]
	v_mul_f64 v[52:53], v[42:43], v[52:53]
	global_store_dwordx2 v[50:51], v[52:53], off
	global_load_dwordx2 v[50:51], v[18:19], off
	s_nop 0
	global_load_dwordx2 v[52:53], v[36:37], off
	s_waitcnt vmcnt(1)
	v_mul_f64 v[50:51], v[46:47], v[50:51]
	v_mul_f64 v[50:51], v[46:47], v[50:51]
	global_store_dwordx2 v[18:19], v[50:51], off
	v_lshlrev_b64 v[18:19], 3, v[0:1]
	v_add_u32_e32 v0, s3, v0
	v_add_co_u32_e32 v18, vcc, s2, v18
	v_addc_co_u32_e32 v19, vcc, v48, v19, vcc
	global_load_dwordx2 v[50:51], v[18:19], off
	s_waitcnt vmcnt(0)
	v_mul_f64 v[50:51], v[46:47], v[50:51]
	v_mul_f64 v[46:47], v[46:47], v[50:51]
	global_store_dwordx2 v[18:19], v[46:47], off
	v_lshlrev_b64 v[18:19], 3, v[0:1]
	v_add_u32_e32 v0, s3, v0
	v_add_co_u32_e32 v46, vcc, s2, v18
	v_addc_co_u32_e32 v47, vcc, v48, v19, vcc
	v_add_co_u32_e32 v18, vcc, s0, v44
	v_addc_co_u32_e32 v19, vcc, v49, v45, vcc
	global_load_dwordx2 v[50:51], v[46:47], off
	global_load_dwordx2 v[44:45], v[18:19], off
	s_waitcnt vmcnt(0)
	v_mul_f64 v[50:51], v[50:51], v[44:45]
	v_mul_f64 v[50:51], v[34:35], v[50:51]
	global_store_dwordx2 v[46:47], v[50:51], off
	v_lshlrev_b64 v[46:47], 3, v[0:1]
	v_add_u32_e32 v0, s3, v0
	v_add_co_u32_e32 v46, vcc, s2, v46
	v_addc_co_u32_e32 v47, vcc, v48, v47, vcc
	global_load_dwordx2 v[50:51], v[46:47], off
	s_waitcnt vmcnt(0)
	v_mul_f64 v[50:51], v[44:45], v[50:51]
	v_mul_f64 v[34:35], v[34:35], v[50:51]
	global_store_dwordx2 v[46:47], v[34:35], off
	v_lshlrev_b64 v[34:35], 3, v[0:1]
	v_add_u32_e32 v0, s3, v0
	v_add_co_u32_e32 v34, vcc, s2, v34
	v_addc_co_u32_e32 v35, vcc, v48, v35, vcc
	;; [unrolled: 9-line block ×4, first 2 shown]
	global_load_dwordx2 v[40:41], v[34:35], off
	s_waitcnt vmcnt(0)
	v_mul_f64 v[40:41], v[40:41], v[44:45]
	global_load_dwordx2 v[44:45], v[4:5], off
	s_waitcnt vmcnt(0)
	v_mul_f64 v[40:41], v[40:41], v[44:45]
	global_store_dwordx2 v[34:35], v[40:41], off
	v_lshlrev_b64 v[34:35], 3, v[0:1]
	v_add_u32_e32 v0, s4, v0
	v_add_co_u32_e32 v34, vcc, s2, v34
	v_lshlrev_b64 v[40:41], 3, v[0:1]
	v_addc_co_u32_e32 v35, vcc, v48, v35, vcc
	v_add_co_u32_e32 v40, vcc, s0, v40
	v_addc_co_u32_e32 v41, vcc, v49, v41, vcc
	global_load_dwordx2 v[42:43], v[34:35], off
	global_load_dwordx2 v[46:47], v[40:41], off
	s_waitcnt vmcnt(0)
	v_mul_f64 v[42:43], v[42:43], v[46:47]
	v_mul_f64 v[42:43], v[42:43], v[44:45]
	global_store_dwordx2 v[34:35], v[42:43], off
	v_mad_u64_u32 v[34:35], s[4:5], s3, 20, v[0:1]
	v_mov_b32_e32 v35, v1
	v_lshlrev_b64 v[42:43], 3, v[34:35]
	v_add_u32_e32 v0, s3, v34
	v_add_co_u32_e32 v42, vcc, s2, v42
	v_addc_co_u32_e32 v43, vcc, v48, v43, vcc
	global_load_dwordx2 v[50:51], v[42:43], off
	v_lshlrev_b64 v[34:35], 3, v[0:1]
	v_add_u32_e32 v0, s3, v0
	v_add_co_u32_e32 v34, vcc, s2, v34
	v_addc_co_u32_e32 v35, vcc, v48, v35, vcc
	s_waitcnt vmcnt(0)
	v_mul_f64 v[50:51], v[50:51], v[46:47]
	v_mul_f64 v[50:51], v[50:51], v[52:53]
	global_store_dwordx2 v[42:43], v[50:51], off
	global_load_dwordx2 v[42:43], v[34:35], off
	s_waitcnt vmcnt(0)
	v_mul_f64 v[50:51], v[42:43], v[46:47]
	global_load_dwordx2 v[42:43], v[2:3], off
	s_waitcnt vmcnt(0)
	v_mul_f64 v[50:51], v[50:51], v[42:43]
	global_store_dwordx2 v[34:35], v[50:51], off
	v_lshlrev_b64 v[34:35], 3, v[0:1]
	v_add_u32_e32 v0, s3, v0
	v_add_co_u32_e32 v34, vcc, s2, v34
	v_addc_co_u32_e32 v35, vcc, v48, v35, vcc
	global_load_dwordx2 v[50:51], v[34:35], off
	s_waitcnt vmcnt(0)
	v_mul_f64 v[50:51], v[50:51], v[46:47]
	v_mul_f64 v[50:51], v[50:51], v[54:55]
	global_store_dwordx2 v[34:35], v[50:51], off
	v_lshlrev_b64 v[34:35], 3, v[0:1]
	v_add_u32_e32 v0, s3, v0
	v_add_co_u32_e32 v50, vcc, s2, v34
	v_addc_co_u32_e32 v51, vcc, v48, v35, vcc
	global_load_dwordx2 v[54:55], v[50:51], off
	global_load_dwordx2 v[34:35], v[6:7], off
	s_waitcnt vmcnt(0)
	v_mul_f64 v[54:55], v[54:55], v[34:35]
	global_store_dwordx2 v[50:51], v[54:55], off
	v_lshlrev_b64 v[50:51], 3, v[0:1]
	v_add_u32_e32 v0, s3, v0
	v_add_co_u32_e32 v50, vcc, s2, v50
	v_addc_co_u32_e32 v51, vcc, v48, v51, vcc
	global_load_dwordx2 v[54:55], v[50:51], off
	s_waitcnt vmcnt(0)
	v_mul_f64 v[44:45], v[54:55], v[44:45]
	global_store_dwordx2 v[50:51], v[44:45], off
	v_lshlrev_b64 v[44:45], 3, v[0:1]
	v_add_u32_e32 v0, s3, v0
	v_add_co_u32_e32 v44, vcc, s2, v44
	v_addc_co_u32_e32 v45, vcc, v48, v45, vcc
	;; [unrolled: 8-line block ×3, first 2 shown]
	global_load_dwordx2 v[50:51], v[44:45], off
	global_load_dwordx2 v[52:53], v[32:33], off
	s_waitcnt vmcnt(0)
	v_mul_f64 v[50:51], v[50:51], v[52:53]
	global_store_dwordx2 v[44:45], v[50:51], off
	v_lshlrev_b64 v[44:45], 3, v[0:1]
	v_add_u32_e32 v0, s3, v0
	v_add_co_u32_e32 v44, vcc, s2, v44
	v_addc_co_u32_e32 v45, vcc, v48, v45, vcc
	global_load_dwordx2 v[50:51], v[44:45], off
	s_waitcnt vmcnt(0)
	v_mul_f64 v[50:51], v[50:51], v[42:43]
	global_store_dwordx2 v[44:45], v[50:51], off
	v_lshlrev_b64 v[44:45], 3, v[0:1]
	v_add_u32_e32 v0, s3, v0
	v_add_co_u32_e32 v44, vcc, s2, v44
	v_addc_co_u32_e32 v45, vcc, v48, v45, vcc
	;; [unrolled: 8-line block ×3, first 2 shown]
	global_load_dwordx2 v[46:47], v[44:45], off
	global_load_dwordx2 v[50:51], v[30:31], off
	s_waitcnt vmcnt(0)
	v_mul_f64 v[46:47], v[46:47], v[50:51]
	global_store_dwordx2 v[44:45], v[46:47], off
	v_lshlrev_b64 v[44:45], 3, v[0:1]
	v_add_u32_e32 v0, s3, v0
	v_add_co_u32_e32 v44, vcc, s2, v44
	v_addc_co_u32_e32 v45, vcc, v48, v45, vcc
	global_load_dwordx2 v[46:47], v[44:45], off
	global_load_dwordx2 v[50:51], v[8:9], off
	s_waitcnt vmcnt(0)
	v_mul_f64 v[46:47], v[46:47], v[50:51]
	global_store_dwordx2 v[44:45], v[46:47], off
	v_lshlrev_b64 v[44:45], 3, v[0:1]
	v_add_u32_e32 v0, s3, v0
	v_add_co_u32_e32 v44, vcc, s2, v44
	v_addc_co_u32_e32 v45, vcc, v48, v45, vcc
	global_load_dwordx2 v[46:47], v[44:45], off
	s_waitcnt vmcnt(0)
	v_mul_f64 v[46:47], v[46:47], v[50:51]
	global_store_dwordx2 v[44:45], v[46:47], off
	v_lshlrev_b64 v[44:45], 3, v[0:1]
	v_add_u32_e32 v0, s3, v0
	v_add_co_u32_e32 v44, vcc, s2, v44
	v_addc_co_u32_e32 v45, vcc, v48, v45, vcc
	;; [unrolled: 8-line block ×4, first 2 shown]
	global_load_dwordx2 v[52:53], v[46:47], off
	global_load_dwordx2 v[44:45], v[4:5], off
	s_waitcnt vmcnt(0)
	v_mul_f64 v[52:53], v[52:53], v[44:45]
	global_store_dwordx2 v[46:47], v[52:53], off
	v_lshlrev_b64 v[46:47], 3, v[0:1]
	v_add_u32_e32 v0, s3, v0
	v_add_co_u32_e32 v46, vcc, s2, v46
	v_addc_co_u32_e32 v47, vcc, v48, v47, vcc
	global_load_dwordx2 v[52:53], v[46:47], off
	s_waitcnt vmcnt(0)
	v_mul_f64 v[52:53], v[52:53], v[42:43]
	global_store_dwordx2 v[46:47], v[52:53], off
	v_lshlrev_b64 v[46:47], 3, v[0:1]
	v_add_u32_e32 v0, s3, v0
	v_add_co_u32_e32 v46, vcc, s2, v46
	v_addc_co_u32_e32 v47, vcc, v48, v47, vcc
	;; [unrolled: 8-line block ×3, first 2 shown]
	global_load_dwordx2 v[50:51], v[46:47], off
	s_nop 0
	global_load_dwordx2 v[36:37], v[36:37], off
	s_waitcnt vmcnt(0)
	v_mul_f64 v[50:51], v[50:51], v[36:37]
	global_store_dwordx2 v[46:47], v[50:51], off
	v_lshlrev_b64 v[46:47], 3, v[0:1]
	v_add_u32_e32 v0, s3, v0
	v_add_co_u32_e32 v46, vcc, s2, v46
	v_addc_co_u32_e32 v47, vcc, v48, v47, vcc
	global_load_dwordx2 v[50:51], v[46:47], off
	s_waitcnt vmcnt(0)
	v_mul_f64 v[50:51], v[50:51], v[34:35]
	global_store_dwordx2 v[46:47], v[50:51], off
	v_lshlrev_b64 v[46:47], 3, v[0:1]
	v_add_u32_e32 v0, s3, v0
	v_add_co_u32_e32 v46, vcc, s2, v46
	v_addc_co_u32_e32 v47, vcc, v48, v47, vcc
	;; [unrolled: 8-line block ×6, first 2 shown]
	global_load_dwordx2 v[46:47], v[42:43], off
	global_load_dwordx2 v[50:51], v[10:11], off
	s_waitcnt vmcnt(0)
	v_mul_f64 v[46:47], v[46:47], v[50:51]
	global_store_dwordx2 v[42:43], v[46:47], off
	v_lshlrev_b64 v[42:43], 3, v[0:1]
	v_add_co_u32_e32 v42, vcc, s2, v42
	v_addc_co_u32_e32 v43, vcc, v48, v43, vcc
	global_load_dwordx2 v[46:47], v[42:43], off
	s_nop 0
	global_load_dwordx2 v[40:41], v[40:41], off
	s_waitcnt vmcnt(0)
	v_mul_f64 v[46:47], v[46:47], v[40:41]
	global_store_dwordx2 v[42:43], v[46:47], off
	v_mad_u64_u32 v[42:43], s[4:5], s3, 3, v[0:1]
	v_mov_b32_e32 v43, v1
	s_mul_i32 s4, s3, 0xffffffbb
	v_lshlrev_b64 v[46:47], 3, v[42:43]
	v_add_u32_e32 v0, s3, v42
	v_add_co_u32_e32 v46, vcc, s2, v46
	v_addc_co_u32_e32 v47, vcc, v48, v47, vcc
	global_load_dwordx2 v[50:51], v[46:47], off
	s_nop 0
	global_load_dwordx2 v[38:39], v[38:39], off
	s_waitcnt vmcnt(0)
	v_mul_f64 v[38:39], v[50:51], v[38:39]
	global_store_dwordx2 v[46:47], v[38:39], off
	v_lshlrev_b64 v[38:39], 3, v[0:1]
	v_add_u32_e32 v0, s3, v0
	v_add_co_u32_e32 v38, vcc, s2, v38
	v_addc_co_u32_e32 v39, vcc, v48, v39, vcc
	global_load_dwordx2 v[42:43], v[38:39], off
	global_load_dwordx2 v[46:47], v[8:9], off
	s_waitcnt vmcnt(0)
	v_mul_f64 v[42:43], v[42:43], v[46:47]
	global_store_dwordx2 v[38:39], v[42:43], off
	v_lshlrev_b64 v[38:39], 3, v[0:1]
	v_add_u32_e32 v0, s3, v0
	v_add_co_u32_e32 v38, vcc, s2, v38
	v_addc_co_u32_e32 v39, vcc, v48, v39, vcc
	global_load_dwordx2 v[42:43], v[38:39], off
	s_waitcnt vmcnt(0)
	v_mul_f64 v[42:43], v[42:43], v[34:35]
	global_store_dwordx2 v[38:39], v[42:43], off
	v_lshlrev_b64 v[38:39], 3, v[0:1]
	v_add_u32_e32 v0, s3, v0
	v_add_co_u32_e32 v38, vcc, s2, v38
	v_addc_co_u32_e32 v39, vcc, v48, v39, vcc
	;; [unrolled: 8-line block ×5, first 2 shown]
	global_load_dwordx2 v[36:37], v[34:35], off
	global_load_dwordx2 v[38:39], v[2:3], off
	s_waitcnt vmcnt(0)
	v_mul_f64 v[36:37], v[36:37], v[38:39]
	global_store_dwordx2 v[34:35], v[36:37], off
	v_lshlrev_b64 v[34:35], 3, v[0:1]
	v_add_u32_e32 v0, s3, v0
	v_add_co_u32_e32 v34, vcc, s2, v34
	v_addc_co_u32_e32 v35, vcc, v48, v35, vcc
	global_load_dwordx2 v[36:37], v[34:35], off
	s_waitcnt vmcnt(0)
	v_mul_f64 v[36:37], v[36:37], v[38:39]
	global_store_dwordx2 v[34:35], v[36:37], off
	v_lshlrev_b64 v[34:35], 3, v[0:1]
	v_add_u32_e32 v0, s3, v0
	v_add_co_u32_e32 v34, vcc, s2, v34
	v_addc_co_u32_e32 v35, vcc, v48, v35, vcc
	global_load_dwordx2 v[36:37], v[34:35], off
	s_nop 0
	global_load_dwordx2 v[32:33], v[32:33], off
	s_waitcnt vmcnt(0)
	v_mul_f64 v[32:33], v[36:37], v[32:33]
	global_store_dwordx2 v[34:35], v[32:33], off
	v_lshlrev_b64 v[32:33], 3, v[0:1]
	v_add_u32_e32 v0, s3, v0
	v_add_co_u32_e32 v32, vcc, s2, v32
	v_addc_co_u32_e32 v33, vcc, v48, v33, vcc
	global_load_dwordx2 v[34:35], v[32:33], off
	s_waitcnt vmcnt(0)
	v_mul_f64 v[34:35], v[34:35], v[40:41]
	global_store_dwordx2 v[32:33], v[34:35], off
	v_lshlrev_b64 v[32:33], 3, v[0:1]
	v_add_u32_e32 v0, s3, v0
	v_add_co_u32_e32 v32, vcc, s2, v32
	v_addc_co_u32_e32 v33, vcc, v48, v33, vcc
	global_load_dwordx2 v[34:35], v[32:33], off
	s_nop 0
	global_load_dwordx2 v[30:31], v[30:31], off
	s_waitcnt vmcnt(0)
	v_mul_f64 v[34:35], v[34:35], v[30:31]
	global_load_dwordx2 v[36:37], v[6:7], off
	global_load_dwordx2 v[42:43], v[8:9], off
	s_nop 0
	global_store_dwordx2 v[32:33], v[34:35], off
	v_lshlrev_b64 v[32:33], 3, v[0:1]
	v_add_u32_e32 v0, s3, v0
	v_add_co_u32_e32 v32, vcc, s2, v32
	v_addc_co_u32_e32 v33, vcc, v48, v33, vcc
	global_load_dwordx2 v[34:35], v[32:33], off
	s_waitcnt vmcnt(0)
	v_mul_f64 v[30:31], v[34:35], v[30:31]
	global_store_dwordx2 v[32:33], v[30:31], off
	v_lshlrev_b64 v[30:31], 3, v[0:1]
	v_add_u32_e32 v0, s3, v0
	v_add_co_u32_e32 v32, vcc, s2, v30
	v_addc_co_u32_e32 v33, vcc, v48, v31, vcc
	v_add_co_u32_e32 v30, vcc, s0, v28
	v_addc_co_u32_e32 v31, vcc, v49, v29, vcc
	global_load_dwordx2 v[34:35], v[32:33], off
	global_load_dwordx2 v[28:29], v[30:31], off
	s_waitcnt vmcnt(0)
	v_mul_f64 v[34:35], v[34:35], v[28:29]
	global_load_dwordx2 v[30:31], v[30:31], off
	v_mul_f64 v[34:35], v[34:35], v[46:47]
	global_store_dwordx2 v[32:33], v[34:35], off
	v_lshlrev_b64 v[32:33], 3, v[0:1]
	v_add_u32_e32 v0, s3, v0
	v_add_co_u32_e32 v32, vcc, s2, v32
	v_addc_co_u32_e32 v33, vcc, v48, v33, vcc
	global_load_dwordx2 v[34:35], v[32:33], off
	s_waitcnt vmcnt(0)
	v_mul_f64 v[34:35], v[34:35], v[28:29]
	v_mul_f64 v[34:35], v[34:35], v[46:47]
	global_store_dwordx2 v[32:33], v[34:35], off
	v_lshlrev_b64 v[32:33], 3, v[0:1]
	v_add_u32_e32 v0, s3, v0
	v_add_co_u32_e32 v32, vcc, s2, v32
	v_addc_co_u32_e32 v33, vcc, v48, v33, vcc
	global_load_dwordx2 v[34:35], v[32:33], off
	s_waitcnt vmcnt(0)
	v_mul_f64 v[34:35], v[34:35], v[28:29]
	;; [unrolled: 9-line block ×5, first 2 shown]
	global_load_dwordx2 v[34:35], v[10:11], off
	s_waitcnt vmcnt(0)
	v_mul_f64 v[38:39], v[38:39], v[34:35]
	global_store_dwordx2 v[32:33], v[38:39], off
	v_lshlrev_b64 v[32:33], 3, v[0:1]
	v_add_u32_e32 v0, s3, v0
	v_add_co_u32_e32 v32, vcc, s2, v32
	v_addc_co_u32_e32 v33, vcc, v48, v33, vcc
	global_load_dwordx2 v[38:39], v[32:33], off
	s_waitcnt vmcnt(0)
	v_mul_f64 v[28:29], v[38:39], v[28:29]
	global_store_dwordx2 v[32:33], v[28:29], off
	v_lshlrev_b64 v[28:29], 3, v[0:1]
	v_add_u32_e32 v0, s4, v0
	v_add_co_u32_e32 v38, vcc, s2, v28
	v_addc_co_u32_e32 v39, vcc, v48, v29, vcc
	v_lshlrev_b64 v[28:29], 3, v[0:1]
	global_load_dwordx2 v[40:41], v[38:39], off
	v_add_co_u32_e32 v28, vcc, s0, v28
	v_addc_co_u32_e32 v29, vcc, v49, v29, vcc
	global_load_dwordx2 v[32:33], v[28:29], off
	s_mul_i32 s4, s3, 0x46
	v_add_u32_e32 v0, s4, v0
	s_mul_i32 s4, s3, 0xffffffa4
	s_waitcnt vmcnt(0)
	v_mul_f64 v[40:41], v[40:41], v[32:33]
	v_mul_f64 v[40:41], v[40:41], v[42:43]
	global_store_dwordx2 v[38:39], v[40:41], off
	v_lshlrev_b64 v[38:39], 3, v[0:1]
	v_add_u32_e32 v0, s3, v0
	v_add_co_u32_e32 v38, vcc, s2, v38
	v_addc_co_u32_e32 v39, vcc, v48, v39, vcc
	global_load_dwordx2 v[40:41], v[38:39], off
	s_waitcnt vmcnt(0)
	v_mul_f64 v[40:41], v[40:41], v[32:33]
	v_mul_f64 v[36:37], v[40:41], v[36:37]
	global_load_dwordx2 v[40:41], v[4:5], off
	s_nop 0
	global_store_dwordx2 v[38:39], v[36:37], off
	v_lshlrev_b64 v[36:37], 3, v[0:1]
	v_add_u32_e32 v0, s3, v0
	v_add_co_u32_e32 v36, vcc, s2, v36
	v_addc_co_u32_e32 v37, vcc, v48, v37, vcc
	global_load_dwordx2 v[38:39], v[36:37], off
	s_waitcnt vmcnt(0)
	v_mul_f64 v[38:39], v[38:39], v[32:33]
	v_mul_f64 v[38:39], v[38:39], v[40:41]
	global_store_dwordx2 v[36:37], v[38:39], off
	v_lshlrev_b64 v[36:37], 3, v[0:1]
	v_add_u32_e32 v0, s3, v0
	v_add_co_u32_e32 v36, vcc, s2, v36
	v_addc_co_u32_e32 v37, vcc, v48, v37, vcc
	global_load_dwordx2 v[38:39], v[36:37], off
	s_waitcnt vmcnt(0)
	v_mul_f64 v[38:39], v[38:39], v[32:33]
	v_mul_f64 v[38:39], v[38:39], v[40:41]
	global_load_dwordx2 v[40:41], v[2:3], off
	s_nop 0
	global_store_dwordx2 v[36:37], v[38:39], off
	v_lshlrev_b64 v[36:37], 3, v[0:1]
	v_add_u32_e32 v0, s3, v0
	v_add_co_u32_e32 v36, vcc, s2, v36
	v_addc_co_u32_e32 v37, vcc, v48, v37, vcc
	global_load_dwordx2 v[38:39], v[36:37], off
	s_waitcnt vmcnt(0)
	v_mul_f64 v[38:39], v[38:39], v[32:33]
	v_mul_f64 v[38:39], v[38:39], v[40:41]
	global_store_dwordx2 v[36:37], v[38:39], off
	v_lshlrev_b64 v[36:37], 3, v[0:1]
	v_add_u32_e32 v0, s3, v0
	v_add_co_u32_e32 v36, vcc, s2, v36
	v_addc_co_u32_e32 v37, vcc, v48, v37, vcc
	global_load_dwordx2 v[38:39], v[36:37], off
	s_waitcnt vmcnt(0)
	v_mul_f64 v[38:39], v[38:39], v[32:33]
	v_mul_f64 v[38:39], v[38:39], v[40:41]
	;; [unrolled: 9-line block ×4, first 2 shown]
	global_load_dwordx2 v[38:39], v[18:19], off
	s_nop 0
	global_store_dwordx2 v[36:37], v[34:35], off
	v_lshlrev_b64 v[34:35], 3, v[0:1]
	v_add_u32_e32 v0, s3, v0
	v_add_co_u32_e32 v34, vcc, s2, v34
	v_addc_co_u32_e32 v35, vcc, v48, v35, vcc
	global_load_dwordx2 v[36:37], v[34:35], off
	s_waitcnt vmcnt(0)
	v_mul_f64 v[36:37], v[36:37], v[32:33]
	v_mul_f64 v[36:37], v[36:37], v[38:39]
	global_store_dwordx2 v[34:35], v[36:37], off
	v_lshlrev_b64 v[34:35], 3, v[0:1]
	v_add_u32_e32 v0, s3, v0
	v_add_co_u32_e32 v34, vcc, s2, v34
	v_addc_co_u32_e32 v35, vcc, v48, v35, vcc
	global_load_dwordx2 v[36:37], v[34:35], off
	s_waitcnt vmcnt(0)
	v_mul_f64 v[36:37], v[36:37], v[32:33]
	global_store_dwordx2 v[34:35], v[36:37], off
	v_lshlrev_b64 v[34:35], 3, v[0:1]
	v_add_u32_e32 v0, s3, v0
	v_add_co_u32_e32 v34, vcc, s2, v34
	v_addc_co_u32_e32 v35, vcc, v48, v35, vcc
	global_load_dwordx2 v[36:37], v[34:35], off
	s_waitcnt vmcnt(0)
	;; [unrolled: 8-line block ×4, first 2 shown]
	v_mul_f64 v[36:37], v[36:37], v[32:33]
	v_mul_f64 v[30:31], v[36:37], v[30:31]
	global_store_dwordx2 v[34:35], v[30:31], off
	v_lshlrev_b64 v[30:31], 3, v[0:1]
	v_add_u32_e32 v0, s3, v0
	v_add_co_u32_e32 v30, vcc, s2, v30
	v_addc_co_u32_e32 v31, vcc, v48, v31, vcc
	global_load_dwordx2 v[34:35], v[30:31], off
	s_waitcnt vmcnt(0)
	v_mul_f64 v[34:35], v[34:35], v[32:33]
	global_store_dwordx2 v[30:31], v[34:35], off
	v_lshlrev_b64 v[30:31], 3, v[0:1]
	v_add_u32_e32 v0, s3, v0
	v_add_co_u32_e32 v30, vcc, s2, v30
	v_addc_co_u32_e32 v31, vcc, v48, v31, vcc
	global_load_dwordx2 v[34:35], v[30:31], off
	s_waitcnt vmcnt(0)
	v_mul_f64 v[34:35], v[34:35], v[32:33]
	global_store_dwordx2 v[30:31], v[34:35], off
	v_lshlrev_b64 v[30:31], 3, v[0:1]
	v_add_u32_e32 v0, s3, v0
	v_add_co_u32_e32 v30, vcc, s2, v30
	v_addc_co_u32_e32 v31, vcc, v48, v31, vcc
	global_load_dwordx2 v[34:35], v[30:31], off
	s_waitcnt vmcnt(0)
	v_mul_f64 v[34:35], v[34:35], v[32:33]
	v_mul_f64 v[34:35], v[32:33], v[34:35]
	global_store_dwordx2 v[30:31], v[34:35], off
	v_lshlrev_b64 v[30:31], 3, v[0:1]
	v_add_u32_e32 v0, s3, v0
	v_add_co_u32_e32 v30, vcc, s2, v30
	v_addc_co_u32_e32 v31, vcc, v48, v31, vcc
	global_load_dwordx2 v[34:35], v[30:31], off
	s_waitcnt vmcnt(0)
	v_mul_f64 v[34:35], v[34:35], v[32:33]
	v_mul_f64 v[34:35], v[32:33], v[34:35]
	global_store_dwordx2 v[30:31], v[34:35], off
	v_lshlrev_b64 v[30:31], 3, v[0:1]
	v_add_u32_e32 v0, s3, v0
	v_add_co_u32_e32 v30, vcc, s2, v30
	v_addc_co_u32_e32 v31, vcc, v48, v31, vcc
	global_load_dwordx2 v[34:35], v[30:31], off
	v_add_co_u32_e32 v26, vcc, s0, v26
	v_addc_co_u32_e32 v27, vcc, v49, v27, vcc
	global_load_dwordx2 v[26:27], v[26:27], off
	s_waitcnt vmcnt(1)
	v_mul_f64 v[32:33], v[34:35], v[32:33]
	s_waitcnt vmcnt(0)
	v_mul_f64 v[32:33], v[32:33], v[26:27]
	global_store_dwordx2 v[30:31], v[32:33], off
	v_lshlrev_b64 v[30:31], 3, v[0:1]
	v_add_u32_e32 v0, s3, v0
	v_add_co_u32_e32 v30, vcc, s2, v30
	v_addc_co_u32_e32 v31, vcc, v48, v31, vcc
	global_load_dwordx2 v[32:33], v[30:31], off
	global_load_dwordx2 v[34:35], v[8:9], off
	s_waitcnt vmcnt(0)
	v_mul_f64 v[32:33], v[32:33], v[34:35]
	global_store_dwordx2 v[30:31], v[32:33], off
	v_lshlrev_b64 v[30:31], 3, v[0:1]
	v_add_u32_e32 v0, s3, v0
	v_add_co_u32_e32 v30, vcc, s2, v30
	v_addc_co_u32_e32 v31, vcc, v48, v31, vcc
	global_load_dwordx2 v[32:33], v[30:31], off
	s_waitcnt vmcnt(0)
	v_mul_f64 v[32:33], v[32:33], v[34:35]
	global_store_dwordx2 v[30:31], v[32:33], off
	v_lshlrev_b64 v[30:31], 3, v[0:1]
	v_add_u32_e32 v0, s3, v0
	v_add_co_u32_e32 v30, vcc, s2, v30
	v_addc_co_u32_e32 v31, vcc, v48, v31, vcc
	global_load_dwordx2 v[32:33], v[30:31], off
	s_waitcnt vmcnt(0)
	v_mul_f64 v[32:33], v[32:33], v[34:35]
	global_store_dwordx2 v[30:31], v[32:33], off
	v_lshlrev_b64 v[30:31], 3, v[0:1]
	v_add_u32_e32 v0, s3, v0
	v_add_co_u32_e32 v30, vcc, s2, v30
	v_addc_co_u32_e32 v31, vcc, v48, v31, vcc
	global_load_dwordx2 v[32:33], v[30:31], off
	global_load_dwordx2 v[36:37], v[6:7], off
	s_waitcnt vmcnt(0)
	v_mul_f64 v[32:33], v[32:33], v[36:37]
	global_store_dwordx2 v[30:31], v[32:33], off
	v_lshlrev_b64 v[30:31], 3, v[0:1]
	v_add_u32_e32 v0, s3, v0
	v_add_co_u32_e32 v30, vcc, s2, v30
	v_addc_co_u32_e32 v31, vcc, v48, v31, vcc
	global_load_dwordx2 v[32:33], v[30:31], off
	global_load_dwordx2 v[38:39], v[4:5], off
	s_waitcnt vmcnt(0)
	v_mul_f64 v[32:33], v[32:33], v[38:39]
	global_store_dwordx2 v[30:31], v[32:33], off
	v_lshlrev_b64 v[30:31], 3, v[0:1]
	v_add_u32_e32 v0, s3, v0
	v_add_co_u32_e32 v30, vcc, s2, v30
	v_addc_co_u32_e32 v31, vcc, v48, v31, vcc
	global_load_dwordx2 v[32:33], v[30:31], off
	global_load_dwordx2 v[40:41], v[2:3], off
	s_waitcnt vmcnt(0)
	v_mul_f64 v[32:33], v[32:33], v[40:41]
	global_store_dwordx2 v[30:31], v[32:33], off
	v_lshlrev_b64 v[30:31], 3, v[0:1]
	v_add_u32_e32 v0, s4, v0
	v_add_co_u32_e32 v30, vcc, s2, v30
	v_lshlrev_b64 v[42:43], 3, v[0:1]
	v_addc_co_u32_e32 v31, vcc, v48, v31, vcc
	v_add_co_u32_e32 v42, vcc, s0, v42
	v_addc_co_u32_e32 v43, vcc, v49, v43, vcc
	global_load_dwordx2 v[32:33], v[30:31], off
	s_mul_i32 s4, s3, 0x5d
	global_load_dwordx2 v[42:43], v[42:43], off
	v_add_u32_e32 v0, s4, v0
	s_waitcnt vmcnt(0)
	v_mul_f64 v[32:33], v[32:33], v[42:43]
	v_mul_f64 v[32:33], v[32:33], v[34:35]
	global_store_dwordx2 v[30:31], v[32:33], off
	v_lshlrev_b64 v[30:31], 3, v[0:1]
	v_add_u32_e32 v0, s3, v0
	v_add_co_u32_e32 v30, vcc, s2, v30
	v_addc_co_u32_e32 v31, vcc, v48, v31, vcc
	global_load_dwordx2 v[32:33], v[30:31], off
	s_waitcnt vmcnt(0)
	v_mul_f64 v[32:33], v[32:33], v[42:43]
	v_mul_f64 v[32:33], v[32:33], v[36:37]
	global_store_dwordx2 v[30:31], v[32:33], off
	v_lshlrev_b64 v[30:31], 3, v[0:1]
	v_add_u32_e32 v0, s3, v0
	v_add_co_u32_e32 v30, vcc, s2, v30
	v_addc_co_u32_e32 v31, vcc, v48, v31, vcc
	global_load_dwordx2 v[32:33], v[30:31], off
	;; [unrolled: 9-line block ×3, first 2 shown]
	s_waitcnt vmcnt(0)
	v_mul_f64 v[32:33], v[32:33], v[42:43]
	global_store_dwordx2 v[30:31], v[32:33], off
	v_lshlrev_b64 v[30:31], 3, v[0:1]
	v_add_u32_e32 v0, s3, v0
	v_add_co_u32_e32 v30, vcc, s2, v30
	v_addc_co_u32_e32 v31, vcc, v48, v31, vcc
	global_load_dwordx2 v[32:33], v[30:31], off
	s_waitcnt vmcnt(0)
	v_mul_f64 v[32:33], v[32:33], v[42:43]
	global_store_dwordx2 v[30:31], v[32:33], off
	v_lshlrev_b64 v[30:31], 3, v[0:1]
	v_add_u32_e32 v0, s3, v0
	v_add_co_u32_e32 v30, vcc, s2, v30
	v_addc_co_u32_e32 v31, vcc, v48, v31, vcc
	global_load_dwordx2 v[32:33], v[30:31], off
	;; [unrolled: 8-line block ×3, first 2 shown]
	s_waitcnt vmcnt(0)
	v_mul_f64 v[32:33], v[32:33], v[26:27]
	v_mul_f64 v[32:33], v[32:33], v[34:35]
	global_load_dwordx2 v[34:35], v[4:5], off
	s_nop 0
	global_store_dwordx2 v[30:31], v[32:33], off
	v_lshlrev_b64 v[30:31], 3, v[0:1]
	v_add_u32_e32 v0, s3, v0
	v_add_co_u32_e32 v30, vcc, s2, v30
	v_addc_co_u32_e32 v31, vcc, v48, v31, vcc
	global_load_dwordx2 v[32:33], v[30:31], off
	s_waitcnt vmcnt(0)
	v_mul_f64 v[32:33], v[32:33], v[26:27]
	v_mul_f64 v[32:33], v[32:33], v[36:37]
	global_store_dwordx2 v[30:31], v[32:33], off
	v_lshlrev_b64 v[30:31], 3, v[0:1]
	v_add_u32_e32 v0, s3, v0
	v_add_co_u32_e32 v30, vcc, s2, v30
	v_addc_co_u32_e32 v31, vcc, v48, v31, vcc
	global_load_dwordx2 v[32:33], v[30:31], off
	s_waitcnt vmcnt(0)
	v_mul_f64 v[32:33], v[32:33], v[26:27]
	v_mul_f64 v[32:33], v[32:33], v[40:41]
	global_store_dwordx2 v[30:31], v[32:33], off
	v_lshlrev_b64 v[30:31], 3, v[0:1]
	v_add_u32_e32 v0, s3, v0
	v_add_co_u32_e32 v30, vcc, s2, v30
	v_addc_co_u32_e32 v31, vcc, v48, v31, vcc
	global_load_dwordx2 v[32:33], v[30:31], off
	s_waitcnt vmcnt(0)
	v_mul_f64 v[32:33], v[32:33], v[26:27]
	global_store_dwordx2 v[30:31], v[32:33], off
	v_lshlrev_b64 v[30:31], 3, v[0:1]
	v_add_u32_e32 v0, s3, v0
	v_add_co_u32_e32 v30, vcc, s2, v30
	v_addc_co_u32_e32 v31, vcc, v48, v31, vcc
	global_load_dwordx2 v[32:33], v[30:31], off
	s_waitcnt vmcnt(0)
	;; [unrolled: 8-line block ×3, first 2 shown]
	v_mul_f64 v[32:33], v[32:33], v[26:27]
	v_mul_f64 v[26:27], v[26:27], v[32:33]
	global_store_dwordx2 v[30:31], v[26:27], off
	v_lshlrev_b64 v[26:27], 3, v[0:1]
	v_add_u32_e32 v0, s1, v0
	v_add_co_u32_e32 v26, vcc, s2, v26
	v_addc_co_u32_e32 v27, vcc, v48, v27, vcc
	v_add_co_u32_e32 v24, vcc, s0, v24
	v_addc_co_u32_e32 v25, vcc, v49, v25, vcc
	global_load_dwordx2 v[30:31], v[26:27], off
	s_nop 0
	global_load_dwordx2 v[24:25], v[24:25], off
	s_waitcnt vmcnt(0)
	v_mul_f64 v[30:31], v[30:31], v[24:25]
	global_store_dwordx2 v[26:27], v[30:31], off
	v_lshlrev_b64 v[26:27], 3, v[0:1]
	v_add_u32_e32 v0, s3, v0
	v_add_co_u32_e32 v30, vcc, s2, v26
	v_addc_co_u32_e32 v31, vcc, v48, v27, vcc
	global_load_dwordx2 v[26:27], v[30:31], off
	s_waitcnt vmcnt(0)
	v_mul_f64 v[32:33], v[26:27], v[24:25]
	global_load_dwordx2 v[26:27], v[6:7], off
	s_waitcnt vmcnt(0)
	v_mul_f64 v[32:33], v[32:33], v[26:27]
	global_store_dwordx2 v[30:31], v[32:33], off
	v_lshlrev_b64 v[30:31], 3, v[0:1]
	v_add_u32_e32 v0, s3, v0
	v_add_co_u32_e32 v30, vcc, s2, v30
	v_addc_co_u32_e32 v31, vcc, v48, v31, vcc
	global_load_dwordx2 v[32:33], v[30:31], off
	s_waitcnt vmcnt(0)
	v_mul_f64 v[32:33], v[32:33], v[24:25]
	v_mul_f64 v[32:33], v[32:33], v[26:27]
	global_store_dwordx2 v[30:31], v[32:33], off
	v_lshlrev_b64 v[30:31], 3, v[0:1]
	v_add_u32_e32 v0, s3, v0
	v_add_co_u32_e32 v30, vcc, s2, v30
	v_addc_co_u32_e32 v31, vcc, v48, v31, vcc
	global_load_dwordx2 v[32:33], v[30:31], off
	s_waitcnt vmcnt(0)
	v_mul_f64 v[32:33], v[32:33], v[24:25]
	;; [unrolled: 9-line block ×4, first 2 shown]
	global_store_dwordx2 v[30:31], v[24:25], off
	v_lshlrev_b64 v[24:25], 3, v[0:1]
	v_add_u32_e32 v0, s3, v0
	v_add_co_u32_e32 v24, vcc, s2, v24
	v_addc_co_u32_e32 v25, vcc, v48, v25, vcc
	global_load_dwordx2 v[30:31], v[24:25], off
	global_load_dwordx2 v[32:33], v[8:9], off
	s_waitcnt vmcnt(0)
	v_mul_f64 v[30:31], v[30:31], v[32:33]
	global_store_dwordx2 v[24:25], v[30:31], off
	v_lshlrev_b64 v[24:25], 3, v[0:1]
	v_add_u32_e32 v0, s3, v0
	v_add_co_u32_e32 v24, vcc, s2, v24
	v_addc_co_u32_e32 v25, vcc, v48, v25, vcc
	global_load_dwordx2 v[30:31], v[24:25], off
	s_waitcnt vmcnt(0)
	v_mul_f64 v[30:31], v[30:31], v[26:27]
	global_store_dwordx2 v[24:25], v[30:31], off
	v_lshlrev_b64 v[24:25], 3, v[0:1]
	v_add_u32_e32 v0, s3, v0
	v_add_co_u32_e32 v24, vcc, s2, v24
	v_addc_co_u32_e32 v25, vcc, v48, v25, vcc
	;; [unrolled: 8-line block ×3, first 2 shown]
	global_load_dwordx2 v[36:37], v[30:31], off
	global_load_dwordx2 v[24:25], v[2:3], off
	s_waitcnt vmcnt(0)
	v_mul_f64 v[36:37], v[36:37], v[24:25]
	global_store_dwordx2 v[30:31], v[36:37], off
	v_lshlrev_b64 v[30:31], 3, v[0:1]
	v_add_u32_e32 v0, s3, v0
	v_add_co_u32_e32 v30, vcc, s2, v30
	v_addc_co_u32_e32 v31, vcc, v48, v31, vcc
	v_add_co_u32_e32 v22, vcc, s0, v22
	v_addc_co_u32_e32 v23, vcc, v49, v23, vcc
	global_load_dwordx2 v[36:37], v[30:31], off
	s_nop 0
	global_load_dwordx2 v[22:23], v[22:23], off
	s_waitcnt vmcnt(0)
	v_mul_f64 v[36:37], v[36:37], v[22:23]
	v_mul_f64 v[36:37], v[36:37], v[32:33]
	global_store_dwordx2 v[30:31], v[36:37], off
	v_lshlrev_b64 v[30:31], 3, v[0:1]
	v_add_u32_e32 v0, s3, v0
	v_add_co_u32_e32 v30, vcc, s2, v30
	v_addc_co_u32_e32 v31, vcc, v48, v31, vcc
	global_load_dwordx2 v[36:37], v[30:31], off
	s_waitcnt vmcnt(0)
	v_mul_f64 v[36:37], v[36:37], v[22:23]
	v_mul_f64 v[36:37], v[36:37], v[32:33]
	global_store_dwordx2 v[30:31], v[36:37], off
	v_lshlrev_b64 v[30:31], 3, v[0:1]
	v_add_u32_e32 v0, s3, v0
	v_add_co_u32_e32 v30, vcc, s2, v30
	v_addc_co_u32_e32 v31, vcc, v48, v31, vcc
	;; [unrolled: 9-line block ×6, first 2 shown]
	global_load_dwordx2 v[30:31], v[22:23], off
	s_waitcnt vmcnt(0)
	v_mul_f64 v[30:31], v[30:31], v[32:33]
	global_store_dwordx2 v[22:23], v[30:31], off
	v_lshlrev_b64 v[22:23], 3, v[0:1]
	v_add_u32_e32 v0, s3, v0
	v_add_co_u32_e32 v22, vcc, s2, v22
	v_addc_co_u32_e32 v23, vcc, v48, v23, vcc
	global_load_dwordx2 v[30:31], v[22:23], off
	s_waitcnt vmcnt(0)
	v_mul_f64 v[30:31], v[30:31], v[32:33]
	global_store_dwordx2 v[22:23], v[30:31], off
	v_lshlrev_b64 v[22:23], 3, v[0:1]
	v_add_u32_e32 v0, s3, v0
	v_add_co_u32_e32 v22, vcc, s2, v22
	v_addc_co_u32_e32 v23, vcc, v48, v23, vcc
	;; [unrolled: 8-line block ×5, first 2 shown]
	global_load_dwordx2 v[26:27], v[22:23], off
	global_load_dwordx2 v[30:31], v[4:5], off
	s_waitcnt vmcnt(0)
	v_mul_f64 v[26:27], v[26:27], v[30:31]
	global_store_dwordx2 v[22:23], v[26:27], off
	v_lshlrev_b64 v[22:23], 3, v[0:1]
	v_add_u32_e32 v0, s3, v0
	v_add_co_u32_e32 v22, vcc, s2, v22
	v_addc_co_u32_e32 v23, vcc, v48, v23, vcc
	global_load_dwordx2 v[26:27], v[22:23], off
	s_waitcnt vmcnt(0)
	v_mul_f64 v[26:27], v[26:27], v[24:25]
	global_store_dwordx2 v[22:23], v[26:27], off
	v_lshlrev_b64 v[22:23], 3, v[0:1]
	v_add_u32_e32 v0, s3, v0
	v_add_co_u32_e32 v22, vcc, s2, v22
	v_addc_co_u32_e32 v23, vcc, v48, v23, vcc
	;; [unrolled: 8-line block ×4, first 2 shown]
	global_load_dwordx2 v[26:27], v[22:23], off
	global_load_dwordx2 v[32:33], v[10:11], off
	s_waitcnt vmcnt(0)
	v_mul_f64 v[26:27], v[26:27], v[32:33]
	global_store_dwordx2 v[22:23], v[26:27], off
	v_lshlrev_b64 v[22:23], 3, v[0:1]
	v_add_u32_e32 v0, s1, v0
	v_add_co_u32_e32 v22, vcc, s2, v22
	v_addc_co_u32_e32 v23, vcc, v48, v23, vcc
	global_load_dwordx2 v[26:27], v[22:23], off
	global_load_dwordx2 v[32:33], v[18:19], off
	s_waitcnt vmcnt(0)
	v_mul_f64 v[26:27], v[26:27], v[32:33]
	global_store_dwordx2 v[22:23], v[26:27], off
	v_lshlrev_b64 v[22:23], 3, v[0:1]
	v_add_u32_e32 v0, s3, v0
	v_add_co_u32_e32 v22, vcc, s2, v22
	v_addc_co_u32_e32 v23, vcc, v48, v23, vcc
	;; [unrolled: 9-line block ×3, first 2 shown]
	global_load_dwordx2 v[26:27], v[22:23], off
	s_waitcnt vmcnt(0)
	v_mul_f64 v[26:27], v[26:27], v[32:33]
	global_store_dwordx2 v[22:23], v[26:27], off
	v_lshlrev_b64 v[22:23], 3, v[0:1]
	v_add_u32_e32 v0, s1, v0
	v_add_co_u32_e32 v22, vcc, s2, v22
	v_addc_co_u32_e32 v23, vcc, v48, v23, vcc
	global_load_dwordx2 v[26:27], v[22:23], off
	s_waitcnt vmcnt(0)
	v_mul_f64 v[26:27], v[26:27], v[32:33]
	global_store_dwordx2 v[22:23], v[26:27], off
	v_lshlrev_b64 v[22:23], 3, v[0:1]
	v_add_u32_e32 v0, s3, v0
	v_add_co_u32_e32 v22, vcc, s2, v22
	v_addc_co_u32_e32 v23, vcc, v48, v23, vcc
	global_load_dwordx2 v[26:27], v[22:23], off
	global_load_dwordx2 v[32:33], v[8:9], off
	s_waitcnt vmcnt(0)
	v_mul_f64 v[26:27], v[26:27], v[32:33]
	global_store_dwordx2 v[22:23], v[26:27], off
	v_lshlrev_b64 v[22:23], 3, v[0:1]
	v_add_u32_e32 v0, s3, v0
	v_add_co_u32_e32 v22, vcc, s2, v22
	v_addc_co_u32_e32 v23, vcc, v48, v23, vcc
	global_load_dwordx2 v[26:27], v[22:23], off
	s_waitcnt vmcnt(0)
	v_mul_f64 v[26:27], v[26:27], v[32:33]
	global_store_dwordx2 v[22:23], v[26:27], off
	v_lshlrev_b64 v[22:23], 3, v[0:1]
	v_add_u32_e32 v0, s3, v0
	v_add_co_u32_e32 v22, vcc, s2, v22
	v_addc_co_u32_e32 v23, vcc, v48, v23, vcc
	global_load_dwordx2 v[26:27], v[22:23], off
	s_waitcnt vmcnt(0)
	v_mul_f64 v[26:27], v[26:27], v[32:33]
	global_store_dwordx2 v[22:23], v[26:27], off
	v_lshlrev_b64 v[22:23], 3, v[0:1]
	v_add_u32_e32 v0, s3, v0
	v_add_co_u32_e32 v22, vcc, s2, v22
	v_addc_co_u32_e32 v23, vcc, v48, v23, vcc
	global_load_dwordx2 v[26:27], v[22:23], off
	global_load_dwordx2 v[34:35], v[6:7], off
	s_waitcnt vmcnt(0)
	v_mul_f64 v[26:27], v[26:27], v[34:35]
	global_store_dwordx2 v[22:23], v[26:27], off
	v_lshlrev_b64 v[22:23], 3, v[0:1]
	v_add_u32_e32 v0, s3, v0
	v_add_co_u32_e32 v22, vcc, s2, v22
	v_addc_co_u32_e32 v23, vcc, v48, v23, vcc
	;; [unrolled: 25-line block ×3, first 2 shown]
	v_add_co_u32_e32 v20, vcc, s0, v20
	v_addc_co_u32_e32 v21, vcc, v49, v21, vcc
	global_load_dwordx2 v[24:25], v[22:23], off
	global_load_dwordx2 v[30:31], v[20:21], off
	s_waitcnt vmcnt(0)
	v_mul_f64 v[20:21], v[24:25], v[30:31]
	global_load_dwordx2 v[24:25], v[4:5], off
	s_nop 0
	global_store_dwordx2 v[22:23], v[20:21], off
	v_lshlrev_b64 v[20:21], 3, v[0:1]
	v_add_u32_e32 v0, s3, v0
	v_add_co_u32_e32 v20, vcc, s2, v20
	v_addc_co_u32_e32 v21, vcc, v48, v21, vcc
	global_load_dwordx2 v[22:23], v[20:21], off
	s_waitcnt vmcnt(0)
	v_mul_f64 v[22:23], v[22:23], v[30:31]
	v_mul_f64 v[22:23], v[22:23], v[32:33]
	global_store_dwordx2 v[20:21], v[22:23], off
	v_lshlrev_b64 v[20:21], 3, v[0:1]
	v_add_u32_e32 v0, s3, v0
	v_add_co_u32_e32 v20, vcc, s2, v20
	v_addc_co_u32_e32 v21, vcc, v48, v21, vcc
	global_load_dwordx2 v[22:23], v[20:21], off
	s_waitcnt vmcnt(0)
	v_mul_f64 v[22:23], v[22:23], v[30:31]
	v_mul_f64 v[22:23], v[22:23], v[32:33]
	;; [unrolled: 9-line block ×7, first 2 shown]
	global_load_dwordx2 v[26:27], v[28:29], off
	s_nop 0
	global_store_dwordx2 v[20:21], v[22:23], off
	v_lshlrev_b64 v[20:21], 3, v[0:1]
	v_add_u32_e32 v0, s3, v0
	v_add_co_u32_e32 v22, vcc, s2, v20
	v_addc_co_u32_e32 v23, vcc, v48, v21, vcc
	global_load_dwordx2 v[20:21], v[22:23], off
	s_waitcnt vmcnt(0)
	v_mul_f64 v[24:25], v[20:21], v[30:31]
	global_load_dwordx2 v[20:21], v[10:11], off
	s_waitcnt vmcnt(0)
	v_mul_f64 v[24:25], v[24:25], v[20:21]
	global_store_dwordx2 v[22:23], v[24:25], off
	v_lshlrev_b64 v[22:23], 3, v[0:1]
	v_add_u32_e32 v0, s3, v0
	v_add_co_u32_e32 v22, vcc, s2, v22
	v_addc_co_u32_e32 v23, vcc, v48, v23, vcc
	global_load_dwordx2 v[24:25], v[22:23], off
	s_waitcnt vmcnt(0)
	v_mul_f64 v[24:25], v[24:25], v[30:31]
	global_store_dwordx2 v[22:23], v[24:25], off
	v_lshlrev_b64 v[22:23], 3, v[0:1]
	v_add_u32_e32 v0, s3, v0
	v_add_co_u32_e32 v22, vcc, s2, v22
	v_addc_co_u32_e32 v23, vcc, v48, v23, vcc
	;; [unrolled: 8-line block ×5, first 2 shown]
	global_load_dwordx2 v[24:25], v[22:23], off
	s_waitcnt vmcnt(0)
	v_mul_f64 v[24:25], v[24:25], v[30:31]
	v_mul_f64 v[24:25], v[24:25], v[26:27]
	global_store_dwordx2 v[22:23], v[24:25], off
	v_lshlrev_b64 v[22:23], 3, v[0:1]
	v_add_u32_e32 v0, s3, v0
	v_add_co_u32_e32 v22, vcc, s2, v22
	v_addc_co_u32_e32 v23, vcc, v48, v23, vcc
	global_load_dwordx2 v[24:25], v[22:23], off
	s_waitcnt vmcnt(0)
	v_mul_f64 v[24:25], v[24:25], v[30:31]
	v_mul_f64 v[24:25], v[24:25], v[26:27]
	global_store_dwordx2 v[22:23], v[24:25], off
	v_lshlrev_b64 v[22:23], 3, v[0:1]
	v_add_u32_e32 v0, s3, v0
	v_add_co_u32_e32 v24, vcc, s2, v22
	v_addc_co_u32_e32 v25, vcc, v48, v23, vcc
	global_load_dwordx2 v[26:27], v[24:25], off
	global_load_dwordx2 v[22:23], v[8:9], off
	s_waitcnt vmcnt(0)
	v_mul_f64 v[26:27], v[26:27], v[22:23]
	global_store_dwordx2 v[24:25], v[26:27], off
	v_lshlrev_b64 v[24:25], 3, v[0:1]
	v_add_u32_e32 v0, s3, v0
	v_add_co_u32_e32 v24, vcc, s2, v24
	v_addc_co_u32_e32 v25, vcc, v48, v25, vcc
	global_load_dwordx2 v[26:27], v[24:25], off
	s_waitcnt vmcnt(0)
	v_mul_f64 v[26:27], v[26:27], v[22:23]
	global_store_dwordx2 v[24:25], v[26:27], off
	v_lshlrev_b64 v[24:25], 3, v[0:1]
	v_add_u32_e32 v0, s3, v0
	v_add_co_u32_e32 v24, vcc, s2, v24
	v_addc_co_u32_e32 v25, vcc, v48, v25, vcc
	global_load_dwordx2 v[26:27], v[24:25], off
	global_load_dwordx2 v[30:31], v[6:7], off
	s_waitcnt vmcnt(0)
	v_mul_f64 v[26:27], v[26:27], v[30:31]
	global_store_dwordx2 v[24:25], v[26:27], off
	v_lshlrev_b64 v[24:25], 3, v[0:1]
	v_add_u32_e32 v0, s3, v0
	v_add_co_u32_e32 v24, vcc, s2, v24
	v_addc_co_u32_e32 v25, vcc, v48, v25, vcc
	global_load_dwordx2 v[26:27], v[24:25], off
	s_waitcnt vmcnt(0)
	;; [unrolled: 17-line block ×3, first 2 shown]
	v_mul_f64 v[26:27], v[26:27], v[20:21]
	global_store_dwordx2 v[24:25], v[26:27], off
	v_lshlrev_b64 v[24:25], 3, v[0:1]
	v_add_u32_e32 v0, s3, v0
	v_add_co_u32_e32 v24, vcc, s2, v24
	v_addc_co_u32_e32 v25, vcc, v48, v25, vcc
	global_load_dwordx2 v[26:27], v[24:25], off
	s_waitcnt vmcnt(0)
	v_mul_f64 v[26:27], v[26:27], v[20:21]
	global_store_dwordx2 v[24:25], v[26:27], off
	v_lshlrev_b64 v[24:25], 3, v[0:1]
	v_add_u32_e32 v0, s3, v0
	v_add_co_u32_e32 v24, vcc, s2, v24
	v_addc_co_u32_e32 v25, vcc, v48, v25, vcc
	global_load_dwordx2 v[26:27], v[24:25], off
	s_waitcnt vmcnt(0)
	v_mul_f64 v[26:27], v[26:27], v[20:21]
	global_store_dwordx2 v[24:25], v[26:27], off
	v_lshlrev_b64 v[24:25], 3, v[0:1]
	v_add_u32_e32 v0, s1, v0
	v_add_co_u32_e32 v24, vcc, s2, v24
	v_addc_co_u32_e32 v25, vcc, v48, v25, vcc
	global_load_dwordx2 v[26:27], v[24:25], off
	s_nop 0
	global_load_dwordx2 v[18:19], v[18:19], off
	s_waitcnt vmcnt(0)
	v_mul_f64 v[18:19], v[26:27], v[18:19]
	global_load_dwordx2 v[26:27], v[4:5], off
	s_nop 0
	global_store_dwordx2 v[24:25], v[18:19], off
	v_lshlrev_b64 v[18:19], 3, v[0:1]
	v_add_u32_e32 v0, s3, v0
	v_add_co_u32_e32 v18, vcc, s2, v18
	v_addc_co_u32_e32 v19, vcc, v48, v19, vcc
	v_add_co_u32_e32 v16, vcc, s0, v16
	v_addc_co_u32_e32 v17, vcc, v49, v17, vcc
	global_load_dwordx2 v[24:25], v[18:19], off
	s_nop 0
	global_load_dwordx2 v[16:17], v[16:17], off
	s_waitcnt vmcnt(0)
	v_mul_f64 v[24:25], v[24:25], v[16:17]
	v_mul_f64 v[24:25], v[24:25], v[22:23]
	global_store_dwordx2 v[18:19], v[24:25], off
	v_lshlrev_b64 v[18:19], 3, v[0:1]
	v_add_u32_e32 v0, s3, v0
	v_add_co_u32_e32 v18, vcc, s2, v18
	v_addc_co_u32_e32 v19, vcc, v48, v19, vcc
	global_load_dwordx2 v[24:25], v[18:19], off
	s_waitcnt vmcnt(0)
	v_mul_f64 v[24:25], v[24:25], v[16:17]
	v_mul_f64 v[24:25], v[24:25], v[30:31]
	global_store_dwordx2 v[18:19], v[24:25], off
	v_lshlrev_b64 v[18:19], 3, v[0:1]
	v_add_u32_e32 v0, s3, v0
	v_add_co_u32_e32 v18, vcc, s2, v18
	v_addc_co_u32_e32 v19, vcc, v48, v19, vcc
	;; [unrolled: 9-line block ×3, first 2 shown]
	global_load_dwordx2 v[24:25], v[18:19], off
	s_waitcnt vmcnt(0)
	v_mul_f64 v[24:25], v[24:25], v[16:17]
	global_store_dwordx2 v[18:19], v[24:25], off
	v_lshlrev_b64 v[18:19], 3, v[0:1]
	v_add_u32_e32 v0, s3, v0
	v_add_co_u32_e32 v18, vcc, s2, v18
	v_addc_co_u32_e32 v19, vcc, v48, v19, vcc
	global_load_dwordx2 v[24:25], v[18:19], off
	s_waitcnt vmcnt(0)
	v_mul_f64 v[16:17], v[24:25], v[16:17]
	global_load_dwordx2 v[24:25], v[28:29], off
	s_waitcnt vmcnt(0)
	v_mul_f64 v[16:17], v[16:17], v[24:25]
	global_store_dwordx2 v[18:19], v[16:17], off
	v_lshlrev_b64 v[16:17], 3, v[0:1]
	v_add_u32_e32 v0, s3, v0
	v_add_co_u32_e32 v16, vcc, s2, v16
	v_addc_co_u32_e32 v17, vcc, v48, v17, vcc
	v_add_co_u32_e32 v14, vcc, s0, v14
	v_addc_co_u32_e32 v15, vcc, v49, v15, vcc
	global_load_dwordx2 v[18:19], v[16:17], off
	s_nop 0
	global_load_dwordx2 v[14:15], v[14:15], off
	s_waitcnt vmcnt(0)
	v_mul_f64 v[18:19], v[18:19], v[14:15]
	v_mul_f64 v[18:19], v[18:19], v[22:23]
	global_store_dwordx2 v[16:17], v[18:19], off
	v_lshlrev_b64 v[16:17], 3, v[0:1]
	v_add_u32_e32 v0, s3, v0
	v_add_co_u32_e32 v16, vcc, s2, v16
	v_addc_co_u32_e32 v17, vcc, v48, v17, vcc
	global_load_dwordx2 v[18:19], v[16:17], off
	s_waitcnt vmcnt(0)
	v_mul_f64 v[18:19], v[18:19], v[14:15]
	v_mul_f64 v[18:19], v[18:19], v[22:23]
	global_store_dwordx2 v[16:17], v[18:19], off
	v_lshlrev_b64 v[16:17], 3, v[0:1]
	v_add_u32_e32 v0, s3, v0
	v_add_co_u32_e32 v16, vcc, s2, v16
	v_addc_co_u32_e32 v17, vcc, v48, v17, vcc
	;; [unrolled: 9-line block ×4, first 2 shown]
	global_load_dwordx2 v[18:19], v[16:17], off
	s_waitcnt vmcnt(0)
	v_mul_f64 v[14:15], v[18:19], v[14:15]
	global_store_dwordx2 v[16:17], v[14:15], off
	v_lshlrev_b64 v[14:15], 3, v[0:1]
	v_add_u32_e32 v0, s3, v0
	v_add_co_u32_e32 v14, vcc, s2, v14
	v_addc_co_u32_e32 v15, vcc, v48, v15, vcc
	v_add_co_u32_e32 v12, vcc, s0, v12
	v_addc_co_u32_e32 v13, vcc, v49, v13, vcc
	global_load_dwordx2 v[16:17], v[14:15], off
	global_load_dwordx2 v[18:19], v[12:13], off
	s_waitcnt vmcnt(0)
	v_mul_f64 v[12:13], v[16:17], v[18:19]
	v_mul_f64 v[12:13], v[12:13], v[22:23]
	global_store_dwordx2 v[14:15], v[12:13], off
	v_lshlrev_b64 v[12:13], 3, v[0:1]
	v_add_u32_e32 v0, s3, v0
	v_add_co_u32_e32 v12, vcc, s2, v12
	v_addc_co_u32_e32 v13, vcc, v48, v13, vcc
	global_load_dwordx2 v[14:15], v[12:13], off
	s_waitcnt vmcnt(0)
	v_mul_f64 v[14:15], v[14:15], v[18:19]
	v_mul_f64 v[14:15], v[14:15], v[22:23]
	global_store_dwordx2 v[12:13], v[14:15], off
	v_lshlrev_b64 v[12:13], 3, v[0:1]
	v_add_u32_e32 v0, s3, v0
	v_add_co_u32_e32 v12, vcc, s2, v12
	v_addc_co_u32_e32 v13, vcc, v48, v13, vcc
	;; [unrolled: 9-line block ×3, first 2 shown]
	global_load_dwordx2 v[12:13], v[14:15], off
	s_waitcnt vmcnt(0)
	v_mul_f64 v[16:17], v[12:13], v[18:19]
	global_load_dwordx2 v[12:13], v[6:7], off
	s_waitcnt vmcnt(0)
	v_mul_f64 v[6:7], v[16:17], v[12:13]
	global_store_dwordx2 v[14:15], v[6:7], off
	v_lshlrev_b64 v[6:7], 3, v[0:1]
	v_add_u32_e32 v0, s3, v0
	v_add_co_u32_e32 v6, vcc, s2, v6
	v_addc_co_u32_e32 v7, vcc, v48, v7, vcc
	global_load_dwordx2 v[14:15], v[6:7], off
	s_waitcnt vmcnt(0)
	v_mul_f64 v[14:15], v[14:15], v[18:19]
	v_mul_f64 v[14:15], v[14:15], v[12:13]
	global_store_dwordx2 v[6:7], v[14:15], off
	v_lshlrev_b64 v[6:7], 3, v[0:1]
	v_add_u32_e32 v0, s3, v0
	v_add_co_u32_e32 v6, vcc, s2, v6
	v_addc_co_u32_e32 v7, vcc, v48, v7, vcc
	global_load_dwordx2 v[14:15], v[6:7], off
	s_waitcnt vmcnt(0)
	v_mul_f64 v[14:15], v[14:15], v[18:19]
	;; [unrolled: 9-line block ×3, first 2 shown]
	global_load_dwordx2 v[14:15], v[4:5], off
	s_waitcnt vmcnt(0)
	v_mul_f64 v[4:5], v[16:17], v[14:15]
	global_store_dwordx2 v[6:7], v[4:5], off
	v_lshlrev_b64 v[4:5], 3, v[0:1]
	v_add_u32_e32 v0, s3, v0
	v_add_co_u32_e32 v4, vcc, s2, v4
	v_addc_co_u32_e32 v5, vcc, v48, v5, vcc
	global_load_dwordx2 v[6:7], v[4:5], off
	s_waitcnt vmcnt(0)
	v_mul_f64 v[16:17], v[6:7], v[18:19]
	global_load_dwordx2 v[6:7], v[10:11], off
	s_waitcnt vmcnt(0)
	v_mul_f64 v[10:11], v[16:17], v[6:7]
	global_store_dwordx2 v[4:5], v[10:11], off
	v_lshlrev_b64 v[4:5], 3, v[0:1]
	v_add_u32_e32 v0, s3, v0
	v_add_co_u32_e32 v10, vcc, s2, v4
	v_addc_co_u32_e32 v11, vcc, v48, v5, vcc
	global_load_dwordx2 v[4:5], v[10:11], off
	s_waitcnt vmcnt(0)
	v_mul_f64 v[16:17], v[4:5], v[18:19]
	global_load_dwordx2 v[4:5], v[28:29], off
	s_waitcnt vmcnt(0)
	v_mul_f64 v[16:17], v[16:17], v[4:5]
	global_store_dwordx2 v[10:11], v[16:17], off
	v_lshlrev_b64 v[10:11], 3, v[0:1]
	v_add_u32_e32 v0, s3, v0
	v_add_co_u32_e32 v10, vcc, s2, v10
	v_addc_co_u32_e32 v11, vcc, v48, v11, vcc
	global_load_dwordx2 v[16:17], v[10:11], off
	global_load_dwordx2 v[18:19], v[8:9], off
	s_waitcnt vmcnt(0)
	v_mul_f64 v[8:9], v[16:17], v[18:19]
	global_store_dwordx2 v[10:11], v[8:9], off
	v_lshlrev_b64 v[8:9], 3, v[0:1]
	v_add_u32_e32 v0, s3, v0
	v_add_co_u32_e32 v8, vcc, s2, v8
	v_addc_co_u32_e32 v9, vcc, v48, v9, vcc
	global_load_dwordx2 v[10:11], v[8:9], off
	s_waitcnt vmcnt(0)
	v_mul_f64 v[10:11], v[10:11], v[18:19]
	global_store_dwordx2 v[8:9], v[10:11], off
	v_lshlrev_b64 v[8:9], 3, v[0:1]
	v_add_u32_e32 v0, s3, v0
	v_add_co_u32_e32 v8, vcc, s2, v8
	v_addc_co_u32_e32 v9, vcc, v48, v9, vcc
	;; [unrolled: 8-line block ×4, first 2 shown]
	global_load_dwordx2 v[10:11], v[8:9], off
	global_load_dwordx2 v[12:13], v[2:3], off
	s_waitcnt vmcnt(0)
	v_mul_f64 v[2:3], v[10:11], v[12:13]
	global_store_dwordx2 v[8:9], v[2:3], off
	v_lshlrev_b64 v[2:3], 3, v[0:1]
	v_add_u32_e32 v0, s3, v0
	v_add_co_u32_e32 v2, vcc, s2, v2
	v_addc_co_u32_e32 v3, vcc, v48, v3, vcc
	global_load_dwordx2 v[8:9], v[2:3], off
	v_lshlrev_b64 v[0:1], 3, v[0:1]
	v_add_co_u32_e32 v0, vcc, s2, v0
	v_addc_co_u32_e32 v1, vcc, v48, v1, vcc
	s_waitcnt vmcnt(0)
	v_mul_f64 v[6:7], v[8:9], v[6:7]
	global_store_dwordx2 v[2:3], v[6:7], off
	global_load_dwordx2 v[2:3], v[0:1], off
	s_waitcnt vmcnt(0)
	v_mul_f64 v[2:3], v[2:3], v[4:5]
	global_store_dwordx2 v[0:1], v[2:3], off
	s_endpgm
	.section	.rodata,"a",@progbits
	.p2align	6, 0x0
	.amdhsa_kernel _Z12ratx2_kernelIdEvPKT_PS0_S3_
		.amdhsa_group_segment_fixed_size 0
		.amdhsa_private_segment_fixed_size 0
		.amdhsa_kernarg_size 280
		.amdhsa_user_sgpr_count 6
		.amdhsa_user_sgpr_private_segment_buffer 1
		.amdhsa_user_sgpr_dispatch_ptr 0
		.amdhsa_user_sgpr_queue_ptr 0
		.amdhsa_user_sgpr_kernarg_segment_ptr 1
		.amdhsa_user_sgpr_dispatch_id 0
		.amdhsa_user_sgpr_flat_scratch_init 0
		.amdhsa_user_sgpr_private_segment_size 0
		.amdhsa_uses_dynamic_stack 0
		.amdhsa_system_sgpr_private_segment_wavefront_offset 0
		.amdhsa_system_sgpr_workgroup_id_x 1
		.amdhsa_system_sgpr_workgroup_id_y 0
		.amdhsa_system_sgpr_workgroup_id_z 0
		.amdhsa_system_sgpr_workgroup_info 0
		.amdhsa_system_vgpr_workitem_id 0
		.amdhsa_next_free_vgpr 56
		.amdhsa_next_free_sgpr 9
		.amdhsa_reserve_vcc 1
		.amdhsa_reserve_flat_scratch 0
		.amdhsa_float_round_mode_32 0
		.amdhsa_float_round_mode_16_64 0
		.amdhsa_float_denorm_mode_32 3
		.amdhsa_float_denorm_mode_16_64 3
		.amdhsa_dx10_clamp 1
		.amdhsa_ieee_mode 1
		.amdhsa_fp16_overflow 0
		.amdhsa_exception_fp_ieee_invalid_op 0
		.amdhsa_exception_fp_denorm_src 0
		.amdhsa_exception_fp_ieee_div_zero 0
		.amdhsa_exception_fp_ieee_overflow 0
		.amdhsa_exception_fp_ieee_underflow 0
		.amdhsa_exception_fp_ieee_inexact 0
		.amdhsa_exception_int_div_zero 0
	.end_amdhsa_kernel
	.section	.text._Z12ratx2_kernelIdEvPKT_PS0_S3_,"axG",@progbits,_Z12ratx2_kernelIdEvPKT_PS0_S3_,comdat
.Lfunc_end41:
	.size	_Z12ratx2_kernelIdEvPKT_PS0_S3_, .Lfunc_end41-_Z12ratx2_kernelIdEvPKT_PS0_S3_
                                        ; -- End function
	.set _Z12ratx2_kernelIdEvPKT_PS0_S3_.num_vgpr, 56
	.set _Z12ratx2_kernelIdEvPKT_PS0_S3_.num_agpr, 0
	.set _Z12ratx2_kernelIdEvPKT_PS0_S3_.numbered_sgpr, 9
	.set _Z12ratx2_kernelIdEvPKT_PS0_S3_.num_named_barrier, 0
	.set _Z12ratx2_kernelIdEvPKT_PS0_S3_.private_seg_size, 0
	.set _Z12ratx2_kernelIdEvPKT_PS0_S3_.uses_vcc, 1
	.set _Z12ratx2_kernelIdEvPKT_PS0_S3_.uses_flat_scratch, 0
	.set _Z12ratx2_kernelIdEvPKT_PS0_S3_.has_dyn_sized_stack, 0
	.set _Z12ratx2_kernelIdEvPKT_PS0_S3_.has_recursion, 0
	.set _Z12ratx2_kernelIdEvPKT_PS0_S3_.has_indirect_call, 0
	.section	.AMDGPU.csdata,"",@progbits
; Kernel info:
; codeLenInByte = 11052
; TotalNumSgprs: 13
; NumVgprs: 56
; ScratchSize: 0
; MemoryBound: 1
; FloatMode: 240
; IeeeMode: 1
; LDSByteSize: 0 bytes/workgroup (compile time only)
; SGPRBlocks: 1
; VGPRBlocks: 13
; NumSGPRsForWavesPerEU: 13
; NumVGPRsForWavesPerEU: 56
; Occupancy: 4
; WaveLimiterHint : 1
; COMPUTE_PGM_RSRC2:SCRATCH_EN: 0
; COMPUTE_PGM_RSRC2:USER_SGPR: 6
; COMPUTE_PGM_RSRC2:TRAP_HANDLER: 0
; COMPUTE_PGM_RSRC2:TGID_X_EN: 1
; COMPUTE_PGM_RSRC2:TGID_Y_EN: 0
; COMPUTE_PGM_RSRC2:TGID_Z_EN: 0
; COMPUTE_PGM_RSRC2:TIDIG_COMP_CNT: 0
	.section	.text._Z12ratx4_kernelIdEvPKT_PS0_S3_,"axG",@progbits,_Z12ratx4_kernelIdEvPKT_PS0_S3_,comdat
	.protected	_Z12ratx4_kernelIdEvPKT_PS0_S3_ ; -- Begin function _Z12ratx4_kernelIdEvPKT_PS0_S3_
	.globl	_Z12ratx4_kernelIdEvPKT_PS0_S3_
	.p2align	8
	.type	_Z12ratx4_kernelIdEvPKT_PS0_S3_,@function
_Z12ratx4_kernelIdEvPKT_PS0_S3_:        ; @_Z12ratx4_kernelIdEvPKT_PS0_S3_
; %bb.0:
	s_load_dwordx2 s[2:3], s[4:5], 0x0
	s_load_dwordx2 s[0:1], s[4:5], 0x10
	s_load_dword s7, s[4:5], 0x18
	s_load_dword s8, s[4:5], 0x24
	v_mov_b32_e32 v1, 0
	v_mov_b32_e32 v9, v1
	s_waitcnt lgkmcnt(0)
	v_mov_b32_e32 v56, s1
	v_mov_b32_e32 v57, s3
	s_and_b32 s4, s8, 0xffff
	s_mul_i32 s6, s6, s4
	v_add_u32_e32 v0, s6, v0
	s_mul_i32 s1, s7, s4
	v_lshlrev_b64 v[2:3], 3, v[0:1]
	s_lshl_b32 s4, s1, 1
	v_add_u32_e32 v8, s4, v0
	v_add_co_u32_e32 v4, vcc, s0, v2
	v_lshlrev_b64 v[14:15], 3, v[8:9]
	v_addc_co_u32_e32 v5, vcc, v56, v3, vcc
	v_add_co_u32_e32 v26, vcc, s2, v14
	v_addc_co_u32_e32 v27, vcc, v57, v15, vcc
	global_load_dwordx2 v[6:7], v[4:5], off
	global_load_dwordx2 v[22:23], v[26:27], off
	v_add_u32_e32 v8, s4, v8
	v_lshlrev_b64 v[8:9], 3, v[8:9]
	v_add_u32_e32 v0, s1, v0
	v_add_co_u32_e32 v10, vcc, s2, v8
	v_addc_co_u32_e32 v11, vcc, v57, v9, vcc
	global_load_dwordx2 v[20:21], v[10:11], off
	s_lshl_b32 s3, s1, 2
	s_waitcnt vmcnt(1)
	v_mul_f64 v[6:7], v[6:7], v[22:23]
	s_waitcnt vmcnt(0)
	v_mul_f64 v[6:7], v[6:7], v[20:21]
	global_store_dwordx2 v[4:5], v[6:7], off
	v_lshlrev_b64 v[4:5], 3, v[0:1]
	v_add_u32_e32 v0, s3, v0
	v_add_co_u32_e32 v8, vcc, s0, v4
	v_addc_co_u32_e32 v9, vcc, v56, v5, vcc
	v_add_co_u32_e32 v12, vcc, s2, v4
	v_addc_co_u32_e32 v13, vcc, v57, v5, vcc
	global_load_dwordx2 v[16:17], v[8:9], off
	global_load_dwordx2 v[6:7], v[12:13], off
	s_waitcnt vmcnt(0)
	v_mul_f64 v[4:5], v[16:17], v[6:7]
	v_mul_f64 v[4:5], v[20:21], v[4:5]
	global_store_dwordx2 v[8:9], v[4:5], off
	v_add_co_u32_e32 v4, vcc, s0, v14
	v_addc_co_u32_e32 v5, vcc, v56, v15, vcc
	global_load_dwordx2 v[8:9], v[4:5], off
	v_lshlrev_b64 v[14:15], 3, v[0:1]
	v_subrev_u32_e32 v0, s4, v0
	v_add_co_u32_e32 v16, vcc, s2, v14
	v_addc_co_u32_e32 v17, vcc, v57, v15, vcc
	global_load_dwordx2 v[40:41], v[16:17], off
	s_waitcnt vmcnt(1)
	v_mul_f64 v[8:9], v[6:7], v[8:9]
	s_waitcnt vmcnt(0)
	v_mul_f64 v[8:9], v[8:9], v[40:41]
	global_store_dwordx2 v[4:5], v[8:9], off
	v_lshlrev_b64 v[4:5], 3, v[0:1]
	v_add_co_u32_e32 v8, vcc, s0, v4
	v_addc_co_u32_e32 v9, vcc, v56, v5, vcc
	global_load_dwordx2 v[18:19], v[8:9], off
	s_waitcnt vmcnt(0)
	v_mul_f64 v[18:19], v[22:23], v[18:19]
	v_mul_f64 v[18:19], v[40:41], v[18:19]
	global_store_dwordx2 v[8:9], v[18:19], off
	v_add_co_u32_e32 v8, vcc, s0, v14
	v_addc_co_u32_e32 v9, vcc, v56, v15, vcc
	v_add_co_u32_e32 v14, vcc, s2, v2
	v_addc_co_u32_e32 v15, vcc, v57, v3, vcc
	global_load_dwordx2 v[18:19], v[8:9], off
	global_load_dwordx2 v[48:49], v[14:15], off
	s_waitcnt vmcnt(0)
	v_mul_f64 v[2:3], v[18:19], v[48:49]
	v_mul_f64 v[2:3], v[48:49], v[2:3]
	global_store_dwordx2 v[8:9], v[2:3], off
	v_mad_u64_u32 v[2:3], s[6:7], s1, 3, v[0:1]
	v_mov_b32_e32 v3, v1
	v_lshlrev_b64 v[8:9], 3, v[2:3]
	v_add_u32_e32 v0, s1, v2
	v_add_co_u32_e32 v18, vcc, s0, v8
	v_addc_co_u32_e32 v19, vcc, v56, v9, vcc
	global_load_dwordx2 v[24:25], v[18:19], off
	v_lshlrev_b64 v[28:29], 3, v[0:1]
	v_add_u32_e32 v0, s3, v0
	v_add_co_u32_e32 v2, vcc, s0, v28
	v_addc_co_u32_e32 v3, vcc, v56, v29, vcc
	s_mul_i32 s3, s1, 0xffffffe9
	s_waitcnt vmcnt(0)
	v_mul_f64 v[24:25], v[48:49], v[24:25]
	v_mul_f64 v[24:25], v[40:41], v[24:25]
	global_store_dwordx2 v[18:19], v[24:25], off
	global_load_dwordx2 v[18:19], v[2:3], off
	v_lshlrev_b64 v[24:25], 3, v[0:1]
	v_add_u32_e32 v0, s1, v0
	v_add_co_u32_e32 v34, vcc, s2, v24
	v_addc_co_u32_e32 v35, vcc, v57, v25, vcc
	global_load_dwordx2 v[46:47], v[34:35], off
	v_lshlrev_b64 v[44:45], 3, v[0:1]
	v_add_u32_e32 v0, s1, v0
	v_add_co_u32_e32 v24, vcc, s0, v44
	v_addc_co_u32_e32 v25, vcc, v56, v45, vcc
	v_lshlrev_b64 v[42:43], 3, v[0:1]
	v_add_u32_e32 v0, s1, v0
	v_lshlrev_b64 v[32:33], 3, v[0:1]
	v_mad_u64_u32 v[30:31], s[6:7], s1, 7, v[0:1]
	v_mov_b32_e32 v31, v1
	v_lshlrev_b64 v[54:55], 3, v[30:31]
	s_waitcnt vmcnt(1)
	v_mul_f64 v[18:19], v[48:49], v[18:19]
	s_waitcnt vmcnt(0)
	v_mul_f64 v[18:19], v[18:19], v[46:47]
	global_store_dwordx2 v[2:3], v[18:19], off
	v_add_co_u32_e32 v2, vcc, s2, v8
	v_addc_co_u32_e32 v3, vcc, v57, v9, vcc
	global_load_dwordx2 v[18:19], v[24:25], off
	global_load_dwordx2 v[50:51], v[2:3], off
	s_waitcnt vmcnt(0)
	v_mul_f64 v[8:9], v[18:19], v[50:51]
	v_add_co_u32_e32 v18, vcc, s2, v4
	v_addc_co_u32_e32 v19, vcc, v57, v5, vcc
	global_load_dwordx2 v[52:53], v[18:19], off
	s_waitcnt vmcnt(0)
	v_mul_f64 v[4:5], v[8:9], v[52:53]
	global_store_dwordx2 v[24:25], v[4:5], off
	v_add_co_u32_e32 v4, vcc, s0, v42
	v_addc_co_u32_e32 v5, vcc, v56, v43, vcc
	global_load_dwordx2 v[8:9], v[4:5], off
	s_waitcnt vmcnt(0)
	v_mul_f64 v[8:9], v[50:51], v[8:9]
	v_mul_f64 v[8:9], v[40:41], v[8:9]
	global_store_dwordx2 v[4:5], v[8:9], off
	v_add_co_u32_e32 v4, vcc, s0, v32
	v_addc_co_u32_e32 v5, vcc, v56, v33, vcc
	global_load_dwordx2 v[8:9], v[4:5], off
	v_add_co_u32_e32 v24, vcc, s2, v54
	v_addc_co_u32_e32 v25, vcc, v57, v55, vcc
	global_load_dwordx2 v[36:37], v[24:25], off
	s_waitcnt vmcnt(1)
	v_mul_f64 v[8:9], v[50:51], v[8:9]
	s_waitcnt vmcnt(0)
	v_mul_f64 v[8:9], v[8:9], v[36:37]
	global_store_dwordx2 v[4:5], v[8:9], off
	v_mad_u64_u32 v[4:5], s[6:7], s1, -6, v[30:31]
	v_mov_b32_e32 v5, v1
	v_lshlrev_b64 v[36:37], 3, v[4:5]
	v_add_u32_e32 v0, s1, v4
	v_add_co_u32_e32 v30, vcc, s0, v36
	v_addc_co_u32_e32 v31, vcc, v56, v37, vcc
	v_add_co_u32_e32 v8, vcc, s2, v28
	v_addc_co_u32_e32 v9, vcc, v57, v29, vcc
	global_load_dwordx2 v[38:39], v[30:31], off
	global_load_dwordx2 v[58:59], v[8:9], off
	v_lshlrev_b64 v[4:5], 3, v[0:1]
	v_add_u32_e32 v0, s1, v0
	s_waitcnt vmcnt(0)
	v_mul_f64 v[28:29], v[38:39], v[58:59]
	global_store_dwordx2 v[30:31], v[28:29], off
	v_add_co_u32_e32 v28, vcc, s0, v4
	v_addc_co_u32_e32 v29, vcc, v56, v5, vcc
	global_load_dwordx2 v[30:31], v[28:29], off
	s_waitcnt vmcnt(0)
	v_mul_f64 v[22:23], v[22:23], v[30:31]
	v_mul_f64 v[22:23], v[40:41], v[22:23]
	global_store_dwordx2 v[28:29], v[22:23], off
	v_lshlrev_b64 v[22:23], 3, v[0:1]
	v_add_u32_e32 v0, s1, v0
	v_add_co_u32_e32 v28, vcc, s0, v22
	v_addc_co_u32_e32 v29, vcc, v56, v23, vcc
	global_load_dwordx2 v[30:31], v[28:29], off
	v_lshlrev_b64 v[38:39], 3, v[0:1]
	v_add_u32_e32 v0, s1, v0
	s_waitcnt vmcnt(0)
	v_mul_f64 v[30:31], v[52:53], v[30:31]
	v_mul_f64 v[30:31], v[48:49], v[30:31]
	global_store_dwordx2 v[28:29], v[30:31], off
	v_add_co_u32_e32 v28, vcc, s0, v38
	v_addc_co_u32_e32 v29, vcc, v56, v39, vcc
	global_load_dwordx2 v[30:31], v[28:29], off
	s_waitcnt vmcnt(0)
	v_mul_f64 v[30:31], v[20:21], v[30:31]
	v_mul_f64 v[30:31], v[20:21], v[30:31]
	global_store_dwordx2 v[28:29], v[30:31], off
	v_lshlrev_b64 v[28:29], 3, v[0:1]
	v_add_u32_e32 v0, s1, v0
	v_add_co_u32_e32 v30, vcc, s0, v28
	v_addc_co_u32_e32 v31, vcc, v56, v29, vcc
	global_load_dwordx2 v[60:61], v[30:31], off
	s_waitcnt vmcnt(0)
	v_mul_f64 v[60:61], v[20:21], v[60:61]
	v_mul_f64 v[60:61], v[52:53], v[60:61]
	global_store_dwordx2 v[30:31], v[60:61], off
	v_lshlrev_b64 v[30:31], 3, v[0:1]
	v_add_u32_e32 v0, s4, v0
	v_add_co_u32_e32 v60, vcc, s0, v30
	v_addc_co_u32_e32 v61, vcc, v56, v31, vcc
	global_load_dwordx2 v[62:63], v[60:61], off
	v_add_co_u32_e32 v54, vcc, s0, v54
	v_addc_co_u32_e32 v55, vcc, v56, v55, vcc
	s_waitcnt vmcnt(0)
	v_mul_f64 v[62:63], v[52:53], v[62:63]
	v_mul_f64 v[62:63], v[40:41], v[62:63]
	global_store_dwordx2 v[60:61], v[62:63], off
	global_load_dwordx2 v[60:61], v[54:55], off
	s_waitcnt vmcnt(0)
	v_mul_f64 v[60:61], v[52:53], v[60:61]
	v_mul_f64 v[60:61], v[58:59], v[60:61]
	global_store_dwordx2 v[54:55], v[60:61], off
	v_lshlrev_b64 v[54:55], 3, v[0:1]
	v_add_u32_e32 v0, s1, v0
	v_add_co_u32_e32 v54, vcc, s0, v54
	v_addc_co_u32_e32 v55, vcc, v56, v55, vcc
	global_load_dwordx2 v[60:61], v[54:55], off
	s_waitcnt vmcnt(0)
	v_mul_f64 v[52:53], v[52:53], v[60:61]
	v_mul_f64 v[52:53], v[58:59], v[52:53]
	global_store_dwordx2 v[54:55], v[52:53], off
	v_lshlrev_b64 v[52:53], 3, v[0:1]
	v_add_u32_e32 v0, s1, v0
	v_add_co_u32_e32 v52, vcc, s0, v52
	v_addc_co_u32_e32 v53, vcc, v56, v53, vcc
	;; [unrolled: 9-line block ×8, first 2 shown]
	v_add_co_u32_e32 v6, vcc, s2, v44
	v_addc_co_u32_e32 v7, vcc, v57, v45, vcc
	global_load_dwordx2 v[40:41], v[20:21], off
	global_load_dwordx2 v[46:47], v[6:7], off
	s_waitcnt vmcnt(0)
	v_mul_f64 v[40:41], v[40:41], v[46:47]
	global_store_dwordx2 v[20:21], v[40:41], off
	v_lshlrev_b64 v[20:21], 3, v[0:1]
	v_add_u32_e32 v0, s1, v0
	v_add_co_u32_e32 v20, vcc, s0, v20
	v_addc_co_u32_e32 v21, vcc, v56, v21, vcc
	global_load_dwordx2 v[40:41], v[20:21], off
	global_load_dwordx2 v[44:45], v[34:35], off
	;; [unrolled: 1-line block ×5, first 2 shown]
	s_waitcnt vmcnt(3)
	v_mul_f64 v[40:41], v[40:41], v[44:45]
	s_waitcnt vmcnt(2)
	v_mul_f64 v[40:41], v[40:41], v[48:49]
	global_store_dwordx2 v[20:21], v[40:41], off
	v_lshlrev_b64 v[20:21], 3, v[0:1]
	v_add_u32_e32 v0, s1, v0
	v_add_co_u32_e32 v20, vcc, s0, v20
	v_addc_co_u32_e32 v21, vcc, v56, v21, vcc
	global_load_dwordx2 v[40:41], v[20:21], off
	s_waitcnt vmcnt(0)
	v_mul_f64 v[40:41], v[40:41], v[44:45]
	v_mul_f64 v[40:41], v[40:41], v[50:51]
	global_store_dwordx2 v[20:21], v[40:41], off
	v_lshlrev_b64 v[20:21], 3, v[0:1]
	v_add_u32_e32 v0, s3, v0
	v_add_co_u32_e32 v40, vcc, s0, v20
	v_addc_co_u32_e32 v41, vcc, v56, v21, vcc
	v_lshlrev_b64 v[20:21], 3, v[0:1]
	global_load_dwordx2 v[52:53], v[40:41], off
	v_add_co_u32_e32 v20, vcc, s2, v20
	v_addc_co_u32_e32 v21, vcc, v57, v21, vcc
	global_load_dwordx2 v[54:55], v[20:21], off
	s_mul_i32 s3, s1, 0xffffffd9
	s_waitcnt vmcnt(0)
	v_mul_f64 v[52:53], v[52:53], v[54:55]
	v_mul_f64 v[52:53], v[52:53], v[58:59]
	global_store_dwordx2 v[40:41], v[52:53], off
	v_mad_u64_u32 v[40:41], s[6:7], s1, 24, v[0:1]
	v_mov_b32_e32 v41, v1
	v_lshlrev_b64 v[52:53], 3, v[40:41]
	v_add_u32_e32 v0, s1, v40
	v_add_co_u32_e32 v52, vcc, s0, v52
	v_addc_co_u32_e32 v53, vcc, v56, v53, vcc
	global_load_dwordx2 v[60:61], v[52:53], off
	v_lshlrev_b64 v[40:41], 3, v[0:1]
	v_add_u32_e32 v0, s1, v0
	v_add_co_u32_e32 v40, vcc, s0, v40
	v_addc_co_u32_e32 v41, vcc, v56, v41, vcc
	s_waitcnt vmcnt(0)
	v_mul_f64 v[60:61], v[60:61], v[58:59]
	global_store_dwordx2 v[52:53], v[60:61], off
	global_load_dwordx2 v[52:53], v[40:41], off
	s_waitcnt vmcnt(0)
	v_mul_f64 v[52:53], v[52:53], v[58:59]
	global_store_dwordx2 v[40:41], v[52:53], off
	v_lshlrev_b64 v[40:41], 3, v[0:1]
	v_add_u32_e32 v0, s1, v0
	v_add_co_u32_e32 v40, vcc, s0, v40
	v_addc_co_u32_e32 v41, vcc, v56, v41, vcc
	global_load_dwordx2 v[52:53], v[40:41], off
	s_waitcnt vmcnt(0)
	v_mul_f64 v[52:53], v[52:53], v[46:47]
	v_mul_f64 v[52:53], v[52:53], v[58:59]
	global_store_dwordx2 v[40:41], v[52:53], off
	v_lshlrev_b64 v[40:41], 3, v[0:1]
	v_add_u32_e32 v0, s1, v0
	v_add_co_u32_e32 v40, vcc, s0, v40
	v_addc_co_u32_e32 v41, vcc, v56, v41, vcc
	global_load_dwordx2 v[52:53], v[40:41], off
	s_waitcnt vmcnt(0)
	v_mul_f64 v[48:49], v[52:53], v[48:49]
	global_store_dwordx2 v[40:41], v[48:49], off
	v_lshlrev_b64 v[40:41], 3, v[0:1]
	v_add_u32_e32 v0, s1, v0
	v_add_co_u32_e32 v48, vcc, s0, v40
	v_addc_co_u32_e32 v49, vcc, v56, v41, vcc
	v_add_co_u32_e32 v40, vcc, s2, v4
	v_addc_co_u32_e32 v41, vcc, v57, v5, vcc
	global_load_dwordx2 v[52:53], v[48:49], off
	global_load_dwordx2 v[4:5], v[40:41], off
	s_waitcnt vmcnt(0)
	v_mul_f64 v[4:5], v[52:53], v[4:5]
	global_store_dwordx2 v[48:49], v[4:5], off
	v_lshlrev_b64 v[4:5], 3, v[0:1]
	v_add_u32_e32 v0, s1, v0
	v_add_co_u32_e32 v4, vcc, s0, v4
	v_addc_co_u32_e32 v5, vcc, v56, v5, vcc
	global_load_dwordx2 v[48:49], v[4:5], off
	s_waitcnt vmcnt(0)
	v_mul_f64 v[48:49], v[48:49], v[54:55]
	global_store_dwordx2 v[4:5], v[48:49], off
	v_lshlrev_b64 v[4:5], 3, v[0:1]
	v_add_u32_e32 v0, s1, v0
	v_add_co_u32_e32 v4, vcc, s0, v4
	v_addc_co_u32_e32 v5, vcc, v56, v5, vcc
	global_load_dwordx2 v[48:49], v[4:5], off
	s_waitcnt vmcnt(0)
	v_mul_f64 v[46:47], v[48:49], v[46:47]
	global_load_dwordx2 v[48:49], v[14:15], off
	s_nop 0
	global_store_dwordx2 v[4:5], v[46:47], off
	v_lshlrev_b64 v[4:5], 3, v[0:1]
	v_add_u32_e32 v0, s1, v0
	v_add_co_u32_e32 v4, vcc, s0, v4
	v_addc_co_u32_e32 v5, vcc, v56, v5, vcc
	global_load_dwordx2 v[46:47], v[4:5], off
	s_waitcnt vmcnt(0)
	v_mul_f64 v[46:47], v[46:47], v[54:55]
	v_mul_f64 v[46:47], v[46:47], v[48:49]
	global_load_dwordx2 v[48:49], v[16:17], off
	s_nop 0
	global_store_dwordx2 v[4:5], v[46:47], off
	v_lshlrev_b64 v[4:5], 3, v[0:1]
	v_add_u32_e32 v0, s1, v0
	v_add_co_u32_e32 v4, vcc, s0, v4
	v_addc_co_u32_e32 v5, vcc, v56, v5, vcc
	global_load_dwordx2 v[46:47], v[4:5], off
	s_waitcnt vmcnt(0)
	v_mul_f64 v[46:47], v[46:47], v[54:55]
	;; [unrolled: 11-line block ×3, first 2 shown]
	v_mul_f64 v[46:47], v[46:47], v[58:59]
	global_store_dwordx2 v[4:5], v[46:47], off
	v_lshlrev_b64 v[4:5], 3, v[0:1]
	v_add_u32_e32 v0, s4, v0
	v_add_co_u32_e32 v4, vcc, s0, v4
	v_addc_co_u32_e32 v5, vcc, v56, v5, vcc
	global_load_dwordx2 v[46:47], v[4:5], off
	s_waitcnt vmcnt(0)
	v_mul_f64 v[46:47], v[46:47], v[54:55]
	v_mul_f64 v[46:47], v[46:47], v[48:49]
	global_store_dwordx2 v[4:5], v[46:47], off
	v_lshlrev_b64 v[4:5], 3, v[0:1]
	v_add_u32_e32 v0, s1, v0
	v_add_co_u32_e32 v4, vcc, s0, v4
	v_addc_co_u32_e32 v5, vcc, v56, v5, vcc
	global_load_dwordx2 v[46:47], v[4:5], off
	s_waitcnt vmcnt(0)
	v_mul_f64 v[46:47], v[46:47], v[54:55]
	v_mul_f64 v[46:47], v[46:47], v[50:51]
	global_store_dwordx2 v[4:5], v[46:47], off
	v_lshlrev_b64 v[4:5], 3, v[0:1]
	v_add_u32_e32 v0, s3, v0
	v_add_co_u32_e32 v46, vcc, s0, v4
	v_addc_co_u32_e32 v47, vcc, v56, v5, vcc
	v_lshlrev_b64 v[4:5], 3, v[0:1]
	global_load_dwordx2 v[50:51], v[46:47], off
	v_add_co_u32_e32 v4, vcc, s2, v4
	v_addc_co_u32_e32 v5, vcc, v57, v5, vcc
	global_load_dwordx2 v[52:53], v[4:5], off
	s_mul_i32 s3, s1, 0xffffffbc
	s_waitcnt vmcnt(0)
	v_mul_f64 v[50:51], v[50:51], v[52:53]
	global_store_dwordx2 v[46:47], v[50:51], off
	v_mad_u64_u32 v[50:51], s[6:7], s1, 40, v[0:1]
	v_mov_b32_e32 v51, v1
	v_lshlrev_b64 v[46:47], 3, v[50:51]
	v_add_u32_e32 v0, s1, v50
	v_add_co_u32_e32 v54, vcc, s0, v46
	v_addc_co_u32_e32 v55, vcc, v56, v47, vcc
	global_load_dwordx2 v[58:59], v[54:55], off
	global_load_dwordx2 v[46:47], v[12:13], off
	s_waitcnt vmcnt(0)
	v_mul_f64 v[58:59], v[58:59], v[46:47]
	v_mul_f64 v[51:52], v[58:59], v[52:53]
	global_store_dwordx2 v[54:55], v[51:52], off
	v_lshlrev_b64 v[50:51], 3, v[0:1]
	v_add_u32_e32 v0, s1, v0
	v_add_co_u32_e32 v50, vcc, s0, v50
	v_addc_co_u32_e32 v51, vcc, v56, v51, vcc
	global_load_dwordx2 v[52:53], v[50:51], off
	s_waitcnt vmcnt(0)
	v_mul_f64 v[52:53], v[52:53], v[46:47]
	global_store_dwordx2 v[50:51], v[52:53], off
	v_lshlrev_b64 v[50:51], 3, v[0:1]
	v_add_u32_e32 v0, s1, v0
	v_add_co_u32_e32 v50, vcc, s0, v50
	v_addc_co_u32_e32 v51, vcc, v56, v51, vcc
	global_load_dwordx2 v[52:53], v[50:51], off
	global_load_dwordx2 v[54:55], v[10:11], off
	s_waitcnt vmcnt(0)
	v_mul_f64 v[52:53], v[52:53], v[54:55]
	global_store_dwordx2 v[50:51], v[52:53], off
	v_lshlrev_b64 v[50:51], 3, v[0:1]
	v_add_u32_e32 v0, s1, v0
	v_add_co_u32_e32 v50, vcc, s0, v50
	v_addc_co_u32_e32 v51, vcc, v56, v51, vcc
	global_load_dwordx2 v[52:53], v[50:51], off
	s_waitcnt vmcnt(0)
	v_mul_f64 v[44:45], v[52:53], v[44:45]
	v_mul_f64 v[44:45], v[44:45], v[46:47]
	;; [unrolled: 1-line block ×3, first 2 shown]
	global_store_dwordx2 v[50:51], v[44:45], off
	v_lshlrev_b64 v[44:45], 3, v[0:1]
	v_add_u32_e32 v0, s1, v0
	v_add_co_u32_e32 v44, vcc, s0, v44
	v_addc_co_u32_e32 v45, vcc, v56, v45, vcc
	global_load_dwordx2 v[50:51], v[44:45], off
	global_load_dwordx2 v[52:53], v[6:7], off
	s_waitcnt vmcnt(0)
	v_mul_f64 v[50:51], v[50:51], v[52:53]
	v_mul_f64 v[50:51], v[50:51], v[46:47]
	global_store_dwordx2 v[44:45], v[50:51], off
	v_lshlrev_b64 v[44:45], 3, v[0:1]
	v_add_u32_e32 v0, s1, v0
	v_add_co_u32_e32 v44, vcc, s0, v44
	v_addc_co_u32_e32 v45, vcc, v56, v45, vcc
	global_load_dwordx2 v[50:51], v[44:45], off
	s_waitcnt vmcnt(0)
	v_mul_f64 v[48:49], v[50:51], v[48:49]
	global_store_dwordx2 v[44:45], v[48:49], off
	v_lshlrev_b64 v[44:45], 3, v[0:1]
	v_add_u32_e32 v0, s1, v0
	v_add_co_u32_e32 v44, vcc, s0, v44
	v_addc_co_u32_e32 v45, vcc, v56, v45, vcc
	global_load_dwordx2 v[48:49], v[44:45], off
	s_waitcnt vmcnt(0)
	v_mul_f64 v[48:49], v[48:49], v[52:53]
	v_mul_f64 v[48:49], v[48:49], v[54:55]
	global_store_dwordx2 v[44:45], v[48:49], off
	v_lshlrev_b64 v[44:45], 3, v[0:1]
	v_add_u32_e32 v0, s1, v0
	v_add_co_u32_e32 v44, vcc, s0, v44
	v_addc_co_u32_e32 v45, vcc, v56, v45, vcc
	v_add_co_u32_e32 v22, vcc, s2, v22
	v_addc_co_u32_e32 v23, vcc, v57, v23, vcc
	global_load_dwordx2 v[48:49], v[44:45], off
	global_load_dwordx2 v[50:51], v[22:23], off
	s_waitcnt vmcnt(0)
	v_mul_f64 v[48:49], v[48:49], v[50:51]
	global_store_dwordx2 v[44:45], v[48:49], off
	v_lshlrev_b64 v[44:45], 3, v[0:1]
	v_add_u32_e32 v0, s1, v0
	v_add_co_u32_e32 v44, vcc, s0, v44
	v_addc_co_u32_e32 v45, vcc, v56, v45, vcc
	v_add_co_u32_e32 v42, vcc, s2, v42
	v_addc_co_u32_e32 v43, vcc, v57, v43, vcc
	global_load_dwordx2 v[48:49], v[44:45], off
	global_load_dwordx2 v[50:51], v[42:43], off
	s_waitcnt vmcnt(0)
	v_mul_f64 v[48:49], v[48:49], v[50:51]
	v_mul_f64 v[48:49], v[48:49], v[46:47]
	global_store_dwordx2 v[44:45], v[48:49], off
	v_lshlrev_b64 v[44:45], 3, v[0:1]
	v_add_u32_e32 v0, s1, v0
	v_add_co_u32_e32 v44, vcc, s0, v44
	v_addc_co_u32_e32 v45, vcc, v56, v45, vcc
	global_load_dwordx2 v[48:49], v[44:45], off
	s_waitcnt vmcnt(0)
	v_mul_f64 v[48:49], v[48:49], v[50:51]
	global_load_dwordx2 v[50:51], v[14:15], off
	s_waitcnt vmcnt(0)
	v_mul_f64 v[48:49], v[48:49], v[50:51]
	global_store_dwordx2 v[44:45], v[48:49], off
	v_lshlrev_b64 v[44:45], 3, v[0:1]
	v_add_u32_e32 v0, s1, v0
	v_add_co_u32_e32 v44, vcc, s0, v44
	v_addc_co_u32_e32 v45, vcc, v56, v45, vcc
	global_load_dwordx2 v[48:49], v[44:45], off
	s_nop 0
	global_load_dwordx2 v[24:25], v[24:25], off
	s_waitcnt vmcnt(0)
	v_mul_f64 v[24:25], v[48:49], v[24:25]
	global_store_dwordx2 v[44:45], v[24:25], off
	v_lshlrev_b64 v[24:25], 3, v[0:1]
	v_add_u32_e32 v0, s1, v0
	v_add_co_u32_e32 v24, vcc, s0, v24
	v_addc_co_u32_e32 v25, vcc, v56, v25, vcc
	global_load_dwordx2 v[44:45], v[24:25], off
	s_waitcnt vmcnt(0)
	v_mul_f64 v[44:45], v[44:45], v[50:51]
	global_store_dwordx2 v[24:25], v[44:45], off
	v_lshlrev_b64 v[24:25], 3, v[0:1]
	v_add_u32_e32 v0, s1, v0
	v_add_co_u32_e32 v24, vcc, s0, v24
	v_addc_co_u32_e32 v25, vcc, v56, v25, vcc
	global_load_dwordx2 v[44:45], v[24:25], off
	global_load_dwordx2 v[48:49], v[20:21], off
	s_waitcnt vmcnt(0)
	v_mul_f64 v[44:45], v[44:45], v[48:49]
	v_mul_f64 v[44:45], v[44:45], v[50:51]
	global_store_dwordx2 v[24:25], v[44:45], off
	v_lshlrev_b64 v[24:25], 3, v[0:1]
	v_add_u32_e32 v0, s1, v0
	v_add_co_u32_e32 v24, vcc, s0, v24
	v_addc_co_u32_e32 v25, vcc, v56, v25, vcc
	global_load_dwordx2 v[44:45], v[24:25], off
	s_waitcnt vmcnt(0)
	v_mul_f64 v[44:45], v[44:45], v[46:47]
	global_store_dwordx2 v[24:25], v[44:45], off
	v_lshlrev_b64 v[24:25], 3, v[0:1]
	v_add_u32_e32 v0, s1, v0
	v_add_co_u32_e32 v24, vcc, s0, v24
	v_addc_co_u32_e32 v25, vcc, v56, v25, vcc
	global_load_dwordx2 v[44:45], v[24:25], off
	s_waitcnt vmcnt(0)
	v_mul_f64 v[44:45], v[44:45], v[52:53]
	v_mul_f64 v[44:45], v[44:45], v[46:47]
	global_store_dwordx2 v[24:25], v[44:45], off
	v_lshlrev_b64 v[24:25], 3, v[0:1]
	v_add_u32_e32 v0, s1, v0
	v_add_co_u32_e32 v24, vcc, s0, v24
	v_addc_co_u32_e32 v25, vcc, v56, v25, vcc
	global_load_dwordx2 v[44:45], v[24:25], off
	global_load_dwordx2 v[52:53], v[4:5], off
	s_waitcnt vmcnt(0)
	v_mul_f64 v[44:45], v[44:45], v[52:53]
	global_load_dwordx2 v[52:53], v[16:17], off
	v_mul_f64 v[44:45], v[44:45], v[46:47]
	global_store_dwordx2 v[24:25], v[44:45], off
	v_lshlrev_b64 v[24:25], 3, v[0:1]
	v_add_u32_e32 v0, s1, v0
	v_add_co_u32_e32 v24, vcc, s0, v24
	v_addc_co_u32_e32 v25, vcc, v56, v25, vcc
	global_load_dwordx2 v[44:45], v[24:25], off
	s_waitcnt vmcnt(0)
	v_mul_f64 v[44:45], v[44:45], v[46:47]
	global_load_dwordx2 v[46:47], v[10:11], off
	s_waitcnt vmcnt(0)
	v_mul_f64 v[44:45], v[44:45], v[46:47]
	v_mul_f64 v[44:45], v[44:45], v[48:49]
	global_store_dwordx2 v[24:25], v[44:45], off
	v_lshlrev_b64 v[24:25], 3, v[0:1]
	v_add_u32_e32 v0, s1, v0
	v_add_co_u32_e32 v24, vcc, s0, v24
	v_addc_co_u32_e32 v25, vcc, v56, v25, vcc
	global_load_dwordx2 v[44:45], v[24:25], off
	s_waitcnt vmcnt(0)
	v_mul_f64 v[44:45], v[44:45], v[48:49]
	v_mul_f64 v[44:45], v[44:45], v[52:53]
	global_store_dwordx2 v[24:25], v[44:45], off
	v_lshlrev_b64 v[24:25], 3, v[0:1]
	v_add_u32_e32 v0, s1, v0
	v_add_co_u32_e32 v24, vcc, s0, v24
	v_addc_co_u32_e32 v25, vcc, v56, v25, vcc
	global_load_dwordx2 v[44:45], v[24:25], off
	s_waitcnt vmcnt(0)
	v_mul_f64 v[44:45], v[44:45], v[52:53]
	global_store_dwordx2 v[24:25], v[44:45], off
	v_lshlrev_b64 v[24:25], 3, v[0:1]
	v_add_u32_e32 v0, s1, v0
	v_add_co_u32_e32 v24, vcc, s0, v24
	v_addc_co_u32_e32 v25, vcc, v56, v25, vcc
	global_load_dwordx2 v[44:45], v[24:25], off
	s_waitcnt vmcnt(0)
	v_mul_f64 v[44:45], v[44:45], v[48:49]
	global_store_dwordx2 v[24:25], v[44:45], off
	v_lshlrev_b64 v[24:25], 3, v[0:1]
	v_add_u32_e32 v0, s1, v0
	v_add_co_u32_e32 v24, vcc, s0, v24
	v_addc_co_u32_e32 v25, vcc, v56, v25, vcc
	global_load_dwordx2 v[44:45], v[24:25], off
	global_load_dwordx2 v[54:55], v[34:35], off
	s_waitcnt vmcnt(0)
	v_mul_f64 v[44:45], v[44:45], v[54:55]
	global_store_dwordx2 v[24:25], v[44:45], off
	v_lshlrev_b64 v[24:25], 3, v[0:1]
	v_add_u32_e32 v0, s4, v0
	v_add_co_u32_e32 v24, vcc, s0, v24
	v_addc_co_u32_e32 v25, vcc, v56, v25, vcc
	global_load_dwordx2 v[54:55], v[24:25], off
	global_load_dwordx2 v[44:45], v[6:7], off
	s_waitcnt vmcnt(0)
	v_mul_f64 v[54:55], v[54:55], v[44:45]
	v_mul_f64 v[48:49], v[54:55], v[48:49]
	global_store_dwordx2 v[24:25], v[48:49], off
	v_lshlrev_b64 v[24:25], 3, v[0:1]
	v_add_u32_e32 v0, s1, v0
	v_add_co_u32_e32 v24, vcc, s0, v24
	v_addc_co_u32_e32 v25, vcc, v56, v25, vcc
	global_load_dwordx2 v[48:49], v[24:25], off
	s_waitcnt vmcnt(0)
	v_mul_f64 v[48:49], v[48:49], v[50:51]
	global_store_dwordx2 v[24:25], v[48:49], off
	v_lshlrev_b64 v[24:25], 3, v[0:1]
	v_add_u32_e32 v0, s1, v0
	v_add_co_u32_e32 v24, vcc, s0, v24
	v_addc_co_u32_e32 v25, vcc, v56, v25, vcc
	global_load_dwordx2 v[48:49], v[24:25], off
	s_waitcnt vmcnt(0)
	v_mul_f64 v[46:47], v[48:49], v[46:47]
	global_store_dwordx2 v[24:25], v[46:47], off
	v_lshlrev_b64 v[24:25], 3, v[0:1]
	v_add_u32_e32 v0, s1, v0
	v_add_co_u32_e32 v24, vcc, s0, v24
	v_addc_co_u32_e32 v25, vcc, v56, v25, vcc
	global_load_dwordx2 v[46:47], v[24:25], off
	s_waitcnt vmcnt(0)
	v_mul_f64 v[46:47], v[46:47], v[52:53]
	global_store_dwordx2 v[24:25], v[46:47], off
	v_lshlrev_b64 v[24:25], 3, v[0:1]
	v_add_u32_e32 v0, s1, v0
	v_add_co_u32_e32 v24, vcc, s0, v24
	v_addc_co_u32_e32 v25, vcc, v56, v25, vcc
	global_load_dwordx2 v[46:47], v[24:25], off
	global_load_dwordx2 v[48:49], v[2:3], off
	s_waitcnt vmcnt(0)
	v_mul_f64 v[46:47], v[46:47], v[48:49]
	global_store_dwordx2 v[24:25], v[46:47], off
	v_lshlrev_b64 v[24:25], 3, v[0:1]
	v_add_u32_e32 v0, s1, v0
	v_add_co_u32_e32 v24, vcc, s0, v24
	v_addc_co_u32_e32 v25, vcc, v56, v25, vcc
	global_load_dwordx2 v[46:47], v[24:25], off
	global_load_dwordx2 v[50:51], v[8:9], off
	s_waitcnt vmcnt(0)
	;; [unrolled: 9-line block ×3, first 2 shown]
	v_mul_f64 v[46:47], v[46:47], v[50:51]
	global_load_dwordx2 v[50:51], v[12:13], off
	s_waitcnt vmcnt(0)
	v_mul_f64 v[46:47], v[46:47], v[50:51]
	global_store_dwordx2 v[24:25], v[46:47], off
	v_lshlrev_b64 v[24:25], 3, v[0:1]
	v_add_u32_e32 v0, s3, v0
	v_add_co_u32_e32 v54, vcc, s0, v24
	v_addc_co_u32_e32 v55, vcc, v56, v25, vcc
	v_lshlrev_b64 v[24:25], 3, v[0:1]
	global_load_dwordx2 v[58:59], v[54:55], off
	v_add_co_u32_e32 v24, vcc, s2, v24
	v_addc_co_u32_e32 v25, vcc, v57, v25, vcc
	global_load_dwordx2 v[46:47], v[24:25], off
	s_mul_i32 s3, s1, 0x45
	v_add_u32_e32 v0, s3, v0
	s_waitcnt vmcnt(0)
	v_mul_f64 v[58:59], v[58:59], v[46:47]
	global_store_dwordx2 v[54:55], v[58:59], off
	v_lshlrev_b64 v[54:55], 3, v[0:1]
	v_add_u32_e32 v0, s1, v0
	v_add_co_u32_e32 v54, vcc, s0, v54
	v_addc_co_u32_e32 v55, vcc, v56, v55, vcc
	global_load_dwordx2 v[58:59], v[54:55], off
	s_waitcnt vmcnt(0)
	v_mul_f64 v[58:59], v[58:59], v[44:45]
	v_mul_f64 v[58:59], v[58:59], v[50:51]
	global_store_dwordx2 v[54:55], v[58:59], off
	v_lshlrev_b64 v[54:55], 3, v[0:1]
	v_add_u32_e32 v0, s1, v0
	v_add_co_u32_e32 v54, vcc, s0, v54
	v_addc_co_u32_e32 v55, vcc, v56, v55, vcc
	global_load_dwordx2 v[58:59], v[54:55], off
	s_waitcnt vmcnt(0)
	v_mul_f64 v[58:59], v[58:59], v[52:53]
	global_store_dwordx2 v[54:55], v[58:59], off
	v_lshlrev_b64 v[54:55], 3, v[0:1]
	v_add_u32_e32 v0, s1, v0
	v_add_co_u32_e32 v54, vcc, s0, v54
	v_addc_co_u32_e32 v55, vcc, v56, v55, vcc
	global_load_dwordx2 v[58:59], v[54:55], off
	s_waitcnt vmcnt(0)
	v_mul_f64 v[52:53], v[58:59], v[52:53]
	global_store_dwordx2 v[54:55], v[52:53], off
	v_lshlrev_b64 v[52:53], 3, v[0:1]
	v_add_u32_e32 v0, s1, v0
	v_add_co_u32_e32 v52, vcc, s0, v52
	v_addc_co_u32_e32 v53, vcc, v56, v53, vcc
	global_load_dwordx2 v[54:55], v[52:53], off
	global_load_dwordx2 v[58:59], v[26:27], off
	s_waitcnt vmcnt(0)
	v_mul_f64 v[54:55], v[54:55], v[58:59]
	global_store_dwordx2 v[52:53], v[54:55], off
	v_lshlrev_b64 v[52:53], 3, v[0:1]
	v_add_u32_e32 v0, s1, v0
	v_add_co_u32_e32 v52, vcc, s0, v52
	v_addc_co_u32_e32 v53, vcc, v56, v53, vcc
	global_load_dwordx2 v[54:55], v[52:53], off
	global_load_dwordx2 v[58:59], v[10:11], off
	s_waitcnt vmcnt(0)
	v_mul_f64 v[54:55], v[54:55], v[58:59]
	v_mul_f64 v[44:45], v[54:55], v[44:45]
	global_load_dwordx2 v[54:55], v[18:19], off
	s_nop 0
	global_store_dwordx2 v[52:53], v[44:45], off
	v_lshlrev_b64 v[44:45], 3, v[0:1]
	v_add_u32_e32 v0, s1, v0
	v_add_co_u32_e32 v44, vcc, s0, v44
	v_addc_co_u32_e32 v45, vcc, v56, v45, vcc
	global_load_dwordx2 v[52:53], v[44:45], off
	s_waitcnt vmcnt(0)
	v_mul_f64 v[52:53], v[52:53], v[46:47]
	v_mul_f64 v[52:53], v[52:53], v[54:55]
	global_store_dwordx2 v[44:45], v[52:53], off
	v_lshlrev_b64 v[44:45], 3, v[0:1]
	v_add_u32_e32 v0, s1, v0
	v_add_co_u32_e32 v44, vcc, s0, v44
	v_addc_co_u32_e32 v45, vcc, v56, v45, vcc
	global_load_dwordx2 v[52:53], v[44:45], off
	s_waitcnt vmcnt(0)
	v_mul_f64 v[52:53], v[52:53], v[58:59]
	global_store_dwordx2 v[44:45], v[52:53], off
	v_lshlrev_b64 v[44:45], 3, v[0:1]
	v_add_u32_e32 v0, s1, v0
	v_add_co_u32_e32 v44, vcc, s0, v44
	v_addc_co_u32_e32 v45, vcc, v56, v45, vcc
	global_load_dwordx2 v[52:53], v[44:45], off
	s_waitcnt vmcnt(0)
	v_mul_f64 v[52:53], v[52:53], v[46:47]
	v_mul_f64 v[48:49], v[52:53], v[48:49]
	global_store_dwordx2 v[44:45], v[48:49], off
	v_lshlrev_b64 v[44:45], 3, v[0:1]
	v_add_u32_e32 v0, s1, v0
	v_add_co_u32_e32 v44, vcc, s0, v44
	v_addc_co_u32_e32 v45, vcc, v56, v45, vcc
	global_load_dwordx2 v[48:49], v[44:45], off
	s_waitcnt vmcnt(0)
	v_mul_f64 v[48:49], v[48:49], v[50:51]
	global_load_dwordx2 v[50:51], v[20:21], off
	s_nop 0
	global_store_dwordx2 v[44:45], v[48:49], off
	v_lshlrev_b64 v[44:45], 3, v[0:1]
	v_add_u32_e32 v0, s1, v0
	v_add_co_u32_e32 v44, vcc, s0, v44
	v_addc_co_u32_e32 v45, vcc, v56, v45, vcc
	global_load_dwordx2 v[48:49], v[44:45], off
	s_waitcnt vmcnt(0)
	v_mul_f64 v[48:49], v[48:49], v[46:47]
	v_mul_f64 v[48:49], v[48:49], v[50:51]
	global_store_dwordx2 v[44:45], v[48:49], off
	v_lshlrev_b64 v[44:45], 3, v[0:1]
	v_add_u32_e32 v0, s1, v0
	v_add_co_u32_e32 v44, vcc, s0, v44
	v_addc_co_u32_e32 v45, vcc, v56, v45, vcc
	v_add_co_u32_e32 v38, vcc, s2, v38
	v_addc_co_u32_e32 v39, vcc, v57, v39, vcc
	global_load_dwordx2 v[48:49], v[44:45], off
	global_load_dwordx2 v[52:53], v[38:39], off
	s_waitcnt vmcnt(0)
	v_mul_f64 v[48:49], v[48:49], v[52:53]
	global_load_dwordx2 v[52:53], v[12:13], off
	s_nop 0
	global_store_dwordx2 v[44:45], v[48:49], off
	v_lshlrev_b64 v[44:45], 3, v[0:1]
	v_add_u32_e32 v0, s1, v0
	v_add_co_u32_e32 v44, vcc, s0, v44
	v_addc_co_u32_e32 v45, vcc, v56, v45, vcc
	global_load_dwordx2 v[48:49], v[44:45], off
	s_waitcnt vmcnt(0)
	v_mul_f64 v[46:47], v[48:49], v[46:47]
	global_store_dwordx2 v[44:45], v[46:47], off
	v_lshlrev_b64 v[44:45], 3, v[0:1]
	v_add_u32_e32 v0, s1, v0
	v_add_co_u32_e32 v44, vcc, s0, v44
	v_addc_co_u32_e32 v45, vcc, v56, v45, vcc
	v_add_co_u32_e32 v32, vcc, s2, v32
	v_addc_co_u32_e32 v33, vcc, v57, v33, vcc
	global_load_dwordx2 v[46:47], v[44:45], off
	global_load_dwordx2 v[48:49], v[32:33], off
	s_waitcnt vmcnt(0)
	v_mul_f64 v[46:47], v[46:47], v[48:49]
	v_mul_f64 v[46:47], v[46:47], v[52:53]
	global_store_dwordx2 v[44:45], v[46:47], off
	v_lshlrev_b64 v[44:45], 3, v[0:1]
	v_add_u32_e32 v0, s1, v0
	v_add_co_u32_e32 v44, vcc, s0, v44
	v_addc_co_u32_e32 v45, vcc, v56, v45, vcc
	global_load_dwordx2 v[46:47], v[44:45], off
	s_waitcnt vmcnt(0)
	v_mul_f64 v[46:47], v[46:47], v[48:49]
	v_mul_f64 v[46:47], v[46:47], v[52:53]
	global_store_dwordx2 v[44:45], v[46:47], off
	v_lshlrev_b64 v[44:45], 3, v[0:1]
	v_add_u32_e32 v0, s1, v0
	v_add_co_u32_e32 v44, vcc, s0, v44
	v_addc_co_u32_e32 v45, vcc, v56, v45, vcc
	v_add_co_u32_e32 v36, vcc, s2, v36
	v_addc_co_u32_e32 v37, vcc, v57, v37, vcc
	global_load_dwordx2 v[46:47], v[44:45], off
	global_load_dwordx2 v[54:55], v[36:37], off
	s_waitcnt vmcnt(0)
	v_mul_f64 v[46:47], v[46:47], v[54:55]
	global_store_dwordx2 v[44:45], v[46:47], off
	v_lshlrev_b64 v[44:45], 3, v[0:1]
	v_add_u32_e32 v0, s1, v0
	v_add_co_u32_e32 v44, vcc, s0, v44
	v_addc_co_u32_e32 v45, vcc, v56, v45, vcc
	global_load_dwordx2 v[46:47], v[44:45], off
	s_waitcnt vmcnt(0)
	v_mul_f64 v[46:47], v[46:47], v[52:53]
	global_store_dwordx2 v[44:45], v[46:47], off
	v_lshlrev_b64 v[44:45], 3, v[0:1]
	v_add_u32_e32 v0, s1, v0
	v_add_co_u32_e32 v44, vcc, s0, v44
	v_addc_co_u32_e32 v45, vcc, v56, v45, vcc
	global_load_dwordx2 v[46:47], v[44:45], off
	s_waitcnt vmcnt(0)
	v_mul_f64 v[46:47], v[46:47], v[48:49]
	v_mul_f64 v[46:47], v[46:47], v[50:51]
	global_store_dwordx2 v[44:45], v[46:47], off
	v_lshlrev_b64 v[44:45], 3, v[0:1]
	v_add_u32_e32 v0, s1, v0
	v_add_co_u32_e32 v44, vcc, s0, v44
	v_addc_co_u32_e32 v45, vcc, v56, v45, vcc
	global_load_dwordx2 v[46:47], v[44:45], off
	global_load_dwordx2 v[48:49], v[6:7], off
	;; [unrolled: 1-line block ×3, first 2 shown]
	s_waitcnt vmcnt(1)
	v_mul_f64 v[46:47], v[46:47], v[48:49]
	s_waitcnt vmcnt(0)
	v_mul_f64 v[46:47], v[46:47], v[50:51]
	global_store_dwordx2 v[44:45], v[46:47], off
	v_lshlrev_b64 v[44:45], 3, v[0:1]
	v_add_u32_e32 v0, s1, v0
	v_add_co_u32_e32 v44, vcc, s0, v44
	v_addc_co_u32_e32 v45, vcc, v56, v45, vcc
	global_load_dwordx2 v[46:47], v[44:45], off
	global_load_dwordx2 v[52:53], v[4:5], off
	;; [unrolled: 1-line block ×3, first 2 shown]
	s_waitcnt vmcnt(1)
	v_mul_f64 v[46:47], v[46:47], v[52:53]
	s_waitcnt vmcnt(0)
	v_mul_f64 v[46:47], v[46:47], v[54:55]
	global_store_dwordx2 v[44:45], v[46:47], off
	v_lshlrev_b64 v[44:45], 3, v[0:1]
	v_add_u32_e32 v0, s1, v0
	v_add_co_u32_e32 v44, vcc, s0, v44
	v_addc_co_u32_e32 v45, vcc, v56, v45, vcc
	global_load_dwordx2 v[46:47], v[44:45], off
	global_load_dwordx2 v[58:59], v[16:17], off
	s_waitcnt vmcnt(0)
	v_mul_f64 v[46:47], v[46:47], v[58:59]
	global_store_dwordx2 v[44:45], v[46:47], off
	v_lshlrev_b64 v[44:45], 3, v[0:1]
	v_add_u32_e32 v0, s1, v0
	v_add_co_u32_e32 v44, vcc, s0, v44
	v_addc_co_u32_e32 v45, vcc, v56, v45, vcc
	global_load_dwordx2 v[46:47], v[44:45], off
	s_waitcnt vmcnt(0)
	v_mul_f64 v[46:47], v[46:47], v[48:49]
	v_mul_f64 v[46:47], v[46:47], v[54:55]
	global_store_dwordx2 v[44:45], v[46:47], off
	v_lshlrev_b64 v[44:45], 3, v[0:1]
	v_add_u32_e32 v0, s1, v0
	v_add_co_u32_e32 v44, vcc, s0, v44
	v_addc_co_u32_e32 v45, vcc, v56, v45, vcc
	global_load_dwordx2 v[46:47], v[44:45], off
	s_waitcnt vmcnt(0)
	v_mul_f64 v[46:47], v[46:47], v[48:49]
	;; [unrolled: 9-line block ×3, first 2 shown]
	global_load_dwordx2 v[48:49], v[2:3], off
	s_waitcnt vmcnt(0)
	v_mul_f64 v[46:47], v[46:47], v[48:49]
	global_store_dwordx2 v[44:45], v[46:47], off
	v_lshlrev_b64 v[44:45], 3, v[0:1]
	v_add_u32_e32 v0, s1, v0
	v_add_co_u32_e32 v44, vcc, s0, v44
	v_addc_co_u32_e32 v45, vcc, v56, v45, vcc
	global_load_dwordx2 v[46:47], v[44:45], off
	s_waitcnt vmcnt(0)
	v_mul_f64 v[46:47], v[46:47], v[52:53]
	v_mul_f64 v[46:47], v[46:47], v[50:51]
	global_store_dwordx2 v[44:45], v[46:47], off
	v_lshlrev_b64 v[44:45], 3, v[0:1]
	v_add_u32_e32 v0, s1, v0
	v_add_co_u32_e32 v44, vcc, s0, v44
	v_addc_co_u32_e32 v45, vcc, v56, v45, vcc
	global_load_dwordx2 v[46:47], v[44:45], off
	s_waitcnt vmcnt(0)
	v_mul_f64 v[46:47], v[46:47], v[52:53]
	;; [unrolled: 9-line block ×3, first 2 shown]
	v_mul_f64 v[46:47], v[46:47], v[58:59]
	global_store_dwordx2 v[44:45], v[46:47], off
	v_lshlrev_b64 v[44:45], 3, v[0:1]
	v_add_u32_e32 v0, s1, v0
	v_add_co_u32_e32 v44, vcc, s0, v44
	v_addc_co_u32_e32 v45, vcc, v56, v45, vcc
	global_load_dwordx2 v[46:47], v[44:45], off
	global_load_dwordx2 v[48:49], v[32:33], off
	s_waitcnt vmcnt(0)
	v_mul_f64 v[48:49], v[46:47], v[48:49]
	global_load_dwordx2 v[46:47], v[12:13], off
	s_waitcnt vmcnt(0)
	v_mul_f64 v[48:49], v[48:49], v[46:47]
	global_store_dwordx2 v[44:45], v[48:49], off
	v_lshlrev_b64 v[44:45], 3, v[0:1]
	v_add_u32_e32 v0, s1, v0
	v_add_co_u32_e32 v44, vcc, s0, v44
	v_addc_co_u32_e32 v45, vcc, v56, v45, vcc
	global_load_dwordx2 v[48:49], v[44:45], off
	s_waitcnt vmcnt(0)
	v_mul_f64 v[48:49], v[48:49], v[52:53]
	v_mul_f64 v[48:49], v[52:53], v[48:49]
	global_store_dwordx2 v[44:45], v[48:49], off
	v_lshlrev_b64 v[44:45], 3, v[0:1]
	v_add_u32_e32 v0, s1, v0
	v_add_co_u32_e32 v44, vcc, s0, v44
	v_addc_co_u32_e32 v45, vcc, v56, v45, vcc
	global_load_dwordx2 v[48:49], v[44:45], off
	s_waitcnt vmcnt(0)
	v_mul_f64 v[48:49], v[48:49], v[52:53]
	v_mul_f64 v[48:49], v[52:53], v[48:49]
	global_store_dwordx2 v[44:45], v[48:49], off
	v_lshlrev_b64 v[44:45], 3, v[0:1]
	v_add_u32_e32 v0, s1, v0
	v_add_co_u32_e32 v48, vcc, s0, v44
	v_addc_co_u32_e32 v49, vcc, v56, v45, vcc
	global_load_dwordx2 v[50:51], v[48:49], off
	global_load_dwordx2 v[44:45], v[20:21], off
	s_waitcnt vmcnt(0)
	v_mul_f64 v[50:51], v[50:51], v[44:45]
	global_store_dwordx2 v[48:49], v[50:51], off
	v_lshlrev_b64 v[48:49], 3, v[0:1]
	v_add_u32_e32 v0, s1, v0
	v_add_co_u32_e32 v48, vcc, s0, v48
	v_addc_co_u32_e32 v49, vcc, v56, v49, vcc
	global_load_dwordx2 v[50:51], v[48:49], off
	s_waitcnt vmcnt(0)
	v_mul_f64 v[50:51], v[50:51], v[46:47]
	v_mul_f64 v[50:51], v[50:51], v[44:45]
	;; [unrolled: 1-line block ×3, first 2 shown]
	global_store_dwordx2 v[48:49], v[50:51], off
	v_lshlrev_b64 v[48:49], 3, v[0:1]
	v_add_u32_e32 v0, s1, v0
	v_add_co_u32_e32 v48, vcc, s0, v48
	v_addc_co_u32_e32 v49, vcc, v56, v49, vcc
	global_load_dwordx2 v[50:51], v[48:49], off
	s_waitcnt vmcnt(0)
	v_mul_f64 v[50:51], v[50:51], v[54:55]
	v_mul_f64 v[50:51], v[50:51], v[44:45]
	;; [unrolled: 1-line block ×3, first 2 shown]
	global_store_dwordx2 v[48:49], v[50:51], off
	v_lshlrev_b64 v[48:49], 3, v[0:1]
	v_add_u32_e32 v0, s1, v0
	v_add_co_u32_e32 v48, vcc, s0, v48
	v_addc_co_u32_e32 v49, vcc, v56, v49, vcc
	global_load_dwordx2 v[50:51], v[48:49], off
	global_load_dwordx2 v[52:53], v[42:43], off
	s_waitcnt vmcnt(0)
	v_mul_f64 v[50:51], v[50:51], v[52:53]
	v_mul_f64 v[50:51], v[50:51], v[44:45]
	global_store_dwordx2 v[48:49], v[50:51], off
	v_lshlrev_b64 v[48:49], 3, v[0:1]
	v_add_u32_e32 v0, s1, v0
	v_add_co_u32_e32 v48, vcc, s0, v48
	v_addc_co_u32_e32 v49, vcc, v56, v49, vcc
	global_load_dwordx2 v[50:51], v[48:49], off
	s_waitcnt vmcnt(0)
	v_mul_f64 v[50:51], v[50:51], v[44:45]
	global_store_dwordx2 v[48:49], v[50:51], off
	v_lshlrev_b64 v[48:49], 3, v[0:1]
	v_add_u32_e32 v0, s4, v0
	v_add_co_u32_e32 v48, vcc, s0, v48
	v_addc_co_u32_e32 v49, vcc, v56, v49, vcc
	global_load_dwordx2 v[50:51], v[48:49], off
	s_waitcnt vmcnt(0)
	v_mul_f64 v[50:51], v[50:51], v[52:53]
	v_mul_f64 v[50:51], v[50:51], v[44:45]
	;; [unrolled: 1-line block ×3, first 2 shown]
	global_store_dwordx2 v[48:49], v[50:51], off
	v_lshlrev_b64 v[48:49], 3, v[0:1]
	v_add_u32_e32 v0, s1, v0
	v_add_co_u32_e32 v48, vcc, s0, v48
	v_addc_co_u32_e32 v49, vcc, v56, v49, vcc
	global_load_dwordx2 v[50:51], v[48:49], off
	s_waitcnt vmcnt(0)
	v_mul_f64 v[50:51], v[50:51], v[52:53]
	v_mul_f64 v[50:51], v[50:51], v[46:47]
	global_store_dwordx2 v[48:49], v[50:51], off
	v_lshlrev_b64 v[48:49], 3, v[0:1]
	v_add_u32_e32 v0, s1, v0
	v_add_co_u32_e32 v48, vcc, s0, v48
	v_addc_co_u32_e32 v49, vcc, v56, v49, vcc
	global_load_dwordx2 v[50:51], v[48:49], off
	s_nop 0
	global_load_dwordx2 v[40:41], v[40:41], off
	s_waitcnt vmcnt(0)
	v_mul_f64 v[50:51], v[50:51], v[40:41]
	v_mul_f64 v[50:51], v[50:51], v[46:47]
	global_store_dwordx2 v[48:49], v[50:51], off
	v_lshlrev_b64 v[48:49], 3, v[0:1]
	v_add_u32_e32 v0, s1, v0
	v_add_co_u32_e32 v48, vcc, s0, v48
	v_addc_co_u32_e32 v49, vcc, v56, v49, vcc
	global_load_dwordx2 v[50:51], v[48:49], off
	s_waitcnt vmcnt(0)
	v_mul_f64 v[50:51], v[50:51], v[44:45]
	global_store_dwordx2 v[48:49], v[50:51], off
	v_lshlrev_b64 v[48:49], 3, v[0:1]
	v_add_u32_e32 v0, s1, v0
	v_add_co_u32_e32 v48, vcc, s0, v48
	v_addc_co_u32_e32 v49, vcc, v56, v49, vcc
	global_load_dwordx2 v[50:51], v[48:49], off
	global_load_dwordx2 v[54:55], v[22:23], off
	s_waitcnt vmcnt(0)
	v_mul_f64 v[50:51], v[50:51], v[54:55]
	v_mul_f64 v[50:51], v[50:51], v[46:47]
	global_store_dwordx2 v[48:49], v[50:51], off
	v_lshlrev_b64 v[48:49], 3, v[0:1]
	v_add_u32_e32 v0, s1, v0
	v_add_co_u32_e32 v48, vcc, s0, v48
	v_addc_co_u32_e32 v49, vcc, v56, v49, vcc
	global_load_dwordx2 v[50:51], v[48:49], off
	global_load_dwordx2 v[58:59], v[4:5], off
	s_waitcnt vmcnt(0)
	v_mul_f64 v[50:51], v[50:51], v[58:59]
	v_mul_f64 v[50:51], v[50:51], v[44:45]
	global_store_dwordx2 v[48:49], v[50:51], off
	v_lshlrev_b64 v[48:49], 3, v[0:1]
	v_add_u32_e32 v0, s4, v0
	v_add_co_u32_e32 v48, vcc, s0, v48
	v_addc_co_u32_e32 v49, vcc, v56, v49, vcc
	global_load_dwordx2 v[50:51], v[48:49], off
	s_waitcnt vmcnt(0)
	v_mul_f64 v[50:51], v[50:51], v[44:45]
	global_store_dwordx2 v[48:49], v[50:51], off
	v_lshlrev_b64 v[48:49], 3, v[0:1]
	v_add_u32_e32 v0, s1, v0
	v_add_co_u32_e32 v48, vcc, s0, v48
	v_addc_co_u32_e32 v49, vcc, v56, v49, vcc
	global_load_dwordx2 v[50:51], v[48:49], off
	s_waitcnt vmcnt(0)
	v_mul_f64 v[50:51], v[50:51], v[52:53]
	v_mul_f64 v[50:51], v[50:51], v[46:47]
	global_store_dwordx2 v[48:49], v[50:51], off
	v_lshlrev_b64 v[48:49], 3, v[0:1]
	v_add_u32_e32 v0, s1, v0
	v_add_co_u32_e32 v48, vcc, s0, v48
	v_addc_co_u32_e32 v49, vcc, v56, v49, vcc
	global_load_dwordx2 v[50:51], v[48:49], off
	s_waitcnt vmcnt(0)
	v_mul_f64 v[50:51], v[50:51], v[44:45]
	global_store_dwordx2 v[48:49], v[50:51], off
	v_lshlrev_b64 v[48:49], 3, v[0:1]
	v_add_u32_e32 v0, s1, v0
	v_add_co_u32_e32 v48, vcc, s0, v48
	v_addc_co_u32_e32 v49, vcc, v56, v49, vcc
	global_load_dwordx2 v[50:51], v[48:49], off
	s_waitcnt vmcnt(0)
	v_mul_f64 v[50:51], v[50:51], v[54:55]
	v_mul_f64 v[46:47], v[50:51], v[46:47]
	global_store_dwordx2 v[48:49], v[46:47], off
	v_lshlrev_b64 v[46:47], 3, v[0:1]
	v_add_u32_e32 v0, s4, v0
	v_add_co_u32_e32 v46, vcc, s0, v46
	v_addc_co_u32_e32 v47, vcc, v56, v47, vcc
	global_load_dwordx2 v[48:49], v[46:47], off
	global_load_dwordx2 v[50:51], v[34:35], off
	;; [unrolled: 1-line block ×3, first 2 shown]
	s_waitcnt vmcnt(1)
	v_mul_f64 v[34:35], v[48:49], v[50:51]
	global_store_dwordx2 v[46:47], v[34:35], off
	v_lshlrev_b64 v[34:35], 3, v[0:1]
	v_add_u32_e32 v0, s1, v0
	v_add_co_u32_e32 v34, vcc, s0, v34
	v_addc_co_u32_e32 v35, vcc, v56, v35, vcc
	global_load_dwordx2 v[46:47], v[34:35], off
	s_waitcnt vmcnt(0)
	v_mul_f64 v[46:47], v[46:47], v[40:41]
	v_mul_f64 v[46:47], v[46:47], v[52:53]
	global_store_dwordx2 v[34:35], v[46:47], off
	v_lshlrev_b64 v[34:35], 3, v[0:1]
	v_add_u32_e32 v0, s1, v0
	v_add_co_u32_e32 v34, vcc, s0, v34
	v_addc_co_u32_e32 v35, vcc, v56, v35, vcc
	global_load_dwordx2 v[46:47], v[34:35], off
	s_waitcnt vmcnt(0)
	v_mul_f64 v[46:47], v[46:47], v[58:59]
	;; [unrolled: 9-line block ×3, first 2 shown]
	global_load_dwordx2 v[34:35], v[10:11], off
	s_waitcnt vmcnt(0)
	v_mul_f64 v[46:47], v[46:47], v[34:35]
	global_store_dwordx2 v[44:45], v[46:47], off
	v_lshlrev_b64 v[44:45], 3, v[0:1]
	v_add_u32_e32 v0, s1, v0
	v_add_co_u32_e32 v44, vcc, s0, v44
	v_addc_co_u32_e32 v45, vcc, v56, v45, vcc
	global_load_dwordx2 v[46:47], v[44:45], off
	s_waitcnt vmcnt(0)
	v_mul_f64 v[46:47], v[46:47], v[50:51]
	global_load_dwordx2 v[50:51], v[16:17], off
	s_nop 0
	global_store_dwordx2 v[44:45], v[46:47], off
	v_lshlrev_b64 v[44:45], 3, v[0:1]
	v_add_u32_e32 v0, s1, v0
	v_add_co_u32_e32 v44, vcc, s0, v44
	v_addc_co_u32_e32 v45, vcc, v56, v45, vcc
	global_load_dwordx2 v[46:47], v[44:45], off
	s_waitcnt vmcnt(0)
	v_mul_f64 v[40:41], v[46:47], v[40:41]
	v_mul_f64 v[40:41], v[40:41], v[50:51]
	global_store_dwordx2 v[44:45], v[40:41], off
	v_lshlrev_b64 v[40:41], 3, v[0:1]
	v_add_u32_e32 v0, s1, v0
	v_add_co_u32_e32 v40, vcc, s0, v40
	v_addc_co_u32_e32 v41, vcc, v56, v41, vcc
	global_load_dwordx2 v[44:45], v[40:41], off
	global_load_dwordx2 v[46:47], v[32:33], off
	s_waitcnt vmcnt(0)
	v_mul_f64 v[44:45], v[44:45], v[46:47]
	global_store_dwordx2 v[40:41], v[44:45], off
	v_lshlrev_b64 v[40:41], 3, v[0:1]
	v_add_u32_e32 v0, s1, v0
	v_add_co_u32_e32 v40, vcc, s0, v40
	v_addc_co_u32_e32 v41, vcc, v56, v41, vcc
	global_load_dwordx2 v[44:45], v[40:41], off
	global_load_dwordx2 v[48:49], v[42:43], off
	s_waitcnt vmcnt(0)
	v_mul_f64 v[42:43], v[44:45], v[48:49]
	v_mul_f64 v[42:43], v[42:43], v[52:53]
	global_store_dwordx2 v[40:41], v[42:43], off
	v_lshlrev_b64 v[40:41], 3, v[0:1]
	v_add_u32_e32 v0, s1, v0
	v_add_co_u32_e32 v40, vcc, s0, v40
	v_addc_co_u32_e32 v41, vcc, v56, v41, vcc
	global_load_dwordx2 v[42:43], v[40:41], off
	s_waitcnt vmcnt(0)
	v_mul_f64 v[42:43], v[42:43], v[52:53]
	global_store_dwordx2 v[40:41], v[42:43], off
	v_lshlrev_b64 v[40:41], 3, v[0:1]
	v_add_u32_e32 v0, s1, v0
	v_add_co_u32_e32 v40, vcc, s0, v40
	v_addc_co_u32_e32 v41, vcc, v56, v41, vcc
	global_load_dwordx2 v[42:43], v[40:41], off
	global_load_dwordx2 v[44:45], v[22:23], off
	s_waitcnt vmcnt(0)
	v_mul_f64 v[44:45], v[42:43], v[44:45]
	global_load_dwordx2 v[42:43], v[12:13], off
	s_waitcnt vmcnt(0)
	v_mul_f64 v[44:45], v[44:45], v[42:43]
	global_store_dwordx2 v[40:41], v[44:45], off
	v_lshlrev_b64 v[40:41], 3, v[0:1]
	v_add_u32_e32 v0, s1, v0
	v_add_co_u32_e32 v52, vcc, s0, v40
	v_addc_co_u32_e32 v53, vcc, v56, v41, vcc
	global_load_dwordx2 v[44:45], v[52:53], off
	global_load_dwordx2 v[40:41], v[4:5], off
	s_waitcnt vmcnt(0)
	v_mul_f64 v[54:55], v[44:45], v[40:41]
	global_load_dwordx2 v[44:45], v[20:21], off
	s_waitcnt vmcnt(0)
	v_mul_f64 v[54:55], v[54:55], v[44:45]
	global_store_dwordx2 v[52:53], v[54:55], off
	v_lshlrev_b64 v[52:53], 3, v[0:1]
	v_add_u32_e32 v0, s1, v0
	v_add_co_u32_e32 v52, vcc, s0, v52
	v_addc_co_u32_e32 v53, vcc, v56, v53, vcc
	global_load_dwordx2 v[54:55], v[52:53], off
	s_waitcnt vmcnt(0)
	v_mul_f64 v[54:55], v[54:55], v[48:49]
	v_mul_f64 v[50:51], v[54:55], v[50:51]
	global_store_dwordx2 v[52:53], v[50:51], off
	v_lshlrev_b64 v[50:51], 3, v[0:1]
	v_add_u32_e32 v0, s1, v0
	v_add_co_u32_e32 v52, vcc, s0, v50
	v_addc_co_u32_e32 v53, vcc, v56, v51, vcc
	global_load_dwordx2 v[50:51], v[52:53], off
	s_waitcnt vmcnt(0)
	v_mul_f64 v[54:55], v[50:51], v[48:49]
	global_load_dwordx2 v[50:51], v[2:3], off
	s_waitcnt vmcnt(0)
	v_mul_f64 v[54:55], v[54:55], v[50:51]
	global_store_dwordx2 v[52:53], v[54:55], off
	v_lshlrev_b64 v[52:53], 3, v[0:1]
	v_add_u32_e32 v0, s1, v0
	v_add_co_u32_e32 v52, vcc, s0, v52
	v_addc_co_u32_e32 v53, vcc, v56, v53, vcc
	global_load_dwordx2 v[54:55], v[52:53], off
	s_nop 0
	global_load_dwordx2 v[26:27], v[26:27], off
	s_waitcnt vmcnt(0)
	v_mul_f64 v[26:27], v[54:55], v[26:27]
	global_store_dwordx2 v[52:53], v[26:27], off
	v_lshlrev_b64 v[26:27], 3, v[0:1]
	v_add_u32_e32 v0, s1, v0
	v_add_co_u32_e32 v26, vcc, s0, v26
	v_addc_co_u32_e32 v27, vcc, v56, v27, vcc
	global_load_dwordx2 v[52:53], v[26:27], off
	global_load_dwordx2 v[54:55], v[6:7], off
	s_waitcnt vmcnt(0)
	v_mul_f64 v[52:53], v[52:53], v[54:55]
	global_store_dwordx2 v[26:27], v[52:53], off
	v_lshlrev_b64 v[26:27], 3, v[0:1]
	v_add_u32_e32 v0, s1, v0
	v_add_co_u32_e32 v26, vcc, s0, v26
	v_addc_co_u32_e32 v27, vcc, v56, v27, vcc
	global_load_dwordx2 v[52:53], v[26:27], off
	s_waitcnt vmcnt(0)
	v_mul_f64 v[52:53], v[52:53], v[34:35]
	global_store_dwordx2 v[26:27], v[52:53], off
	v_lshlrev_b64 v[26:27], 3, v[0:1]
	v_add_u32_e32 v0, s1, v0
	v_add_co_u32_e32 v26, vcc, s0, v26
	v_addc_co_u32_e32 v27, vcc, v56, v27, vcc
	global_load_dwordx2 v[52:53], v[26:27], off
	s_waitcnt vmcnt(0)
	v_mul_f64 v[52:53], v[52:53], v[46:47]
	v_mul_f64 v[50:51], v[52:53], v[50:51]
	global_store_dwordx2 v[26:27], v[50:51], off
	v_lshlrev_b64 v[26:27], 3, v[0:1]
	v_add_u32_e32 v0, s1, v0
	v_add_co_u32_e32 v26, vcc, s0, v26
	v_addc_co_u32_e32 v27, vcc, v56, v27, vcc
	global_load_dwordx2 v[50:51], v[26:27], off
	s_waitcnt vmcnt(0)
	v_mul_f64 v[46:47], v[50:51], v[46:47]
	;; [unrolled: 9-line block ×3, first 2 shown]
	global_load_dwordx2 v[48:49], v[24:25], off
	s_waitcnt vmcnt(0)
	v_mul_f64 v[46:47], v[46:47], v[48:49]
	global_store_dwordx2 v[26:27], v[46:47], off
	v_lshlrev_b64 v[26:27], 3, v[0:1]
	v_add_u32_e32 v0, s1, v0
	v_add_co_u32_e32 v26, vcc, s0, v26
	v_addc_co_u32_e32 v27, vcc, v56, v27, vcc
	v_add_co_u32_e32 v30, vcc, s2, v30
	v_addc_co_u32_e32 v31, vcc, v57, v31, vcc
	global_load_dwordx2 v[46:47], v[26:27], off
	global_load_dwordx2 v[48:49], v[30:31], off
	s_waitcnt vmcnt(0)
	v_mul_f64 v[46:47], v[46:47], v[48:49]
	global_store_dwordx2 v[26:27], v[46:47], off
	v_lshlrev_b64 v[26:27], 3, v[0:1]
	v_add_u32_e32 v0, s1, v0
	v_add_co_u32_e32 v46, vcc, s0, v26
	v_addc_co_u32_e32 v47, vcc, v56, v27, vcc
	v_add_co_u32_e32 v26, vcc, s2, v28
	v_addc_co_u32_e32 v27, vcc, v57, v29, vcc
	global_load_dwordx2 v[48:49], v[46:47], off
	global_load_dwordx2 v[28:29], v[26:27], off
	s_waitcnt vmcnt(0)
	v_mul_f64 v[28:29], v[48:49], v[28:29]
	v_mul_f64 v[28:29], v[28:29], v[42:43]
	global_store_dwordx2 v[46:47], v[28:29], off
	v_lshlrev_b64 v[28:29], 3, v[0:1]
	v_add_u32_e32 v0, s1, v0
	v_add_co_u32_e32 v28, vcc, s0, v28
	v_addc_co_u32_e32 v29, vcc, v56, v29, vcc
	global_load_dwordx2 v[42:43], v[28:29], off
	s_waitcnt vmcnt(0)
	v_mul_f64 v[42:43], v[42:43], v[40:41]
	v_mul_f64 v[42:43], v[42:43], v[44:45]
	global_store_dwordx2 v[28:29], v[42:43], off
	v_lshlrev_b64 v[28:29], 3, v[0:1]
	v_add_u32_e32 v0, s1, v0
	v_add_co_u32_e32 v28, vcc, s0, v28
	v_addc_co_u32_e32 v29, vcc, v56, v29, vcc
	global_load_dwordx2 v[42:43], v[28:29], off
	global_load_dwordx2 v[44:45], v[38:39], off
	s_waitcnt vmcnt(0)
	v_mul_f64 v[38:39], v[42:43], v[44:45]
	global_store_dwordx2 v[28:29], v[38:39], off
	v_lshlrev_b64 v[28:29], 3, v[0:1]
	v_add_u32_e32 v0, s1, v0
	v_add_co_u32_e32 v28, vcc, s0, v28
	v_addc_co_u32_e32 v29, vcc, v56, v29, vcc
	global_load_dwordx2 v[38:39], v[28:29], off
	s_waitcnt vmcnt(0)
	v_mul_f64 v[38:39], v[38:39], v[40:41]
	global_store_dwordx2 v[28:29], v[38:39], off
	v_lshlrev_b64 v[28:29], 3, v[0:1]
	v_add_u32_e32 v0, s1, v0
	v_add_co_u32_e32 v28, vcc, s0, v28
	v_addc_co_u32_e32 v29, vcc, v56, v29, vcc
	global_load_dwordx2 v[38:39], v[28:29], off
	global_load_dwordx2 v[42:43], v[22:23], off
	;; [unrolled: 1-line block ×3, first 2 shown]
	s_waitcnt vmcnt(1)
	v_mul_f64 v[38:39], v[38:39], v[42:43]
	s_waitcnt vmcnt(0)
	v_mul_f64 v[38:39], v[38:39], v[46:47]
	global_store_dwordx2 v[28:29], v[38:39], off
	v_lshlrev_b64 v[28:29], 3, v[0:1]
	v_add_u32_e32 v0, s1, v0
	v_add_co_u32_e32 v28, vcc, s0, v28
	v_addc_co_u32_e32 v29, vcc, v56, v29, vcc
	global_load_dwordx2 v[38:39], v[28:29], off
	s_waitcnt vmcnt(0)
	v_mul_f64 v[38:39], v[38:39], v[42:43]
	v_mul_f64 v[34:35], v[38:39], v[34:35]
	global_load_dwordx2 v[38:39], v[16:17], off
	s_nop 0
	global_store_dwordx2 v[28:29], v[34:35], off
	v_lshlrev_b64 v[28:29], 3, v[0:1]
	v_add_u32_e32 v0, s1, v0
	v_add_co_u32_e32 v28, vcc, s0, v28
	v_addc_co_u32_e32 v29, vcc, v56, v29, vcc
	global_load_dwordx2 v[34:35], v[28:29], off
	s_waitcnt vmcnt(0)
	v_mul_f64 v[34:35], v[34:35], v[42:43]
	v_mul_f64 v[34:35], v[34:35], v[38:39]
	global_store_dwordx2 v[28:29], v[34:35], off
	v_lshlrev_b64 v[28:29], 3, v[0:1]
	v_add_u32_e32 v0, s1, v0
	v_add_co_u32_e32 v28, vcc, s0, v28
	v_addc_co_u32_e32 v29, vcc, v56, v29, vcc
	global_load_dwordx2 v[34:35], v[28:29], off
	s_waitcnt vmcnt(0)
	v_mul_f64 v[34:35], v[34:35], v[42:43]
	global_load_dwordx2 v[42:43], v[2:3], off
	s_waitcnt vmcnt(0)
	v_mul_f64 v[34:35], v[34:35], v[42:43]
	global_store_dwordx2 v[28:29], v[34:35], off
	v_lshlrev_b64 v[28:29], 3, v[0:1]
	v_add_u32_e32 v0, s1, v0
	v_add_co_u32_e32 v28, vcc, s0, v28
	v_addc_co_u32_e32 v29, vcc, v56, v29, vcc
	global_load_dwordx2 v[34:35], v[28:29], off
	global_load_dwordx2 v[48:49], v[6:7], off
	;; [unrolled: 1-line block ×4, first 2 shown]
	s_waitcnt vmcnt(2)
	v_mul_f64 v[34:35], v[34:35], v[48:49]
	s_waitcnt vmcnt(1)
	v_mul_f64 v[34:35], v[34:35], v[50:51]
	;; [unrolled: 2-line block ×3, first 2 shown]
	global_store_dwordx2 v[28:29], v[34:35], off
	v_lshlrev_b64 v[28:29], 3, v[0:1]
	v_add_u32_e32 v0, s4, v0
	v_add_co_u32_e32 v28, vcc, s0, v28
	v_addc_co_u32_e32 v29, vcc, v56, v29, vcc
	global_load_dwordx2 v[34:35], v[28:29], off
	s_waitcnt vmcnt(0)
	v_mul_f64 v[34:35], v[34:35], v[46:47]
	global_store_dwordx2 v[28:29], v[34:35], off
	v_lshlrev_b64 v[28:29], 3, v[0:1]
	v_add_u32_e32 v0, s1, v0
	v_add_co_u32_e32 v28, vcc, s0, v28
	v_addc_co_u32_e32 v29, vcc, v56, v29, vcc
	global_load_dwordx2 v[34:35], v[28:29], off
	s_waitcnt vmcnt(0)
	v_mul_f64 v[34:35], v[34:35], v[46:47]
	;; [unrolled: 8-line block ×8, first 2 shown]
	v_mul_f64 v[34:35], v[34:35], v[52:53]
	global_store_dwordx2 v[28:29], v[34:35], off
	v_lshlrev_b64 v[28:29], 3, v[0:1]
	v_add_u32_e32 v0, s1, v0
	v_add_co_u32_e32 v28, vcc, s0, v28
	v_addc_co_u32_e32 v29, vcc, v56, v29, vcc
	global_load_dwordx2 v[34:35], v[28:29], off
	s_waitcnt vmcnt(0)
	v_mul_f64 v[34:35], v[34:35], v[50:51]
	global_store_dwordx2 v[28:29], v[34:35], off
	v_lshlrev_b64 v[28:29], 3, v[0:1]
	v_add_u32_e32 v0, s1, v0
	v_add_co_u32_e32 v28, vcc, s0, v28
	v_addc_co_u32_e32 v29, vcc, v56, v29, vcc
	global_load_dwordx2 v[34:35], v[28:29], off
	global_load_dwordx2 v[38:39], v[26:27], off
	;; [unrolled: 1-line block ×3, first 2 shown]
	s_waitcnt vmcnt(1)
	v_mul_f64 v[34:35], v[34:35], v[38:39]
	s_waitcnt vmcnt(0)
	v_mul_f64 v[34:35], v[34:35], v[40:41]
	global_store_dwordx2 v[28:29], v[34:35], off
	v_lshlrev_b64 v[28:29], 3, v[0:1]
	v_add_u32_e32 v0, s1, v0
	v_add_co_u32_e32 v28, vcc, s0, v28
	v_addc_co_u32_e32 v29, vcc, v56, v29, vcc
	global_load_dwordx2 v[34:35], v[28:29], off
	global_load_dwordx2 v[42:43], v[24:25], off
	s_waitcnt vmcnt(0)
	v_mul_f64 v[34:35], v[34:35], v[42:43]
	global_store_dwordx2 v[28:29], v[34:35], off
	v_lshlrev_b64 v[28:29], 3, v[0:1]
	v_add_u32_e32 v0, s1, v0
	v_add_co_u32_e32 v28, vcc, s0, v28
	v_addc_co_u32_e32 v29, vcc, v56, v29, vcc
	global_load_dwordx2 v[34:35], v[28:29], off
	s_waitcnt vmcnt(0)
	v_mul_f64 v[34:35], v[34:35], v[38:39]
	v_mul_f64 v[34:35], v[34:35], v[40:41]
	global_store_dwordx2 v[28:29], v[34:35], off
	v_lshlrev_b64 v[28:29], 3, v[0:1]
	v_add_u32_e32 v0, s4, v0
	v_add_co_u32_e32 v28, vcc, s0, v28
	v_addc_co_u32_e32 v29, vcc, v56, v29, vcc
	global_load_dwordx2 v[34:35], v[28:29], off
	s_waitcnt vmcnt(0)
	v_mul_f64 v[34:35], v[34:35], v[42:43]
	global_store_dwordx2 v[28:29], v[34:35], off
	v_lshlrev_b64 v[28:29], 3, v[0:1]
	v_add_u32_e32 v0, s1, v0
	v_add_co_u32_e32 v28, vcc, s0, v28
	v_addc_co_u32_e32 v29, vcc, v56, v29, vcc
	global_load_dwordx2 v[38:39], v[28:29], off
	global_load_dwordx2 v[34:35], v[36:37], off
	s_waitcnt vmcnt(0)
	v_mul_f64 v[36:37], v[38:39], v[34:35]
	global_store_dwordx2 v[28:29], v[36:37], off
	v_lshlrev_b64 v[28:29], 3, v[0:1]
	v_add_u32_e32 v0, s1, v0
	v_add_co_u32_e32 v28, vcc, s0, v28
	v_addc_co_u32_e32 v29, vcc, v56, v29, vcc
	global_load_dwordx2 v[36:37], v[28:29], off
	global_load_dwordx2 v[42:43], v[32:33], off
	s_waitcnt vmcnt(0)
	v_mul_f64 v[38:39], v[36:37], v[42:43]
	global_load_dwordx2 v[36:37], v[14:15], off
	s_waitcnt vmcnt(0)
	v_mul_f64 v[38:39], v[38:39], v[36:37]
	global_store_dwordx2 v[28:29], v[38:39], off
	v_lshlrev_b64 v[28:29], 3, v[0:1]
	v_add_u32_e32 v0, s1, v0
	v_add_co_u32_e32 v46, vcc, s0, v28
	v_addc_co_u32_e32 v47, vcc, v56, v29, vcc
	global_load_dwordx2 v[38:39], v[46:47], off
	global_load_dwordx2 v[28:29], v[4:5], off
	s_waitcnt vmcnt(0)
	v_mul_f64 v[48:49], v[38:39], v[28:29]
	global_load_dwordx2 v[38:39], v[6:7], off
	s_nop 0
	global_load_dwordx2 v[20:21], v[20:21], off
	s_waitcnt vmcnt(1)
	v_mul_f64 v[48:49], v[48:49], v[38:39]
	global_store_dwordx2 v[46:47], v[48:49], off
	v_lshlrev_b64 v[46:47], 3, v[0:1]
	v_add_u32_e32 v0, s1, v0
	v_add_co_u32_e32 v46, vcc, s0, v46
	v_addc_co_u32_e32 v47, vcc, v56, v47, vcc
	global_load_dwordx2 v[48:49], v[46:47], off
	s_waitcnt vmcnt(0)
	v_mul_f64 v[44:45], v[48:49], v[44:45]
	global_load_dwordx2 v[48:49], v[18:19], off
	v_mul_f64 v[40:41], v[44:45], v[40:41]
	global_store_dwordx2 v[46:47], v[40:41], off
	v_lshlrev_b64 v[40:41], 3, v[0:1]
	v_add_u32_e32 v0, s1, v0
	v_add_co_u32_e32 v44, vcc, s0, v40
	v_addc_co_u32_e32 v45, vcc, v56, v41, vcc
	global_load_dwordx2 v[40:41], v[44:45], off
	s_waitcnt vmcnt(0)
	v_mul_f64 v[46:47], v[40:41], v[42:43]
	global_load_dwordx2 v[40:41], v[2:3], off
	s_waitcnt vmcnt(0)
	v_mul_f64 v[46:47], v[46:47], v[40:41]
	global_store_dwordx2 v[44:45], v[46:47], off
	v_lshlrev_b64 v[44:45], 3, v[0:1]
	v_add_u32_e32 v0, s1, v0
	v_add_co_u32_e32 v44, vcc, s0, v44
	v_addc_co_u32_e32 v45, vcc, v56, v45, vcc
	global_load_dwordx2 v[46:47], v[44:45], off
	s_waitcnt vmcnt(0)
	v_mul_f64 v[46:47], v[46:47], v[34:35]
	v_mul_f64 v[18:19], v[46:47], v[48:49]
	global_store_dwordx2 v[44:45], v[18:19], off
	v_lshlrev_b64 v[18:19], 3, v[0:1]
	v_add_u32_e32 v0, s1, v0
	v_add_co_u32_e32 v18, vcc, s0, v18
	v_addc_co_u32_e32 v19, vcc, v56, v19, vcc
	global_load_dwordx2 v[44:45], v[18:19], off
	s_waitcnt vmcnt(0)
	v_mul_f64 v[42:43], v[44:45], v[42:43]
	global_load_dwordx2 v[44:45], v[8:9], off
	s_waitcnt vmcnt(0)
	v_mul_f64 v[42:43], v[42:43], v[44:45]
	global_store_dwordx2 v[18:19], v[42:43], off
	v_lshlrev_b64 v[18:19], 3, v[0:1]
	v_add_u32_e32 v0, s1, v0
	v_add_co_u32_e32 v18, vcc, s0, v18
	v_addc_co_u32_e32 v19, vcc, v56, v19, vcc
	global_load_dwordx2 v[42:43], v[18:19], off
	s_waitcnt vmcnt(0)
	v_mul_f64 v[42:43], v[42:43], v[28:29]
	v_mul_f64 v[38:39], v[42:43], v[38:39]
	global_load_dwordx2 v[42:43], v[10:11], off
	s_waitcnt vmcnt(0)
	v_mul_f64 v[38:39], v[38:39], v[42:43]
	global_store_dwordx2 v[18:19], v[38:39], off
	v_lshlrev_b64 v[18:19], 3, v[0:1]
	v_add_u32_e32 v0, s1, v0
	v_add_co_u32_e32 v18, vcc, s0, v18
	v_addc_co_u32_e32 v19, vcc, v56, v19, vcc
	global_load_dwordx2 v[38:39], v[18:19], off
	s_waitcnt vmcnt(0)
	v_mul_f64 v[38:39], v[38:39], v[34:35]
	v_mul_f64 v[38:39], v[38:39], v[40:41]
	global_store_dwordx2 v[18:19], v[38:39], off
	v_lshlrev_b64 v[18:19], 3, v[0:1]
	v_add_u32_e32 v0, s1, v0
	v_add_co_u32_e32 v18, vcc, s0, v18
	v_addc_co_u32_e32 v19, vcc, v56, v19, vcc
	global_load_dwordx2 v[38:39], v[18:19], off
	s_waitcnt vmcnt(0)
	v_mul_f64 v[34:35], v[38:39], v[34:35]
	;; [unrolled: 9-line block ×3, first 2 shown]
	global_store_dwordx2 v[18:19], v[34:35], off
	v_lshlrev_b64 v[18:19], 3, v[0:1]
	v_add_u32_e32 v0, s1, v0
	v_add_co_u32_e32 v18, vcc, s0, v18
	v_addc_co_u32_e32 v19, vcc, v56, v19, vcc
	global_load_dwordx2 v[34:35], v[18:19], off
	s_waitcnt vmcnt(0)
	v_mul_f64 v[34:35], v[34:35], v[42:43]
	global_store_dwordx2 v[18:19], v[34:35], off
	v_lshlrev_b64 v[18:19], 3, v[0:1]
	v_add_u32_e32 v0, s1, v0
	v_add_co_u32_e32 v18, vcc, s0, v18
	v_addc_co_u32_e32 v19, vcc, v56, v19, vcc
	global_load_dwordx2 v[36:37], v[18:19], off
	global_load_dwordx2 v[34:35], v[16:17], off
	s_waitcnt vmcnt(0)
	v_mul_f64 v[16:17], v[36:37], v[34:35]
	global_store_dwordx2 v[18:19], v[16:17], off
	v_lshlrev_b64 v[16:17], 3, v[0:1]
	v_add_u32_e32 v0, s1, v0
	v_add_co_u32_e32 v16, vcc, s0, v16
	v_addc_co_u32_e32 v17, vcc, v56, v17, vcc
	global_load_dwordx2 v[18:19], v[16:17], off
	s_waitcnt vmcnt(0)
	v_mul_f64 v[18:19], v[18:19], v[28:29]
	global_store_dwordx2 v[16:17], v[18:19], off
	v_lshlrev_b64 v[16:17], 3, v[0:1]
	v_add_u32_e32 v0, s1, v0
	v_add_co_u32_e32 v18, vcc, s0, v16
	v_addc_co_u32_e32 v19, vcc, v56, v17, vcc
	global_load_dwordx2 v[28:29], v[18:19], off
	global_load_dwordx2 v[16:17], v[24:25], off
	s_waitcnt vmcnt(0)
	v_mul_f64 v[24:25], v[28:29], v[16:17]
	global_store_dwordx2 v[18:19], v[24:25], off
	v_lshlrev_b64 v[18:19], 3, v[0:1]
	v_add_u32_e32 v0, s1, v0
	v_add_co_u32_e32 v24, vcc, s0, v18
	v_addc_co_u32_e32 v25, vcc, v56, v19, vcc
	global_load_dwordx2 v[28:29], v[24:25], off
	;; [unrolled: 9-line block ×3, first 2 shown]
	s_waitcnt vmcnt(0)
	v_mul_f64 v[28:29], v[28:29], v[16:17]
	global_store_dwordx2 v[24:25], v[28:29], off
	v_lshlrev_b64 v[24:25], 3, v[0:1]
	v_add_u32_e32 v0, s1, v0
	v_add_co_u32_e32 v24, vcc, s0, v24
	v_addc_co_u32_e32 v25, vcc, v56, v25, vcc
	global_load_dwordx2 v[28:29], v[24:25], off
	s_waitcnt vmcnt(0)
	v_mul_f64 v[28:29], v[28:29], v[18:19]
	v_mul_f64 v[28:29], v[28:29], v[48:49]
	global_store_dwordx2 v[24:25], v[28:29], off
	v_lshlrev_b64 v[24:25], 3, v[0:1]
	v_add_u32_e32 v0, s1, v0
	v_add_co_u32_e32 v28, vcc, s0, v24
	v_addc_co_u32_e32 v29, vcc, v56, v25, vcc
	global_load_dwordx2 v[24:25], v[28:29], off
	s_waitcnt vmcnt(0)
	v_mul_f64 v[30:31], v[24:25], v[42:43]
	global_load_dwordx2 v[24:25], v[6:7], off
	s_waitcnt vmcnt(0)
	v_mul_f64 v[30:31], v[30:31], v[24:25]
	global_store_dwordx2 v[28:29], v[30:31], off
	v_lshlrev_b64 v[28:29], 3, v[0:1]
	v_add_u32_e32 v0, s4, v0
	v_add_co_u32_e32 v28, vcc, s0, v28
	v_addc_co_u32_e32 v29, vcc, v56, v29, vcc
	global_load_dwordx2 v[30:31], v[28:29], off
	s_waitcnt vmcnt(0)
	v_mul_f64 v[30:31], v[30:31], v[18:19]
	v_mul_f64 v[20:21], v[30:31], v[20:21]
	global_store_dwordx2 v[28:29], v[20:21], off
	v_lshlrev_b64 v[20:21], 3, v[0:1]
	v_add_u32_e32 v0, s1, v0
	v_add_co_u32_e32 v20, vcc, s0, v20
	v_addc_co_u32_e32 v21, vcc, v56, v21, vcc
	global_load_dwordx2 v[28:29], v[20:21], off
	global_load_dwordx2 v[30:31], v[32:33], off
	s_waitcnt vmcnt(0)
	v_mul_f64 v[30:31], v[28:29], v[30:31]
	global_load_dwordx2 v[28:29], v[4:5], off
	s_waitcnt vmcnt(0)
	v_mul_f64 v[30:31], v[30:31], v[28:29]
	global_store_dwordx2 v[20:21], v[30:31], off
	v_lshlrev_b64 v[20:21], 3, v[0:1]
	v_add_u32_e32 v0, s1, v0
	v_add_co_u32_e32 v30, vcc, s0, v20
	v_addc_co_u32_e32 v31, vcc, v56, v21, vcc
	global_load_dwordx2 v[32:33], v[30:31], off
	global_load_dwordx2 v[20:21], v[26:27], off
	s_waitcnt vmcnt(0)
	v_mul_f64 v[26:27], v[32:33], v[20:21]
	global_load_dwordx2 v[14:15], v[14:15], off
	s_waitcnt vmcnt(0)
	v_mul_f64 v[26:27], v[26:27], v[14:15]
	global_store_dwordx2 v[30:31], v[26:27], off
	v_lshlrev_b64 v[26:27], 3, v[0:1]
	v_add_u32_e32 v0, s4, v0
	v_add_co_u32_e32 v26, vcc, s0, v26
	v_addc_co_u32_e32 v27, vcc, v56, v27, vcc
	global_load_dwordx2 v[30:31], v[26:27], off
	s_nop 0
	global_load_dwordx2 v[22:23], v[22:23], off
	s_waitcnt vmcnt(0)
	v_mul_f64 v[22:23], v[30:31], v[22:23]
	global_load_dwordx2 v[12:13], v[12:13], off
	v_mul_f64 v[22:23], v[22:23], v[28:29]
	global_load_dwordx2 v[10:11], v[10:11], off
	s_waitcnt vmcnt(1)
	v_mul_f64 v[12:13], v[22:23], v[12:13]
	global_load_dwordx2 v[8:9], v[8:9], off
	s_nop 0
	global_load_dwordx2 v[6:7], v[6:7], off
	s_nop 0
	;; [unrolled: 2-line block ×4, first 2 shown]
	global_store_dwordx2 v[26:27], v[12:13], off
	v_lshlrev_b64 v[12:13], 3, v[0:1]
	v_add_u32_e32 v0, s1, v0
	v_add_co_u32_e32 v12, vcc, s0, v12
	v_addc_co_u32_e32 v13, vcc, v56, v13, vcc
	global_load_dwordx2 v[22:23], v[12:13], off
	s_waitcnt vmcnt(0)
	v_mul_f64 v[22:23], v[22:23], v[20:21]
	v_mul_f64 v[22:23], v[22:23], v[10:11]
	global_store_dwordx2 v[12:13], v[22:23], off
	v_lshlrev_b64 v[12:13], 3, v[0:1]
	v_add_u32_e32 v0, s1, v0
	v_add_co_u32_e32 v12, vcc, s0, v12
	v_addc_co_u32_e32 v13, vcc, v56, v13, vcc
	global_load_dwordx2 v[22:23], v[12:13], off
	s_waitcnt vmcnt(0)
	v_mul_f64 v[22:23], v[22:23], v[20:21]
	v_mul_f64 v[22:23], v[22:23], v[34:35]
	;; [unrolled: 9-line block ×4, first 2 shown]
	global_store_dwordx2 v[8:9], v[12:13], off
	v_lshlrev_b64 v[8:9], 3, v[0:1]
	v_add_u32_e32 v0, s1, v0
	v_add_co_u32_e32 v8, vcc, s0, v8
	v_addc_co_u32_e32 v9, vcc, v56, v9, vcc
	global_load_dwordx2 v[12:13], v[8:9], off
	s_waitcnt vmcnt(0)
	v_mul_f64 v[12:13], v[12:13], v[28:29]
	global_store_dwordx2 v[8:9], v[12:13], off
	v_lshlrev_b64 v[8:9], 3, v[0:1]
	v_add_u32_e32 v0, s1, v0
	v_add_co_u32_e32 v8, vcc, s0, v8
	v_addc_co_u32_e32 v9, vcc, v56, v9, vcc
	global_load_dwordx2 v[12:13], v[8:9], off
	s_waitcnt vmcnt(0)
	v_mul_f64 v[12:13], v[12:13], v[18:19]
	v_mul_f64 v[12:13], v[12:13], v[14:15]
	global_store_dwordx2 v[8:9], v[12:13], off
	v_lshlrev_b64 v[8:9], 3, v[0:1]
	v_add_u32_e32 v0, s1, v0
	v_add_co_u32_e32 v8, vcc, s0, v8
	v_addc_co_u32_e32 v9, vcc, v56, v9, vcc
	global_load_dwordx2 v[12:13], v[8:9], off
	s_waitcnt vmcnt(0)
	v_mul_f64 v[12:13], v[12:13], v[24:25]
	global_store_dwordx2 v[8:9], v[12:13], off
	v_lshlrev_b64 v[8:9], 3, v[0:1]
	v_add_u32_e32 v0, s1, v0
	v_add_co_u32_e32 v8, vcc, s0, v8
	v_addc_co_u32_e32 v9, vcc, v56, v9, vcc
	global_load_dwordx2 v[12:13], v[8:9], off
	s_waitcnt vmcnt(0)
	v_mul_f64 v[12:13], v[12:13], v[18:19]
	v_mul_f64 v[12:13], v[12:13], v[34:35]
	global_store_dwordx2 v[8:9], v[12:13], off
	v_lshlrev_b64 v[8:9], 3, v[0:1]
	v_add_u32_e32 v0, s1, v0
	v_add_co_u32_e32 v8, vcc, s0, v8
	v_addc_co_u32_e32 v9, vcc, v56, v9, vcc
	global_load_dwordx2 v[12:13], v[8:9], off
	s_waitcnt vmcnt(0)
	v_mul_f64 v[12:13], v[12:13], v[18:19]
	;; [unrolled: 9-line block ×3, first 2 shown]
	v_mul_f64 v[6:7], v[8:9], v[6:7]
	global_store_dwordx2 v[2:3], v[6:7], off
	v_lshlrev_b64 v[2:3], 3, v[0:1]
	v_add_u32_e32 v0, s1, v0
	v_add_co_u32_e32 v2, vcc, s0, v2
	v_addc_co_u32_e32 v3, vcc, v56, v3, vcc
	global_load_dwordx2 v[6:7], v[2:3], off
	v_lshlrev_b64 v[0:1], 3, v[0:1]
	v_add_co_u32_e32 v0, vcc, s0, v0
	v_addc_co_u32_e32 v1, vcc, v56, v1, vcc
	s_waitcnt vmcnt(0)
	v_mul_f64 v[6:7], v[6:7], v[16:17]
	v_mul_f64 v[6:7], v[6:7], v[18:19]
	global_store_dwordx2 v[2:3], v[6:7], off
	global_load_dwordx2 v[2:3], v[0:1], off
	s_waitcnt vmcnt(0)
	v_mul_f64 v[2:3], v[2:3], v[20:21]
	v_mul_f64 v[2:3], v[2:3], v[4:5]
	global_store_dwordx2 v[0:1], v[2:3], off
	s_endpgm
	.section	.rodata,"a",@progbits
	.p2align	6, 0x0
	.amdhsa_kernel _Z12ratx4_kernelIdEvPKT_PS0_S3_
		.amdhsa_group_segment_fixed_size 0
		.amdhsa_private_segment_fixed_size 0
		.amdhsa_kernarg_size 280
		.amdhsa_user_sgpr_count 6
		.amdhsa_user_sgpr_private_segment_buffer 1
		.amdhsa_user_sgpr_dispatch_ptr 0
		.amdhsa_user_sgpr_queue_ptr 0
		.amdhsa_user_sgpr_kernarg_segment_ptr 1
		.amdhsa_user_sgpr_dispatch_id 0
		.amdhsa_user_sgpr_flat_scratch_init 0
		.amdhsa_user_sgpr_private_segment_size 0
		.amdhsa_uses_dynamic_stack 0
		.amdhsa_system_sgpr_private_segment_wavefront_offset 0
		.amdhsa_system_sgpr_workgroup_id_x 1
		.amdhsa_system_sgpr_workgroup_id_y 0
		.amdhsa_system_sgpr_workgroup_id_z 0
		.amdhsa_system_sgpr_workgroup_info 0
		.amdhsa_system_vgpr_workitem_id 0
		.amdhsa_next_free_vgpr 64
		.amdhsa_next_free_sgpr 9
		.amdhsa_reserve_vcc 1
		.amdhsa_reserve_flat_scratch 0
		.amdhsa_float_round_mode_32 0
		.amdhsa_float_round_mode_16_64 0
		.amdhsa_float_denorm_mode_32 3
		.amdhsa_float_denorm_mode_16_64 3
		.amdhsa_dx10_clamp 1
		.amdhsa_ieee_mode 1
		.amdhsa_fp16_overflow 0
		.amdhsa_exception_fp_ieee_invalid_op 0
		.amdhsa_exception_fp_denorm_src 0
		.amdhsa_exception_fp_ieee_div_zero 0
		.amdhsa_exception_fp_ieee_overflow 0
		.amdhsa_exception_fp_ieee_underflow 0
		.amdhsa_exception_fp_ieee_inexact 0
		.amdhsa_exception_int_div_zero 0
	.end_amdhsa_kernel
	.section	.text._Z12ratx4_kernelIdEvPKT_PS0_S3_,"axG",@progbits,_Z12ratx4_kernelIdEvPKT_PS0_S3_,comdat
.Lfunc_end42:
	.size	_Z12ratx4_kernelIdEvPKT_PS0_S3_, .Lfunc_end42-_Z12ratx4_kernelIdEvPKT_PS0_S3_
                                        ; -- End function
	.set _Z12ratx4_kernelIdEvPKT_PS0_S3_.num_vgpr, 64
	.set _Z12ratx4_kernelIdEvPKT_PS0_S3_.num_agpr, 0
	.set _Z12ratx4_kernelIdEvPKT_PS0_S3_.numbered_sgpr, 9
	.set _Z12ratx4_kernelIdEvPKT_PS0_S3_.num_named_barrier, 0
	.set _Z12ratx4_kernelIdEvPKT_PS0_S3_.private_seg_size, 0
	.set _Z12ratx4_kernelIdEvPKT_PS0_S3_.uses_vcc, 1
	.set _Z12ratx4_kernelIdEvPKT_PS0_S3_.uses_flat_scratch, 0
	.set _Z12ratx4_kernelIdEvPKT_PS0_S3_.has_dyn_sized_stack, 0
	.set _Z12ratx4_kernelIdEvPKT_PS0_S3_.has_recursion, 0
	.set _Z12ratx4_kernelIdEvPKT_PS0_S3_.has_indirect_call, 0
	.section	.AMDGPU.csdata,"",@progbits
; Kernel info:
; codeLenInByte = 11680
; TotalNumSgprs: 13
; NumVgprs: 64
; ScratchSize: 0
; MemoryBound: 1
; FloatMode: 240
; IeeeMode: 1
; LDSByteSize: 0 bytes/workgroup (compile time only)
; SGPRBlocks: 1
; VGPRBlocks: 15
; NumSGPRsForWavesPerEU: 13
; NumVGPRsForWavesPerEU: 64
; Occupancy: 4
; WaveLimiterHint : 1
; COMPUTE_PGM_RSRC2:SCRATCH_EN: 0
; COMPUTE_PGM_RSRC2:USER_SGPR: 6
; COMPUTE_PGM_RSRC2:TRAP_HANDLER: 0
; COMPUTE_PGM_RSRC2:TGID_X_EN: 1
; COMPUTE_PGM_RSRC2:TGID_Y_EN: 0
; COMPUTE_PGM_RSRC2:TGID_Z_EN: 0
; COMPUTE_PGM_RSRC2:TIDIG_COMP_CNT: 0
	.section	.text._Z11qssa_kernelIdEvPT_S1_S1_,"axG",@progbits,_Z11qssa_kernelIdEvPT_S1_S1_,comdat
	.protected	_Z11qssa_kernelIdEvPT_S1_S1_ ; -- Begin function _Z11qssa_kernelIdEvPT_S1_S1_
	.globl	_Z11qssa_kernelIdEvPT_S1_S1_
	.p2align	8
	.type	_Z11qssa_kernelIdEvPT_S1_S1_,@function
_Z11qssa_kernelIdEvPT_S1_S1_:           ; @_Z11qssa_kernelIdEvPT_S1_S1_
; %bb.0:
	s_mov_b64 s[22:23], s[2:3]
	s_mov_b64 s[20:21], s[0:1]
	s_add_u32 s20, s20, s7
	s_load_dwordx4 s[0:3], s[4:5], 0x0
	s_load_dwordx2 s[8:9], s[4:5], 0x10
	s_load_dword s7, s[4:5], 0x18
	s_load_dword s10, s[4:5], 0x24
	s_addc_u32 s21, s21, 0
	v_mov_b32_e32 v20, 0
	s_waitcnt lgkmcnt(0)
	v_mov_b32_e32 v61, s1
	v_mov_b32_e32 v60, s3
	s_and_b32 s5, s10, 0xffff
	s_mul_i32 s4, s7, s5
	s_mul_i32 s7, s4, 56
	;; [unrolled: 1-line block ×3, first 2 shown]
	s_add_i32 s7, s7, s6
	v_add_u32_e32 v19, s7, v0
	v_lshlrev_b64 v[4:5], 3, v[19:20]
	s_mov_b32 s6, 0
	v_add_u32_e32 v19, s4, v19
	v_add_co_u32_e32 v2, vcc, s0, v4
	s_mov_b32 s7, s6
	v_mov_b32_e32 v6, s6
	v_lshlrev_b64 v[0:1], 3, v[19:20]
	v_addc_co_u32_e32 v3, vcc, v61, v5, vcc
	v_mov_b32_e32 v7, s7
	global_store_dwordx2 v[2:3], v[6:7], off
	buffer_store_dword v0, off, s[20:23], 0 ; 4-byte Folded Spill
	s_nop 0
	buffer_store_dword v1, off, s[20:23], 0 offset:4 ; 4-byte Folded Spill
	s_mul_i32 s1, s4, 0x55
	v_add_u32_e32 v19, s1, v19
	s_mul_i32 s1, s4, 0xffffff54
	s_mul_i32 s15, s4, 10
	;; [unrolled: 1-line block ×3, first 2 shown]
	v_mov_b32_e32 v42, s9
	s_lshl_b32 s3, s4, 1
	s_mul_i32 s9, s4, 30
	s_mul_i32 s14, s4, 0xffffffb5
	v_add_co_u32_e32 v2, vcc, s0, v0
	v_addc_co_u32_e32 v3, vcc, v61, v1, vcc
	v_lshlrev_b64 v[0:1], 3, v[19:20]
	global_store_dwordx2 v[2:3], v[6:7], off
	buffer_store_dword v0, off, s[20:23], 0 offset:96 ; 4-byte Folded Spill
	s_nop 0
	buffer_store_dword v1, off, s[20:23], 0 offset:100 ; 4-byte Folded Spill
	v_add_co_u32_e32 v2, vcc, s0, v0
	v_addc_co_u32_e32 v3, vcc, v61, v1, vcc
	global_store_dwordx2 v[2:3], v[6:7], off
	v_mad_u64_u32 v[2:3], s[6:7], s4, 36, v[19:20]
	v_mov_b32_e32 v3, v20
	s_mul_i32 s6, s4, 15
	v_lshlrev_b64 v[0:1], 3, v[2:3]
	buffer_store_dword v0, off, s[20:23], 0 offset:104 ; 4-byte Folded Spill
	s_nop 0
	buffer_store_dword v1, off, s[20:23], 0 offset:108 ; 4-byte Folded Spill
	v_add_u32_e32 v19, s6, v2
	s_mul_i32 s7, s4, 3
	v_add_co_u32_e32 v8, vcc, s0, v0
	v_addc_co_u32_e32 v9, vcc, v61, v1, vcc
	v_lshlrev_b64 v[0:1], 3, v[19:20]
	global_store_dwordx2 v[8:9], v[6:7], off
	buffer_store_dword v0, off, s[20:23], 0 offset:304 ; 4-byte Folded Spill
	s_nop 0
	buffer_store_dword v1, off, s[20:23], 0 offset:308 ; 4-byte Folded Spill
	v_add_co_u32_e32 v2, vcc, s2, v0
	v_addc_co_u32_e32 v3, vcc, v60, v1, vcc
	global_store_dwordx2 v[2:3], v[6:7], off
	v_mad_u64_u32 v[2:3], s[10:11], s4, 12, v[19:20]
	v_mov_b32_e32 v3, v20
	s_mul_i32 s10, s4, 37
	v_lshlrev_b64 v[0:1], 3, v[2:3]
	buffer_store_dword v0, off, s[20:23], 0 offset:136 ; 4-byte Folded Spill
	s_nop 0
	buffer_store_dword v1, off, s[20:23], 0 offset:140 ; 4-byte Folded Spill
	v_add_u32_e32 v19, s1, v2
	s_mul_i32 s11, s4, 6
	s_mul_i32 s1, s4, 0xffffffcf
	v_add_co_u32_e32 v8, vcc, s0, v0
	v_addc_co_u32_e32 v9, vcc, v61, v1, vcc
	v_lshlrev_b64 v[0:1], 3, v[19:20]
	v_add_u32_e32 v19, s4, v19
	global_store_dwordx2 v[8:9], v[6:7], off
	v_add_co_u32_e32 v2, vcc, s0, v0
	v_lshlrev_b64 v[6:7], 3, v[19:20]
	v_addc_co_u32_e32 v3, vcc, v61, v1, vcc
	v_mov_b32_e32 v24, v1
	v_mov_b32_e32 v23, v0
	v_add_co_u32_e32 v0, vcc, s0, v6
	v_addc_co_u32_e32 v1, vcc, v61, v7, vcc
	global_load_dwordx2 v[2:3], v[2:3], off
	s_nop 0
	buffer_store_dword v0, off, s[20:23], 0 offset:176 ; 4-byte Folded Spill
	s_nop 0
	buffer_store_dword v1, off, s[20:23], 0 offset:180 ; 4-byte Folded Spill
	v_mov_b32_e32 v22, v7
	v_mov_b32_e32 v21, v6
	v_add_u32_e32 v19, s4, v19
	global_load_dwordx2 v[6:7], v[0:1], off
	s_waitcnt vmcnt(0)
	v_add_f64 v[2:3], v[2:3], v[6:7]
	v_lshlrev_b64 v[6:7], 3, v[19:20]
	v_add_u32_e32 v19, s4, v19
	v_add_co_u32_e32 v8, vcc, s0, v6
	v_addc_co_u32_e32 v9, vcc, v61, v7, vcc
	global_load_dwordx2 v[0:1], v[8:9], off
	s_waitcnt vmcnt(0)
	buffer_store_dword v0, off, s[20:23], 0 offset:32 ; 4-byte Folded Spill
	s_nop 0
	buffer_store_dword v1, off, s[20:23], 0 offset:36 ; 4-byte Folded Spill
	v_add_f64 v[2:3], v[2:3], v[0:1]
	v_lshlrev_b64 v[0:1], 3, v[19:20]
	v_add_u32_e32 v19, s4, v19
	v_add_co_u32_e32 v8, vcc, s0, v0
	v_addc_co_u32_e32 v9, vcc, v61, v1, vcc
	global_load_dwordx2 v[8:9], v[8:9], off
	v_mov_b32_e32 v26, v1
	v_mov_b32_e32 v25, v0
	s_waitcnt vmcnt(0)
	v_add_f64 v[2:3], v[2:3], v[8:9]
	v_lshlrev_b64 v[8:9], 3, v[19:20]
	v_add_u32_e32 v19, s4, v19
	v_add_co_u32_e32 v0, vcc, s0, v8
	v_addc_co_u32_e32 v1, vcc, v61, v9, vcc
	buffer_store_dword v0, off, s[20:23], 0 offset:168 ; 4-byte Folded Spill
	s_nop 0
	buffer_store_dword v1, off, s[20:23], 0 offset:172 ; 4-byte Folded Spill
	v_mov_b32_e32 v28, v9
	v_mov_b32_e32 v27, v8
	global_load_dwordx2 v[8:9], v[0:1], off
	v_lshlrev_b64 v[0:1], 3, v[19:20]
	v_add_u32_e32 v19, s4, v19
	v_mov_b32_e32 v30, v1
	v_mov_b32_e32 v29, v0
	s_waitcnt vmcnt(0)
	v_add_f64 v[2:3], v[2:3], v[8:9]
	v_add_co_u32_e32 v8, vcc, s0, v0
	v_addc_co_u32_e32 v9, vcc, v61, v1, vcc
	global_load_dwordx2 v[8:9], v[8:9], off
	s_waitcnt vmcnt(0)
	v_add_f64 v[2:3], v[2:3], v[8:9]
	v_lshlrev_b64 v[8:9], 3, v[19:20]
	v_add_u32_e32 v19, s10, v19
	v_add_co_u32_e32 v0, vcc, s0, v8
	v_addc_co_u32_e32 v1, vcc, v61, v9, vcc
	buffer_store_dword v0, off, s[20:23], 0 offset:152 ; 4-byte Folded Spill
	s_nop 0
	buffer_store_dword v1, off, s[20:23], 0 offset:156 ; 4-byte Folded Spill
	global_load_dwordx2 v[10:11], v[0:1], off
	v_lshlrev_b64 v[0:1], 3, v[19:20]
	v_add_u32_e32 v19, s15, v19
	v_mov_b32_e32 v18, v1
	v_mov_b32_e32 v17, v0
	s_waitcnt vmcnt(0)
	v_add_f64 v[2:3], v[2:3], v[10:11]
	v_add_co_u32_e32 v10, vcc, s0, v0
	v_addc_co_u32_e32 v11, vcc, v61, v1, vcc
	global_load_dwordx2 v[10:11], v[10:11], off
	s_waitcnt vmcnt(0)
	v_add_f64 v[2:3], v[2:3], v[10:11]
	v_lshlrev_b64 v[10:11], 3, v[19:20]
	v_add_co_u32_e32 v0, vcc, s0, v10
	v_addc_co_u32_e32 v1, vcc, v61, v11, vcc
	buffer_store_dword v0, off, s[20:23], 0 offset:128 ; 4-byte Folded Spill
	s_nop 0
	buffer_store_dword v1, off, s[20:23], 0 offset:132 ; 4-byte Folded Spill
	global_load_dwordx2 v[12:13], v[0:1], off
	s_waitcnt vmcnt(0)
	v_add_f64 v[2:3], v[2:3], v[12:13]
	v_mad_u64_u32 v[12:13], s[12:13], s4, 18, v[19:20]
	v_mov_b32_e32 v13, v20
	v_lshlrev_b64 v[13:14], 3, v[12:13]
	v_add_u32_e32 v19, s11, v12
	v_add_co_u32_e32 v15, vcc, s0, v13
	v_addc_co_u32_e32 v16, vcc, v61, v14, vcc
	global_load_dwordx2 v[15:16], v[15:16], off
	v_lshlrev_b64 v[32:33], 3, v[19:20]
	v_add_u32_e32 v19, s5, v19
	v_lshlrev_b64 v[34:35], 3, v[19:20]
	v_add_u32_e32 v19, s11, v19
	;; [unrolled: 2-line block ×3, first 2 shown]
	s_mul_i32 s1, s4, 0xffffff96
	s_waitcnt vmcnt(0)
	v_add_f64 v[2:3], v[2:3], v[15:16]
	v_add_co_u32_e32 v15, vcc, s0, v32
	v_addc_co_u32_e32 v16, vcc, v61, v33, vcc
	global_load_dwordx2 v[15:16], v[15:16], off
	s_waitcnt vmcnt(0)
	v_add_f64 v[2:3], v[2:3], v[15:16]
	v_add_co_u32_e32 v15, vcc, s2, v34
	v_addc_co_u32_e32 v16, vcc, v60, v35, vcc
	global_load_dwordx2 v[0:1], v[15:16], off
	s_waitcnt vmcnt(0)
	buffer_store_dword v0, off, s[20:23], 0 offset:40 ; 4-byte Folded Spill
	s_nop 0
	buffer_store_dword v1, off, s[20:23], 0 offset:44 ; 4-byte Folded Spill
	v_add_f64 v[2:3], v[2:3], v[0:1]
	v_add_co_u32_e32 v0, vcc, s2, v36
	v_addc_co_u32_e32 v1, vcc, v60, v37, vcc
	buffer_store_dword v0, off, s[20:23], 0 offset:88 ; 4-byte Folded Spill
	s_nop 0
	buffer_store_dword v1, off, s[20:23], 0 offset:92 ; 4-byte Folded Spill
	global_load_dwordx2 v[15:16], v[0:1], off
	s_nop 0
	buffer_store_dword v23, off, s[20:23], 0 offset:112 ; 4-byte Folded Spill
	s_nop 0
	buffer_store_dword v24, off, s[20:23], 0 offset:116 ; 4-byte Folded Spill
	s_waitcnt vmcnt(2)
	v_add_f64 v[2:3], v[2:3], v[15:16]
	v_add_co_u32_e32 v15, vcc, s2, v23
	v_addc_co_u32_e32 v16, vcc, v60, v24, vcc
	global_load_dwordx2 v[15:16], v[15:16], off
	s_nop 0
	buffer_store_dword v25, off, s[20:23], 0 offset:72 ; 4-byte Folded Spill
	s_nop 0
	buffer_store_dword v26, off, s[20:23], 0 offset:76 ; 4-byte Folded Spill
	v_add_co_u32_e32 v38, vcc, s2, v25
	v_addc_co_u32_e32 v39, vcc, v60, v26, vcc
	global_load_dwordx2 v[38:39], v[38:39], off
	s_nop 0
	buffer_store_dword v29, off, s[20:23], 0 offset:48 ; 4-byte Folded Spill
	s_nop 0
	buffer_store_dword v30, off, s[20:23], 0 offset:52 ; 4-byte Folded Spill
	s_waitcnt vmcnt(2)
	v_add_f64 v[15:16], v[15:16], v[38:39]
	v_add_co_u32_e32 v38, vcc, s2, v29
	v_addc_co_u32_e32 v39, vcc, v60, v30, vcc
	global_load_dwordx2 v[38:39], v[38:39], off
	v_add_co_u32_e32 v4, vcc, s2, v4
	v_addc_co_u32_e32 v5, vcc, v60, v5, vcc
	global_load_dwordx2 v[49:50], v[4:5], off
	s_nop 0
	buffer_store_dword v17, off, s[20:23], 0 offset:144 ; 4-byte Folded Spill
	s_nop 0
	buffer_store_dword v18, off, s[20:23], 0 offset:148 ; 4-byte Folded Spill
	s_waitcnt vmcnt(3)
	v_add_f64 v[38:39], v[15:16], v[38:39]
	s_waitcnt vmcnt(2)
	v_add_f64 v[4:5], v[38:39], v[49:50]
	v_add_co_u32_e32 v38, vcc, s2, v17
	v_addc_co_u32_e32 v39, vcc, v60, v18, vcc
	global_load_dwordx2 v[38:39], v[38:39], off
	v_add_co_u32_e32 v12, vcc, s2, v13
	v_addc_co_u32_e32 v13, vcc, v60, v14, vcc
	global_load_dwordx2 v[12:13], v[12:13], off
	s_waitcnt vmcnt(1)
	v_add_f64 v[4:5], v[4:5], v[38:39]
	s_waitcnt vmcnt(0)
	v_add_f64 v[4:5], v[4:5], v[12:13]
	v_add_co_u32_e32 v12, vcc, s2, v32
	v_addc_co_u32_e32 v13, vcc, v60, v33, vcc
	global_load_dwordx2 v[12:13], v[12:13], off
	s_waitcnt vmcnt(0)
	v_add_f64 v[4:5], v[4:5], v[12:13]
	v_div_scale_f64 v[12:13], s[12:13], v[2:3], v[2:3], 1.0
	v_rcp_f64_e32 v[14:15], v[12:13]
	v_fma_f64 v[32:33], -v[12:13], v[14:15], 1.0
	v_fma_f64 v[14:15], v[14:15], v[32:33], v[14:15]
	v_fma_f64 v[32:33], -v[12:13], v[14:15], 1.0
	v_fma_f64 v[14:15], v[14:15], v[32:33], v[14:15]
	v_div_scale_f64 v[32:33], vcc, 1.0, v[2:3], 1.0
	v_mul_f64 v[38:39], v[32:33], v[14:15]
	v_fma_f64 v[12:13], -v[12:13], v[38:39], v[32:33]
	s_nop 1
	v_div_fmas_f64 v[12:13], v[12:13], v[14:15], v[38:39]
	v_div_fixup_f64 v[2:3], v[12:13], v[2:3], 1.0
	v_lshlrev_b64 v[12:13], 3, v[19:20]
	v_add_u32_e32 v19, s3, v19
	v_add_co_u32_e32 v12, vcc, s8, v12
	v_addc_co_u32_e32 v13, vcc, v42, v13, vcc
	v_lshlrev_b64 v[14:15], 3, v[19:20]
	v_mul_f64 v[4:5], v[2:3], v[4:5]
	v_add_u32_e32 v19, s4, v19
	global_store_dwordx2 v[12:13], v[4:5], off
	v_add_co_u32_e32 v4, vcc, s2, v6
	v_addc_co_u32_e32 v5, vcc, v60, v7, vcc
	v_add_co_u32_e32 v6, vcc, s0, v34
	v_addc_co_u32_e32 v7, vcc, v61, v35, vcc
	global_load_dwordx2 v[0:1], v[4:5], off
	v_add_co_u32_e32 v14, vcc, s8, v14
	global_load_dwordx2 v[4:5], v[6:7], off
	v_addc_co_u32_e32 v15, vcc, v42, v15, vcc
	s_waitcnt vmcnt(0)
	v_add_f64 v[6:7], v[0:1], v[4:5]
	v_mul_f64 v[6:7], v[2:3], v[6:7]
	global_store_dwordx2 v[14:15], v[6:7], off
	v_add_co_u32_e32 v6, vcc, s0, v36
	v_addc_co_u32_e32 v7, vcc, v61, v37, vcc
	global_load_dwordx2 v[6:7], v[6:7], off
	s_waitcnt vmcnt(0)
	buffer_store_dword v6, off, s[20:23], 0 offset:56 ; 4-byte Folded Spill
	s_nop 0
	buffer_store_dword v7, off, s[20:23], 0 offset:60 ; 4-byte Folded Spill
	v_lshlrev_b64 v[14:15], 3, v[19:20]
	v_add_u32_e32 v19, s4, v19
	v_add_co_u32_e32 v14, vcc, s8, v14
	v_addc_co_u32_e32 v15, vcc, v42, v15, vcc
	v_mul_f64 v[6:7], v[2:3], v[6:7]
	global_store_dwordx2 v[14:15], v[6:7], off
	buffer_store_dword v21, off, s[20:23], 0 offset:328 ; 4-byte Folded Spill
	s_nop 0
	buffer_store_dword v22, off, s[20:23], 0 offset:332 ; 4-byte Folded Spill
	v_add_co_u32_e32 v6, vcc, s2, v21
	v_addc_co_u32_e32 v7, vcc, v60, v22, vcc
	buffer_store_dword v6, off, s[20:23], 0 offset:16 ; 4-byte Folded Spill
	s_nop 0
	buffer_store_dword v7, off, s[20:23], 0 offset:20 ; 4-byte Folded Spill
	global_load_dwordx2 v[6:7], v[6:7], off
	s_nop 0
	buffer_store_dword v27, off, s[20:23], 0 offset:320 ; 4-byte Folded Spill
	s_nop 0
	buffer_store_dword v28, off, s[20:23], 0 offset:324 ; 4-byte Folded Spill
	v_add_co_u32_e32 v12, vcc, s2, v27
	v_addc_co_u32_e32 v13, vcc, v60, v28, vcc
	buffer_store_dword v12, off, s[20:23], 0 offset:120 ; 4-byte Folded Spill
	s_nop 0
	buffer_store_dword v13, off, s[20:23], 0 offset:124 ; 4-byte Folded Spill
	v_add_co_u32_e32 v8, vcc, s2, v8
	v_addc_co_u32_e32 v9, vcc, v60, v9, vcc
	global_load_dwordx2 v[14:15], v[12:13], off
	s_nop 0
	buffer_store_dword v8, off, s[20:23], 0 offset:312 ; 4-byte Folded Spill
	s_nop 0
	buffer_store_dword v9, off, s[20:23], 0 offset:316 ; 4-byte Folded Spill
	global_load_dwordx2 v[8:9], v[8:9], off
	s_waitcnt vmcnt(3)
	v_add_f64 v[6:7], v[6:7], v[14:15]
	s_waitcnt vmcnt(0)
	v_add_f64 v[6:7], v[6:7], v[8:9]
	v_lshlrev_b64 v[8:9], 3, v[19:20]
	v_add_u32_e32 v19, s7, v19
	v_add_co_u32_e32 v8, vcc, s8, v8
	v_addc_co_u32_e32 v9, vcc, v42, v9, vcc
	v_mul_f64 v[6:7], v[2:3], v[6:7]
	global_store_dwordx2 v[8:9], v[6:7], off
	v_add_co_u32_e32 v6, vcc, s2, v10
	v_addc_co_u32_e32 v7, vcc, v60, v11, vcc
	buffer_store_dword v6, off, s[20:23], 0 offset:160 ; 4-byte Folded Spill
	s_nop 0
	buffer_store_dword v7, off, s[20:23], 0 offset:164 ; 4-byte Folded Spill
	global_load_dwordx2 v[6:7], v[6:7], off
	s_waitcnt vmcnt(0)
	v_mul_f64 v[2:3], v[2:3], v[6:7]
	v_lshlrev_b64 v[6:7], 3, v[19:20]
	v_add_u32_e32 v19, s9, v19
	v_add_co_u32_e32 v6, vcc, s8, v6
	v_lshlrev_b64 v[21:22], 3, v[19:20]
	v_addc_co_u32_e32 v7, vcc, v42, v7, vcc
	v_add_u32_e32 v19, s4, v19
	global_store_dwordx2 v[6:7], v[2:3], off
	v_add_co_u32_e32 v2, vcc, s0, v21
	v_lshlrev_b64 v[15:16], 3, v[19:20]
	v_addc_co_u32_e32 v3, vcc, v61, v22, vcc
	v_add_u32_e32 v19, s4, v19
	v_add_co_u32_e32 v10, vcc, s0, v15
	v_lshlrev_b64 v[52:53], 3, v[19:20]
	v_addc_co_u32_e32 v11, vcc, v61, v16, vcc
	global_load_dwordx2 v[8:9], v[2:3], off
	v_add_u32_e32 v19, s4, v19
	global_load_dwordx2 v[10:11], v[10:11], off
	v_add_co_u32_e32 v2, vcc, s0, v52
	v_addc_co_u32_e32 v3, vcc, v61, v53, vcc
	buffer_store_dword v2, off, s[20:23], 0 offset:224 ; 4-byte Folded Spill
	s_nop 0
	buffer_store_dword v3, off, s[20:23], 0 offset:228 ; 4-byte Folded Spill
	v_lshlrev_b64 v[40:41], 3, v[19:20]
	v_add_u32_e32 v19, s4, v19
	v_lshlrev_b64 v[31:32], 3, v[19:20]
	v_add_u32_e32 v19, s4, v19
	;; [unrolled: 2-line block ×4, first 2 shown]
	v_lshlrev_b64 v[6:7], 3, v[19:20]
	s_waitcnt vmcnt(2)
	v_add_f64 v[8:9], v[8:9], v[10:11]
	global_load_dwordx2 v[10:11], v[2:3], off
	v_add_co_u32_e32 v2, vcc, s0, v40
	v_addc_co_u32_e32 v3, vcc, v61, v41, vcc
	buffer_store_dword v2, off, s[20:23], 0 offset:232 ; 4-byte Folded Spill
	s_nop 0
	buffer_store_dword v3, off, s[20:23], 0 offset:236 ; 4-byte Folded Spill
	s_waitcnt vmcnt(2)
	v_add_f64 v[8:9], v[8:9], v[10:11]
	global_load_dwordx2 v[10:11], v[2:3], off
	s_waitcnt vmcnt(0)
	v_add_f64 v[8:9], v[8:9], v[10:11]
	v_add_co_u32_e32 v10, vcc, s0, v31
	v_addc_co_u32_e32 v11, vcc, v61, v32, vcc
	global_load_dwordx2 v[10:11], v[10:11], off
	s_waitcnt vmcnt(0)
	v_add_f64 v[8:9], v[8:9], v[10:11]
	v_add_co_u32_e32 v10, vcc, s0, v38
	v_addc_co_u32_e32 v11, vcc, v61, v39, vcc
	;; [unrolled: 5-line block ×3, first 2 shown]
	global_load_dwordx2 v[10:11], v[10:11], off
	v_add_f64 v[8:9], v[4:5], v[8:9]
	s_waitcnt vmcnt(0)
	v_add_f64 v[8:9], v[10:11], v[8:9]
	v_add_co_u32_e32 v10, vcc, s0, v6
	v_addc_co_u32_e32 v11, vcc, v61, v7, vcc
	global_load_dwordx2 v[10:11], v[10:11], off
	s_waitcnt vmcnt(0)
	v_add_f64 v[8:9], v[10:11], v[8:9]
	v_mad_u64_u32 v[10:11], s[12:13], s4, 35, v[19:20]
	v_mov_b32_e32 v11, v20
	v_lshlrev_b64 v[27:28], 3, v[10:11]
	v_add_u32_e32 v19, s6, v10
	v_add_co_u32_e32 v11, vcc, s0, v27
	v_addc_co_u32_e32 v12, vcc, v61, v28, vcc
	global_load_dwordx2 v[11:12], v[11:12], off
	v_lshlrev_b64 v[29:30], 3, v[19:20]
	v_add_u32_e32 v19, s11, v19
	v_add_co_u32_e32 v10, vcc, s0, v29
	v_lshlrev_b64 v[54:55], 3, v[19:20]
	s_waitcnt vmcnt(0)
	v_add_f64 v[8:9], v[11:12], v[8:9]
	v_addc_co_u32_e32 v11, vcc, v61, v30, vcc
	v_add_co_u32_e32 v2, vcc, s0, v54
	global_load_dwordx2 v[10:11], v[10:11], off
	v_addc_co_u32_e32 v3, vcc, v61, v55, vcc
	buffer_store_dword v2, off, s[20:23], 0 offset:64 ; 4-byte Folded Spill
	s_nop 0
	buffer_store_dword v3, off, s[20:23], 0 offset:68 ; 4-byte Folded Spill
	s_waitcnt vmcnt(2)
	v_add_f64 v[8:9], v[10:11], v[8:9]
	global_load_dwordx2 v[10:11], v[2:3], off
	s_waitcnt vmcnt(0)
	v_add_f64 v[8:9], v[10:11], v[8:9]
	v_mad_u64_u32 v[10:11], s[12:13], s4, 53, v[19:20]
	v_mov_b32_e32 v11, v20
	s_mul_i32 s12, s4, 11
	v_lshlrev_b64 v[13:14], 3, v[10:11]
	v_add_u32_e32 v19, s1, v10
	v_add_co_u32_e32 v11, vcc, s0, v13
	v_addc_co_u32_e32 v12, vcc, v61, v14, vcc
	global_load_dwordx2 v[11:12], v[11:12], off
	v_lshlrev_b64 v[23:24], 3, v[19:20]
	s_lshl_b32 s1, s4, 3
	v_add_co_u32_e32 v47, vcc, s2, v23
	v_addc_co_u32_e32 v48, vcc, v60, v24, vcc
	v_add_u32_e32 v19, s1, v19
	s_mul_i32 s13, s4, 0xffffff9a
	s_waitcnt vmcnt(0)
	v_add_f64 v[8:9], v[11:12], v[8:9]
	global_load_dwordx2 v[10:11], v[47:48], off
	v_add_f64 v[8:9], v[0:1], v[8:9]
	s_waitcnt vmcnt(0)
	v_add_f64 v[8:9], v[10:11], v[8:9]
	v_lshlrev_b64 v[10:11], 3, v[19:20]
	v_add_u32_e32 v19, s4, v19
	v_add_co_u32_e32 v45, vcc, s2, v10
	v_lshlrev_b64 v[35:36], 3, v[19:20]
	v_addc_co_u32_e32 v46, vcc, v60, v11, vcc
	v_add_co_u32_e32 v0, vcc, s2, v35
	global_load_dwordx2 v[17:18], v[45:46], off
	v_addc_co_u32_e32 v1, vcc, v60, v36, vcc
	buffer_store_dword v0, off, s[20:23], 0 offset:336 ; 4-byte Folded Spill
	s_nop 0
	buffer_store_dword v1, off, s[20:23], 0 offset:340 ; 4-byte Folded Spill
	v_add_u32_e32 v19, s4, v19
	v_lshlrev_b64 v[33:34], 3, v[19:20]
	v_add_u32_e32 v19, s12, v19
	v_add_co_u32_e32 v43, vcc, s2, v33
	v_addc_co_u32_e32 v44, vcc, v60, v34, vcc
	v_lshlrev_b64 v[2:3], 3, v[19:20]
	v_add_u32_e32 v19, s10, v19
	v_lshlrev_b64 v[4:5], 3, v[19:20]
	v_add_u32_e32 v19, s11, v19
	s_waitcnt vmcnt(2)
	v_add_f64 v[8:9], v[17:18], v[8:9]
	global_load_dwordx2 v[17:18], v[0:1], off
	s_waitcnt vmcnt(0)
	v_add_f64 v[8:9], v[17:18], v[8:9]
	global_load_dwordx2 v[17:18], v[43:44], off
	s_waitcnt vmcnt(0)
	v_add_f64 v[8:9], v[17:18], v[8:9]
	v_add_co_u32_e32 v17, vcc, s2, v2
	v_addc_co_u32_e32 v18, vcc, v60, v3, vcc
	global_load_dwordx2 v[17:18], v[17:18], off
	s_waitcnt vmcnt(0)
	v_add_f64 v[8:9], v[17:18], v[8:9]
	v_add_co_u32_e32 v17, vcc, s2, v4
	v_addc_co_u32_e32 v18, vcc, v60, v5, vcc
	global_load_dwordx2 v[17:18], v[17:18], off
	s_waitcnt vmcnt(0)
	v_add_f64 v[8:9], v[17:18], v[8:9]
	v_lshlrev_b64 v[17:18], 3, v[19:20]
	v_add_u32_e32 v19, s3, v19
	v_add_co_u32_e32 v0, vcc, s2, v17
	v_addc_co_u32_e32 v1, vcc, v60, v18, vcc
	buffer_store_dword v0, off, s[20:23], 0 offset:184 ; 4-byte Folded Spill
	s_nop 0
	buffer_store_dword v1, off, s[20:23], 0 offset:188 ; 4-byte Folded Spill
	global_load_dwordx2 v[62:63], v[0:1], off
	s_waitcnt vmcnt(0)
	v_add_f64 v[62:63], v[62:63], v[8:9]
	v_lshlrev_b64 v[8:9], 3, v[19:20]
	v_add_co_u32_e32 v0, vcc, s2, v8
	v_addc_co_u32_e32 v1, vcc, v60, v9, vcc
	buffer_store_dword v0, off, s[20:23], 0 offset:192 ; 4-byte Folded Spill
	s_nop 0
	buffer_store_dword v1, off, s[20:23], 0 offset:196 ; 4-byte Folded Spill
	global_load_dwordx2 v[58:59], v[0:1], off
	s_waitcnt vmcnt(0)
	v_add_f64 v[58:59], v[58:59], v[62:63]
	v_mad_u64_u32 v[62:63], s[16:17], s4, 5, v[19:20]
	v_mov_b32_e32 v63, v20
	v_lshlrev_b64 v[0:1], 3, v[62:63]
	v_add_u32_e32 v19, s9, v62
	v_add_co_u32_e32 v56, vcc, s2, v0
	v_addc_co_u32_e32 v57, vcc, v60, v1, vcc
	global_load_dwordx2 v[56:57], v[56:57], off
	s_mul_i32 s9, s4, 0xffffff76
	s_waitcnt vmcnt(0)
	v_add_f64 v[56:57], v[56:57], v[58:59]
	v_lshlrev_b64 v[58:59], 3, v[19:20]
	v_add_u32_e32 v19, s9, v19
	v_add_co_u32_e32 v62, vcc, s2, v58
	v_addc_co_u32_e32 v63, vcc, v60, v59, vcc
	v_add_co_u32_e32 v21, vcc, s2, v21
	v_addc_co_u32_e32 v22, vcc, v60, v22, vcc
	;; [unrolled: 2-line block ×3, first 2 shown]
	global_load_dwordx2 v[62:63], v[62:63], off
	s_lshl_b32 s9, s4, 2
	global_load_dwordx2 v[21:22], v[21:22], off
	s_waitcnt vmcnt(1)
	v_add_f64 v[56:57], v[62:63], v[56:57]
	global_load_dwordx2 v[15:16], v[15:16], off
	s_nop 0
	buffer_store_dword v31, off, s[20:23], 0 offset:280 ; 4-byte Folded Spill
	s_nop 0
	buffer_store_dword v32, off, s[20:23], 0 offset:284 ; 4-byte Folded Spill
	s_waitcnt vmcnt(2)
	v_add_f64 v[15:16], v[21:22], v[15:16]
	v_add_co_u32_e32 v21, vcc, s2, v31
	v_addc_co_u32_e32 v22, vcc, v60, v32, vcc
	global_load_dwordx2 v[21:22], v[21:22], off
	s_nop 0
	buffer_store_dword v38, off, s[20:23], 0 offset:272 ; 4-byte Folded Spill
	s_nop 0
	buffer_store_dword v39, off, s[20:23], 0 offset:276 ; 4-byte Folded Spill
	s_waitcnt vmcnt(2)
	v_add_f64 v[15:16], v[15:16], v[21:22]
	v_add_co_u32_e32 v21, vcc, s2, v38
	v_addc_co_u32_e32 v22, vcc, v60, v39, vcc
	;; [unrolled: 9-line block ×3, first 2 shown]
	global_load_dwordx2 v[21:22], v[21:22], off
	v_add_co_u32_e32 v6, vcc, s2, v6
	v_addc_co_u32_e32 v7, vcc, v60, v7, vcc
	global_load_dwordx2 v[6:7], v[6:7], off
	v_mov_b32_e32 v25, v42
	s_waitcnt vmcnt(1)
	v_add_f64 v[15:16], v[15:16], v[21:22]
	s_waitcnt vmcnt(0)
	v_add_f64 v[6:7], v[15:16], v[6:7]
	buffer_load_dword v15, off, s[20:23], 0 ; 4-byte Folded Reload
	buffer_load_dword v16, off, s[20:23], 0 offset:4 ; 4-byte Folded Reload
	v_add_f64 v[6:7], v[49:50], v[6:7]
	s_waitcnt vmcnt(1)
	v_add_co_u32_e32 v15, vcc, s2, v15
	s_waitcnt vmcnt(0)
	v_addc_co_u32_e32 v16, vcc, v60, v16, vcc
	global_load_dwordx2 v[15:16], v[15:16], off
	v_add_co_u32_e32 v2, vcc, s0, v2
	v_addc_co_u32_e32 v3, vcc, v61, v3, vcc
	global_load_dwordx2 v[2:3], v[2:3], off
	s_nop 0
	buffer_store_dword v27, off, s[20:23], 0 offset:24 ; 4-byte Folded Spill
	s_nop 0
	buffer_store_dword v28, off, s[20:23], 0 offset:28 ; 4-byte Folded Spill
	s_waitcnt vmcnt(3)
	v_add_f64 v[6:7], v[15:16], v[6:7]
	v_add_f64 v[6:7], v[15:16], v[6:7]
	s_waitcnt vmcnt(2)
	v_add_f64 v[2:3], v[2:3], v[6:7]
	v_add_co_u32_e32 v6, vcc, s2, v27
	v_addc_co_u32_e32 v7, vcc, v60, v28, vcc
	global_load_dwordx2 v[6:7], v[6:7], off
	s_nop 0
	buffer_store_dword v29, off, s[20:23], 0 offset:8 ; 4-byte Folded Spill
	s_nop 0
	buffer_store_dword v30, off, s[20:23], 0 offset:12 ; 4-byte Folded Spill
	s_waitcnt vmcnt(2)
	v_add_f64 v[2:3], v[6:7], v[2:3]
	v_add_co_u32_e32 v6, vcc, s2, v29
	v_addc_co_u32_e32 v7, vcc, v60, v30, vcc
	global_load_dwordx2 v[6:7], v[6:7], off
	v_add_co_u32_e32 v4, vcc, s0, v4
	v_addc_co_u32_e32 v5, vcc, v61, v5, vcc
	global_load_dwordx2 v[4:5], v[4:5], off
	;; [unrolled: 3-line block ×3, first 2 shown]
	s_waitcnt vmcnt(2)
	v_add_f64 v[2:3], v[6:7], v[2:3]
	s_waitcnt vmcnt(1)
	v_add_f64 v[2:3], v[4:5], v[2:3]
	;; [unrolled: 2-line block ×3, first 2 shown]
	v_add_co_u32_e32 v2, vcc, s0, v58
	v_addc_co_u32_e32 v3, vcc, v61, v59, vcc
	global_load_dwordx2 v[2:3], v[2:3], off
	s_waitcnt vmcnt(0)
	v_add_f64 v[0:1], v[2:3], v[0:1]
	v_add_co_u32_e32 v2, vcc, s2, v13
	v_addc_co_u32_e32 v3, vcc, v60, v14, vcc
	global_load_dwordx2 v[2:3], v[2:3], off
	s_waitcnt vmcnt(0)
	v_add_f64 v[0:1], v[2:3], v[0:1]
	v_div_scale_f64 v[2:3], s[16:17], v[56:57], v[56:57], 1.0
	v_rcp_f64_e32 v[4:5], v[2:3]
	v_fma_f64 v[6:7], -v[2:3], v[4:5], 1.0
	v_fma_f64 v[4:5], v[4:5], v[6:7], v[4:5]
	v_fma_f64 v[6:7], -v[2:3], v[4:5], 1.0
	v_fma_f64 v[4:5], v[4:5], v[6:7], v[4:5]
	v_div_scale_f64 v[6:7], vcc, 1.0, v[56:57], 1.0
	v_mul_f64 v[12:13], v[6:7], v[4:5]
	v_fma_f64 v[2:3], -v[2:3], v[12:13], v[6:7]
	s_nop 1
	v_div_fmas_f64 v[2:3], v[2:3], v[4:5], v[12:13]
	v_lshlrev_b64 v[4:5], 3, v[19:20]
	v_add_u32_e32 v19, s4, v19
	v_add_co_u32_e32 v4, vcc, s8, v4
	v_addc_co_u32_e32 v5, vcc, v42, v5, vcc
	v_div_fixup_f64 v[2:3], v[2:3], v[56:57], 1.0
	v_mul_f64 v[0:1], v[2:3], v[0:1]
	global_store_dwordx2 v[4:5], v[0:1], off
	buffer_load_dword v0, off, s[20:23], 0 offset:32 ; 4-byte Folded Reload
	s_nop 0
	buffer_load_dword v1, off, s[20:23], 0 offset:36 ; 4-byte Folded Reload
	buffer_load_dword v4, off, s[20:23], 0 offset:40 ; 4-byte Folded Reload
	;; [unrolled: 1-line block ×3, first 2 shown]
	s_waitcnt vmcnt(0)
	v_add_f64 v[0:1], v[0:1], v[4:5]
	v_lshlrev_b64 v[4:5], 3, v[19:20]
	v_add_u32_e32 v19, s3, v19
	v_add_co_u32_e32 v4, vcc, s8, v4
	v_addc_co_u32_e32 v5, vcc, v42, v5, vcc
	v_lshlrev_b64 v[14:15], 3, v[19:20]
	v_mul_f64 v[0:1], v[0:1], v[2:3]
	v_add_u32_e32 v19, s4, v19
	global_store_dwordx2 v[4:5], v[0:1], off
	v_add_co_u32_e32 v0, vcc, s0, v23
	v_addc_co_u32_e32 v1, vcc, v61, v24, vcc
	v_add_co_u32_e32 v4, vcc, s0, v10
	v_addc_co_u32_e32 v5, vcc, v61, v11, vcc
	global_load_dwordx2 v[0:1], v[0:1], off
	s_nop 0
	global_load_dwordx2 v[4:5], v[4:5], off
	s_nop 0
	buffer_store_dword v35, off, s[20:23], 0 offset:216 ; 4-byte Folded Spill
	s_nop 0
	buffer_store_dword v36, off, s[20:23], 0 offset:220 ; 4-byte Folded Spill
	v_add_co_u32_e32 v10, vcc, s0, v35
	v_addc_co_u32_e32 v11, vcc, v61, v36, vcc
	global_load_dwordx2 v[10:11], v[10:11], off
	s_nop 0
	buffer_store_dword v33, off, s[20:23], 0 offset:208 ; 4-byte Folded Spill
	s_nop 0
	buffer_store_dword v34, off, s[20:23], 0 offset:212 ; 4-byte Folded Spill
	s_waitcnt vmcnt(5)
	v_add_f64 v[6:7], v[0:1], v[4:5]
	v_add_co_u32_e32 v12, vcc, s0, v33
	v_addc_co_u32_e32 v13, vcc, v61, v34, vcc
	global_load_dwordx2 v[12:13], v[12:13], off
	s_waitcnt vmcnt(3)
	v_add_f64 v[6:7], v[6:7], v[10:11]
	v_add_co_u32_e32 v14, vcc, s8, v14
	v_addc_co_u32_e32 v15, vcc, v42, v15, vcc
	v_add_co_u32_e32 v30, vcc, s2, v52
	v_addc_co_u32_e32 v31, vcc, v60, v53, vcc
	s_waitcnt vmcnt(0)
	v_add_f64 v[6:7], v[6:7], v[12:13]
	v_mul_f64 v[6:7], v[2:3], v[6:7]
	global_store_dwordx2 v[14:15], v[6:7], off
	global_load_dwordx2 v[14:15], v[30:31], off
	s_nop 0
	buffer_store_dword v40, off, s[20:23], 0 offset:288 ; 4-byte Folded Spill
	s_nop 0
	buffer_store_dword v41, off, s[20:23], 0 offset:292 ; 4-byte Folded Spill
	v_add_co_u32_e32 v26, vcc, s2, v40
	v_addc_co_u32_e32 v27, vcc, v60, v41, vcc
	global_load_dwordx2 v[21:22], v[26:27], off
	s_waitcnt vmcnt(0)
	v_add_f64 v[14:15], v[14:15], v[21:22]
	v_lshlrev_b64 v[21:22], 3, v[19:20]
	v_add_u32_e32 v19, s3, v19
	v_add_co_u32_e32 v21, vcc, s8, v21
	v_addc_co_u32_e32 v22, vcc, v42, v22, vcc
	v_add_co_u32_e32 v6, vcc, s0, v17
	v_mul_f64 v[14:15], v[2:3], v[14:15]
	v_addc_co_u32_e32 v7, vcc, v61, v18, vcc
	global_store_dwordx2 v[21:22], v[14:15], off
	buffer_store_dword v6, off, s[20:23], 0 offset:256 ; 4-byte Folded Spill
	s_nop 0
	buffer_store_dword v7, off, s[20:23], 0 offset:260 ; 4-byte Folded Spill
	global_load_dwordx2 v[14:15], v[6:7], off
	v_add_co_u32_e32 v6, vcc, s0, v8
	v_addc_co_u32_e32 v7, vcc, v61, v9, vcc
	buffer_store_dword v6, off, s[20:23], 0 offset:248 ; 4-byte Folded Spill
	s_nop 0
	buffer_store_dword v7, off, s[20:23], 0 offset:252 ; 4-byte Folded Spill
	global_load_dwordx2 v[8:9], v[6:7], off
	s_waitcnt vmcnt(0)
	v_add_f64 v[8:9], v[14:15], v[8:9]
	v_lshlrev_b64 v[14:15], 3, v[19:20]
	v_add_u32_e32 v19, s4, v19
	v_add_co_u32_e32 v14, vcc, s8, v14
	v_addc_co_u32_e32 v15, vcc, v42, v15, vcc
	v_add_co_u32_e32 v6, vcc, s2, v54
	v_mul_f64 v[8:9], v[2:3], v[8:9]
	v_addc_co_u32_e32 v7, vcc, v60, v55, vcc
	global_store_dwordx2 v[14:15], v[8:9], off
	buffer_store_dword v6, off, s[20:23], 0 offset:200 ; 4-byte Folded Spill
	s_nop 0
	buffer_store_dword v7, off, s[20:23], 0 offset:204 ; 4-byte Folded Spill
	global_load_dwordx2 v[8:9], v[6:7], off
	s_waitcnt vmcnt(0)
	v_mul_f64 v[2:3], v[2:3], v[8:9]
	v_lshlrev_b64 v[8:9], 3, v[19:20]
	v_lshl_add_u32 v19, s4, 5, v19
	v_add_co_u32_e32 v8, vcc, s8, v8
	v_addc_co_u32_e32 v9, vcc, v42, v9, vcc
	global_store_dwordx2 v[8:9], v[2:3], off
	buffer_load_dword v2, off, s[20:23], 0 offset:56 ; 4-byte Folded Reload
	s_nop 0
	buffer_load_dword v3, off, s[20:23], 0 offset:60 ; 4-byte Folded Reload
	v_lshlrev_b64 v[8:9], 3, v[19:20]
	v_add_u32_e32 v19, s4, v19
	v_lshlrev_b64 v[6:7], 3, v[19:20]
	v_add_u32_e32 v19, s4, v19
	s_waitcnt vmcnt(0)
	v_add_f64 v[0:1], v[2:3], v[0:1]
	v_add_co_u32_e32 v2, vcc, s0, v8
	v_addc_co_u32_e32 v3, vcc, v61, v9, vcc
	global_load_dwordx2 v[2:3], v[2:3], off
	s_waitcnt vmcnt(0)
	v_add_f64 v[0:1], v[0:1], v[2:3]
	v_add_co_u32_e32 v2, vcc, s0, v6
	v_addc_co_u32_e32 v3, vcc, v61, v7, vcc
	buffer_store_dword v2, off, s[20:23], 0 offset:296 ; 4-byte Folded Spill
	s_nop 0
	buffer_store_dword v3, off, s[20:23], 0 offset:300 ; 4-byte Folded Spill
	global_load_dwordx2 v[14:15], v[2:3], off
	s_waitcnt vmcnt(0)
	v_add_f64 v[0:1], v[0:1], v[14:15]
	v_lshlrev_b64 v[14:15], 3, v[19:20]
	v_add_u32_e32 v19, s4, v19
	v_add_co_u32_e32 v16, vcc, s0, v14
	v_addc_co_u32_e32 v17, vcc, v61, v15, vcc
	global_load_dwordx2 v[16:17], v[16:17], off
	s_waitcnt vmcnt(0)
	v_add_f64 v[0:1], v[0:1], v[16:17]
	v_lshlrev_b64 v[16:17], 3, v[19:20]
	v_add_u32_e32 v19, s4, v19
	v_add_co_u32_e32 v21, vcc, s0, v16
	v_addc_co_u32_e32 v22, vcc, v61, v17, vcc
	;; [unrolled: 7-line block ×3, first 2 shown]
	global_load_dwordx2 v[23:24], v[23:24], off
	v_lshlrev_b64 v[38:39], 3, v[19:20]
	v_add_u32_e32 v19, s9, v19
	s_waitcnt vmcnt(0)
	v_add_f64 v[0:1], v[0:1], v[23:24]
	v_add_co_u32_e32 v23, vcc, s0, v38
	v_addc_co_u32_e32 v24, vcc, v61, v39, vcc
	global_load_dwordx2 v[23:24], v[23:24], off
	s_waitcnt vmcnt(0)
	v_add_f64 v[0:1], v[0:1], v[23:24]
	v_add_f64 v[0:1], v[0:1], v[4:5]
	v_add_f64 v[0:1], v[0:1], v[10:11]
	v_lshlrev_b64 v[10:11], 3, v[19:20]
	v_add_co_u32_e32 v4, vcc, s0, v10
	v_addc_co_u32_e32 v5, vcc, v61, v11, vcc
	global_load_dwordx2 v[4:5], v[4:5], off
	v_add_f64 v[0:1], v[0:1], v[12:13]
	s_waitcnt vmcnt(0)
	v_add_f64 v[0:1], v[0:1], v[4:5]
	v_mad_u64_u32 v[4:5], s[16:17], s4, 22, v[19:20]
	v_mov_b32_e32 v5, v20
	v_lshlrev_b64 v[18:19], 3, v[4:5]
	v_add_co_u32_e32 v12, vcc, s0, v18
	v_addc_co_u32_e32 v13, vcc, v61, v19, vcc
	global_load_dwordx2 v[12:13], v[12:13], off
	v_mov_b32_e32 v41, v19
	v_mov_b32_e32 v40, v18
	v_add_u32_e32 v19, s6, v4
	s_waitcnt vmcnt(0)
	v_add_f64 v[0:1], v[0:1], v[12:13]
	v_lshlrev_b64 v[12:13], 3, v[19:20]
	v_mad_u64_u32 v[18:19], s[16:17], s4, 59, v[19:20]
	v_add_co_u32_e32 v4, vcc, s0, v12
	v_addc_co_u32_e32 v5, vcc, v61, v13, vcc
	global_load_dwordx2 v[4:5], v[4:5], off
	v_mov_b32_e32 v19, v20
	s_waitcnt vmcnt(0)
	v_add_f64 v[0:1], v[0:1], v[4:5]
	v_lshlrev_b64 v[4:5], 3, v[18:19]
	v_add_u32_e32 v19, s4, v18
	v_add_co_u32_e32 v2, vcc, s0, v4
	v_addc_co_u32_e32 v3, vcc, v61, v5, vcc
	buffer_store_dword v2, off, s[20:23], 0 offset:264 ; 4-byte Folded Spill
	s_nop 0
	buffer_store_dword v3, off, s[20:23], 0 offset:268 ; 4-byte Folded Spill
	global_load_dwordx2 v[23:24], v[2:3], off
	s_waitcnt vmcnt(0)
	v_add_f64 v[0:1], v[0:1], v[23:24]
	v_lshlrev_b64 v[23:24], 3, v[19:20]
	v_lshl_add_u32 v19, s4, 4, v19
	v_add_co_u32_e32 v50, vcc, s0, v23
	v_addc_co_u32_e32 v51, vcc, v61, v24, vcc
	global_load_dwordx2 v[50:51], v[50:51], off
	s_waitcnt vmcnt(0)
	v_add_f64 v[0:1], v[0:1], v[50:51]
	v_lshlrev_b64 v[50:51], 3, v[19:20]
	v_add_u32_e32 v19, s13, v19
	v_add_co_u32_e32 v54, vcc, s0, v50
	v_addc_co_u32_e32 v55, vcc, v61, v51, vcc
	buffer_store_dword v54, off, s[20:23], 0 offset:56 ; 4-byte Folded Spill
	s_nop 0
	buffer_store_dword v55, off, s[20:23], 0 offset:60 ; 4-byte Folded Spill
	v_lshlrev_b64 v[2:3], 3, v[19:20]
	s_mul_i32 s13, s4, 17
	v_add_u32_e32 v19, s13, v19
	v_lshlrev_b64 v[56:57], 3, v[19:20]
	v_add_u32_e32 v19, s15, v19
	v_mov_b32_e32 v63, v57
	v_mov_b32_e32 v62, v56
	global_load_dwordx2 v[54:55], v[54:55], off
	s_waitcnt vmcnt(0)
	v_add_f64 v[0:1], v[0:1], v[54:55]
	v_add_co_u32_e32 v54, vcc, s2, v2
	v_addc_co_u32_e32 v55, vcc, v60, v3, vcc
	global_load_dwordx2 v[54:55], v[54:55], off
	s_waitcnt vmcnt(0)
	v_add_f64 v[0:1], v[0:1], v[54:55]
	v_add_co_u32_e32 v54, vcc, s2, v56
	v_addc_co_u32_e32 v55, vcc, v60, v57, vcc
	global_load_dwordx2 v[56:57], v[54:55], off
	s_waitcnt vmcnt(0)
	v_add_f64 v[0:1], v[0:1], v[56:57]
	v_lshlrev_b64 v[56:57], 3, v[19:20]
	v_add_u32_e32 v19, s14, v19
	v_add_co_u32_e32 v58, vcc, s2, v56
	v_addc_co_u32_e32 v59, vcc, v60, v57, vcc
	v_add_co_u32_e32 v8, vcc, s2, v8
	v_addc_co_u32_e32 v9, vcc, v60, v9, vcc
	;; [unrolled: 2-line block ×3, first 2 shown]
	global_load_dwordx2 v[58:59], v[58:59], off
	s_mul_i32 s14, s4, 31
	global_load_dwordx2 v[8:9], v[8:9], off
	s_nop 0
	global_load_dwordx2 v[14:15], v[14:15], off
	s_waitcnt vmcnt(2)
	v_add_f64 v[0:1], v[0:1], v[58:59]
	s_waitcnt vmcnt(0)
	v_add_f64 v[8:9], v[8:9], v[14:15]
	v_add_co_u32_e32 v14, vcc, s2, v16
	v_addc_co_u32_e32 v15, vcc, v60, v17, vcc
	global_load_dwordx2 v[14:15], v[14:15], off
	s_waitcnt vmcnt(0)
	v_add_f64 v[8:9], v[8:9], v[14:15]
	v_add_co_u32_e32 v14, vcc, s2, v21
	v_addc_co_u32_e32 v15, vcc, v60, v22, vcc
	global_load_dwordx2 v[14:15], v[14:15], off
	;; [unrolled: 5-line block ×3, first 2 shown]
	v_add_co_u32_e32 v10, vcc, s2, v10
	v_addc_co_u32_e32 v11, vcc, v60, v11, vcc
	global_load_dwordx2 v[10:11], v[10:11], off
	s_nop 0
	buffer_store_dword v2, off, s[20:23], 0 offset:80 ; 4-byte Folded Spill
	s_nop 0
	buffer_store_dword v3, off, s[20:23], 0 offset:84 ; 4-byte Folded Spill
	s_waitcnt vmcnt(3)
	v_add_f64 v[8:9], v[8:9], v[14:15]
	s_waitcnt vmcnt(2)
	v_add_f64 v[8:9], v[8:9], v[10:11]
	v_add_co_u32_e32 v10, vcc, s0, v2
	v_addc_co_u32_e32 v11, vcc, v61, v3, vcc
	global_load_dwordx2 v[10:11], v[10:11], off
	s_nop 0
	buffer_store_dword v40, off, s[20:23], 0 offset:32 ; 4-byte Folded Spill
	s_nop 0
	buffer_store_dword v41, off, s[20:23], 0 offset:36 ; 4-byte Folded Spill
	s_waitcnt vmcnt(2)
	v_add_f64 v[8:9], v[8:9], v[10:11]
	v_add_co_u32_e32 v10, vcc, s2, v40
	v_addc_co_u32_e32 v11, vcc, v60, v41, vcc
	global_load_dwordx2 v[10:11], v[10:11], off
	s_waitcnt vmcnt(0)
	v_add_f64 v[8:9], v[8:9], v[10:11]
	v_add_co_u32_e32 v10, vcc, s2, v12
	v_addc_co_u32_e32 v11, vcc, v60, v13, vcc
	global_load_dwordx2 v[10:11], v[10:11], off
	;; [unrolled: 5-line block ×4, first 2 shown]
	s_waitcnt vmcnt(0)
	v_add_f64 v[8:9], v[8:9], v[10:11]
	v_div_scale_f64 v[10:11], s[16:17], v[0:1], v[0:1], 1.0
	v_rcp_f64_e32 v[12:13], v[10:11]
	v_fma_f64 v[14:15], -v[10:11], v[12:13], 1.0
	v_fma_f64 v[12:13], v[12:13], v[14:15], v[12:13]
	v_fma_f64 v[14:15], -v[10:11], v[12:13], 1.0
	v_fma_f64 v[12:13], v[12:13], v[14:15], v[12:13]
	v_div_scale_f64 v[14:15], vcc, 1.0, v[0:1], 1.0
	v_mul_f64 v[16:17], v[14:15], v[12:13]
	v_fma_f64 v[10:11], -v[10:11], v[16:17], v[14:15]
	s_nop 1
	v_div_fmas_f64 v[10:11], v[10:11], v[12:13], v[16:17]
	v_div_fixup_f64 v[0:1], v[10:11], v[0:1], 1.0
	v_lshlrev_b64 v[10:11], 3, v[19:20]
	v_add_u32_e32 v19, s1, v19
	v_add_co_u32_e32 v10, vcc, s8, v10
	v_addc_co_u32_e32 v11, vcc, v42, v11, vcc
	v_mul_f64 v[8:9], v[0:1], v[8:9]
	global_store_dwordx2 v[10:11], v[8:9], off
	buffer_load_dword v2, off, s[20:23], 0 offset:88 ; 4-byte Folded Reload
	buffer_load_dword v3, off, s[20:23], 0 offset:92 ; 4-byte Folded Reload
	s_waitcnt vmcnt(0)
	global_load_dwordx2 v[8:9], v[2:3], off
	s_nop 0
	buffer_load_dword v2, off, s[20:23], 0 offset:112 ; 4-byte Folded Reload
	buffer_load_dword v3, off, s[20:23], 0 offset:116 ; 4-byte Folded Reload
	s_waitcnt vmcnt(2)
	v_mul_f64 v[8:9], v[0:1], v[8:9]
	s_waitcnt vmcnt(1)
	v_add_co_u32_e32 v10, vcc, s8, v2
	s_waitcnt vmcnt(0)
	v_addc_co_u32_e32 v11, vcc, v42, v3, vcc
	global_store_dwordx2 v[10:11], v[8:9], off
	global_load_dwordx2 v[8:9], v[47:48], off
	s_nop 0
	global_load_dwordx2 v[10:11], v[45:46], off
	buffer_load_dword v2, off, s[20:23], 0 offset:336 ; 4-byte Folded Reload
	buffer_load_dword v3, off, s[20:23], 0 offset:340 ; 4-byte Folded Reload
	s_waitcnt vmcnt(2)
	v_add_f64 v[8:9], v[8:9], v[10:11]
	s_waitcnt vmcnt(0)
	global_load_dwordx2 v[10:11], v[2:3], off
	s_waitcnt vmcnt(0)
	v_add_f64 v[8:9], v[8:9], v[10:11]
	global_load_dwordx2 v[10:11], v[43:44], off
	buffer_load_dword v2, off, s[20:23], 0 offset:328 ; 4-byte Folded Reload
	buffer_load_dword v3, off, s[20:23], 0 offset:332 ; 4-byte Folded Reload
	s_waitcnt vmcnt(2)
	v_add_f64 v[8:9], v[8:9], v[10:11]
	s_waitcnt vmcnt(1)
	v_add_co_u32_e32 v10, vcc, s8, v2
	s_waitcnt vmcnt(0)
	v_addc_co_u32_e32 v11, vcc, v42, v3, vcc
	v_add_co_u32_e32 v2, vcc, s2, v6
	v_addc_co_u32_e32 v3, vcc, v60, v7, vcc
	v_mul_f64 v[8:9], v[0:1], v[8:9]
	global_load_dwordx2 v[23:24], v[2:3], off
	s_waitcnt vmcnt(0)
	v_mul_f64 v[2:3], v[0:1], v[23:24]
	global_store_dwordx2 v[10:11], v[8:9], off
	buffer_load_dword v6, off, s[20:23], 0 offset:72 ; 4-byte Folded Reload
	buffer_load_dword v7, off, s[20:23], 0 offset:76 ; 4-byte Folded Reload
	s_waitcnt vmcnt(1)
	v_add_co_u32_e32 v8, vcc, s8, v6
	s_waitcnt vmcnt(0)
	v_addc_co_u32_e32 v9, vcc, v42, v7, vcc
	global_store_dwordx2 v[8:9], v[2:3], off
	buffer_store_dword v62, off, s[20:23], 0 offset:40 ; 4-byte Folded Spill
	s_nop 0
	buffer_store_dword v63, off, s[20:23], 0 offset:44 ; 4-byte Folded Spill
	v_add_co_u32_e32 v36, vcc, s0, v62
	v_addc_co_u32_e32 v37, vcc, v61, v63, vcc
	global_load_dwordx2 v[2:3], v[36:37], off
	buffer_load_dword v6, off, s[20:23], 0 offset:320 ; 4-byte Folded Reload
	buffer_load_dword v7, off, s[20:23], 0 offset:324 ; 4-byte Folded Reload
	s_waitcnt vmcnt(2)
	v_mul_f64 v[2:3], v[0:1], v[2:3]
	s_waitcnt vmcnt(1)
	v_add_co_u32_e32 v8, vcc, s8, v6
	s_waitcnt vmcnt(0)
	v_addc_co_u32_e32 v9, vcc, v42, v7, vcc
	v_add_co_u32_e32 v52, vcc, s2, v4
	v_addc_co_u32_e32 v53, vcc, v60, v5, vcc
	global_store_dwordx2 v[8:9], v[2:3], off
	global_load_dwordx2 v[2:3], v[52:53], off
	s_nop 0
	buffer_load_dword v4, off, s[20:23], 0 offset:48 ; 4-byte Folded Reload
	buffer_load_dword v5, off, s[20:23], 0 offset:52 ; 4-byte Folded Reload
	s_waitcnt vmcnt(2)
	v_mul_f64 v[2:3], v[0:1], v[2:3]
	s_waitcnt vmcnt(1)
	v_add_co_u32_e32 v4, vcc, s8, v4
	s_waitcnt vmcnt(0)
	v_addc_co_u32_e32 v5, vcc, v42, v5, vcc
	global_store_dwordx2 v[4:5], v[2:3], off
	v_add_co_u32_e32 v2, vcc, s2, v50
	v_addc_co_u32_e32 v3, vcc, v60, v51, vcc
	buffer_store_dword v2, off, s[20:23], 0 offset:72 ; 4-byte Folded Spill
	s_nop 0
	buffer_store_dword v3, off, s[20:23], 0 offset:76 ; 4-byte Folded Spill
	global_load_dwordx2 v[2:3], v[2:3], off
	s_waitcnt vmcnt(0)
	v_mul_f64 v[0:1], v[0:1], v[2:3]
	v_lshlrev_b64 v[2:3], 3, v[19:20]
	v_add_u32_e32 v19, s4, v19
	v_add_co_u32_e32 v4, vcc, s8, v2
	v_addc_co_u32_e32 v5, vcc, v42, v3, vcc
	v_lshlrev_b64 v[21:22], 3, v[19:20]
	global_store_dwordx2 v[4:5], v[0:1], off
	v_add_co_u32_e32 v0, vcc, s0, v2
	v_addc_co_u32_e32 v1, vcc, v61, v3, vcc
	v_add_co_u32_e32 v4, vcc, s0, v21
	v_addc_co_u32_e32 v5, vcc, v61, v22, vcc
	global_load_dwordx2 v[0:1], v[0:1], off
	v_add_u32_e32 v19, s4, v19
	global_load_dwordx2 v[4:5], v[4:5], off
	s_waitcnt vmcnt(0)
	v_add_f64 v[0:1], v[0:1], v[4:5]
	v_lshlrev_b64 v[4:5], 3, v[19:20]
	v_add_u32_e32 v19, s4, v19
	v_add_co_u32_e32 v8, vcc, s0, v4
	v_addc_co_u32_e32 v9, vcc, v61, v5, vcc
	global_load_dwordx2 v[8:9], v[8:9], off
	v_lshlrev_b64 v[14:15], 3, v[19:20]
	v_add_u32_e32 v19, s4, v19
	v_lshlrev_b64 v[10:11], 3, v[19:20]
	v_add_u32_e32 v19, s4, v19
	;; [unrolled: 2-line block ×3, first 2 shown]
	s_waitcnt vmcnt(0)
	v_add_f64 v[0:1], v[0:1], v[8:9]
	v_add_co_u32_e32 v8, vcc, s0, v14
	v_addc_co_u32_e32 v9, vcc, v61, v15, vcc
	global_load_dwordx2 v[8:9], v[8:9], off
	s_waitcnt vmcnt(0)
	v_add_f64 v[0:1], v[0:1], v[8:9]
	v_add_co_u32_e32 v8, vcc, s0, v10
	v_addc_co_u32_e32 v9, vcc, v61, v11, vcc
	global_load_dwordx2 v[8:9], v[8:9], off
	;; [unrolled: 5-line block ×3, first 2 shown]
	s_waitcnt vmcnt(0)
	v_add_f64 v[0:1], v[0:1], v[8:9]
	v_lshlrev_b64 v[8:9], 3, v[19:20]
	v_add_co_u32_e32 v12, vcc, s0, v8
	v_addc_co_u32_e32 v13, vcc, v61, v9, vcc
	global_load_dwordx2 v[12:13], v[12:13], off
	s_waitcnt vmcnt(0)
	v_add_f64 v[0:1], v[0:1], v[12:13]
	v_mad_u64_u32 v[12:13], s[16:17], s4, 41, v[19:20]
	v_mov_b32_e32 v13, v20
	v_lshlrev_b64 v[18:19], 3, v[12:13]
	v_add_co_u32_e32 v16, vcc, s0, v18
	v_addc_co_u32_e32 v17, vcc, v61, v19, vcc
	global_load_dwordx2 v[16:17], v[16:17], off
	v_mov_b32_e32 v59, v19
	v_mov_b32_e32 v58, v18
	v_add_u32_e32 v19, s4, v12
	s_waitcnt vmcnt(0)
	v_add_f64 v[0:1], v[0:1], v[16:17]
	v_lshlrev_b64 v[16:17], 3, v[19:20]
	v_add_u32_e32 v19, s14, v19
	v_add_co_u32_e32 v12, vcc, s0, v16
	v_lshlrev_b64 v[62:63], 3, v[19:20]
	v_addc_co_u32_e32 v13, vcc, v61, v17, vcc
	v_add_co_u32_e32 v6, vcc, s0, v62
	global_load_dwordx2 v[12:13], v[12:13], off
	v_addc_co_u32_e32 v7, vcc, v61, v63, vcc
	buffer_store_dword v6, off, s[20:23], 0 offset:112 ; 4-byte Folded Spill
	s_nop 0
	buffer_store_dword v7, off, s[20:23], 0 offset:116 ; 4-byte Folded Spill
	s_waitcnt vmcnt(2)
	v_add_f64 v[0:1], v[0:1], v[12:13]
	global_load_dwordx2 v[12:13], v[6:7], off
	s_waitcnt vmcnt(0)
	v_add_f64 v[0:1], v[0:1], v[12:13]
	v_mad_u64_u32 v[12:13], s[16:17], s4, 44, v[19:20]
	v_mov_b32_e32 v13, v20
	v_lshlrev_b64 v[34:35], 3, v[12:13]
	v_add_co_u32_e32 v18, vcc, s0, v34
	v_addc_co_u32_e32 v19, vcc, v61, v35, vcc
	buffer_store_dword v18, off, s[20:23], 0 offset:48 ; 4-byte Folded Spill
	s_nop 0
	buffer_store_dword v19, off, s[20:23], 0 offset:52 ; 4-byte Folded Spill
	global_load_dwordx2 v[18:19], v[18:19], off
	s_waitcnt vmcnt(0)
	v_add_f64 v[0:1], v[0:1], v[18:19]
	v_mad_u64_u32 v[18:19], s[16:17], s4, 25, v[12:13]
	v_mov_b32_e32 v19, v20
	s_mul_i32 s16, s4, 0xffffff8b
	v_lshlrev_b64 v[12:13], 3, v[18:19]
	v_add_u32_e32 v19, s16, v18
	v_add_co_u32_e32 v40, vcc, s0, v12
	v_addc_co_u32_e32 v41, vcc, v61, v13, vcc
	global_load_dwordx2 v[40:41], v[40:41], off
	s_nop 0
	buffer_load_dword v6, off, s[20:23], 0 offset:16 ; 4-byte Folded Reload
	buffer_load_dword v7, off, s[20:23], 0 offset:20 ; 4-byte Folded Reload
	s_waitcnt vmcnt(2)
	v_add_f64 v[0:1], v[0:1], v[40:41]
	s_waitcnt vmcnt(0)
	global_load_dwordx2 v[40:41], v[6:7], off
	s_nop 0
	buffer_load_dword v6, off, s[20:23], 0 offset:120 ; 4-byte Folded Reload
	buffer_load_dword v7, off, s[20:23], 0 offset:124 ; 4-byte Folded Reload
	s_waitcnt vmcnt(2)
	v_add_f64 v[0:1], v[0:1], v[40:41]
	s_waitcnt vmcnt(0)
	;; [unrolled: 7-line block ×3, first 2 shown]
	global_load_dwordx2 v[40:41], v[6:7], off
	s_waitcnt vmcnt(0)
	v_add_f64 v[0:1], v[0:1], v[40:41]
	global_load_dwordx2 v[6:7], v[30:31], off
	s_waitcnt vmcnt(0)
	v_add_f64 v[0:1], v[0:1], v[6:7]
	;; [unrolled: 3-line block ×3, first 2 shown]
	v_add_f64 v[0:1], v[0:1], v[23:24]
	v_lshlrev_b64 v[23:24], 3, v[19:20]
	v_add_u32_e32 v19, s4, v19
	v_add_co_u32_e32 v6, vcc, s2, v23
	v_addc_co_u32_e32 v7, vcc, v60, v24, vcc
	global_load_dwordx2 v[6:7], v[6:7], off
	s_waitcnt vmcnt(0)
	v_add_f64 v[6:7], v[0:1], v[6:7]
	v_lshlrev_b64 v[0:1], 3, v[19:20]
	v_add_u32_e32 v19, s4, v19
	v_add_co_u32_e32 v26, vcc, s2, v0
	v_addc_co_u32_e32 v27, vcc, v60, v1, vcc
	global_load_dwordx2 v[26:27], v[26:27], off
	v_lshlrev_b64 v[40:41], 3, v[19:20]
	v_add_u32_e32 v19, s4, v19
	v_lshlrev_b64 v[42:43], 3, v[19:20]
	v_add_u32_e32 v19, s4, v19
	v_lshlrev_b64 v[44:45], 3, v[19:20]
	v_mad_u64_u32 v[18:19], s[16:17], s4, 14, v[19:20]
	v_mov_b32_e32 v19, v20
	v_lshlrev_b64 v[46:47], 3, v[18:19]
	v_mad_u64_u32 v[18:19], s[16:17], s4, 50, v[18:19]
	v_mov_b32_e32 v19, v20
	s_waitcnt vmcnt(0)
	v_add_f64 v[6:7], v[6:7], v[26:27]
	v_add_co_u32_e32 v26, vcc, s2, v40
	v_addc_co_u32_e32 v27, vcc, v60, v41, vcc
	global_load_dwordx2 v[26:27], v[26:27], off
	s_waitcnt vmcnt(0)
	v_add_f64 v[6:7], v[6:7], v[26:27]
	v_add_co_u32_e32 v26, vcc, s2, v42
	v_addc_co_u32_e32 v27, vcc, v60, v43, vcc
	global_load_dwordx2 v[26:27], v[26:27], off
	;; [unrolled: 5-line block ×4, first 2 shown]
	s_waitcnt vmcnt(0)
	v_add_f64 v[26:27], v[6:7], v[26:27]
	v_lshlrev_b64 v[6:7], 3, v[18:19]
	v_mad_u64_u32 v[18:19], s[16:17], s4, 9, v[18:19]
	v_add_co_u32_e32 v28, vcc, s2, v6
	v_addc_co_u32_e32 v29, vcc, v60, v7, vcc
	buffer_store_dword v28, off, s[20:23], 0 offset:120 ; 4-byte Folded Spill
	s_nop 0
	buffer_store_dword v29, off, s[20:23], 0 offset:124 ; 4-byte Folded Spill
	v_mov_b32_e32 v19, v20
	global_load_dwordx2 v[48:49], v[28:29], off
	s_waitcnt vmcnt(0)
	v_add_f64 v[48:49], v[26:27], v[48:49]
	v_lshlrev_b64 v[26:27], 3, v[18:19]
	v_add_u32_e32 v19, s15, v18
	v_add_co_u32_e32 v50, vcc, s2, v26
	v_addc_co_u32_e32 v51, vcc, v60, v27, vcc
	buffer_store_dword v50, off, s[20:23], 0 offset:16 ; 4-byte Folded Spill
	s_nop 0
	buffer_store_dword v51, off, s[20:23], 0 offset:20 ; 4-byte Folded Spill
	s_mul_i32 s15, s4, 0xffffffc1
	global_load_dwordx2 v[50:51], v[50:51], off
	s_waitcnt vmcnt(0)
	v_add_f64 v[48:49], v[48:49], v[50:51]
	v_lshlrev_b64 v[50:51], 3, v[19:20]
	v_add_u32_e32 v19, s15, v19
	v_add_co_u32_e32 v56, vcc, s2, v50
	v_addc_co_u32_e32 v57, vcc, v60, v51, vcc
	v_add_co_u32_e32 v2, vcc, s2, v2
	v_addc_co_u32_e32 v3, vcc, v60, v3, vcc
	;; [unrolled: 2-line block ×3, first 2 shown]
	global_load_dwordx2 v[2:3], v[2:3], off
	v_add_co_u32_e32 v4, vcc, s2, v4
	global_load_dwordx2 v[21:22], v[21:22], off
	v_addc_co_u32_e32 v5, vcc, v60, v5, vcc
	global_load_dwordx2 v[4:5], v[4:5], off
	s_mul_i32 s15, s4, 0xffffffe2
	global_load_dwordx2 v[56:57], v[56:57], off
	s_waitcnt vmcnt(2)
	v_add_f64 v[2:3], v[2:3], v[21:22]
	s_waitcnt vmcnt(1)
	v_add_f64 v[2:3], v[2:3], v[4:5]
	v_add_co_u32_e32 v4, vcc, s2, v14
	v_addc_co_u32_e32 v5, vcc, v60, v15, vcc
	global_load_dwordx2 v[4:5], v[4:5], off
	s_waitcnt vmcnt(1)
	v_add_f64 v[48:49], v[48:49], v[56:57]
	s_waitcnt vmcnt(0)
	v_add_f64 v[2:3], v[2:3], v[4:5]
	v_add_co_u32_e32 v4, vcc, s2, v10
	v_addc_co_u32_e32 v5, vcc, v60, v11, vcc
	global_load_dwordx2 v[4:5], v[4:5], off
	s_waitcnt vmcnt(0)
	v_add_f64 v[2:3], v[2:3], v[4:5]
	v_add_co_u32_e32 v4, vcc, s2, v32
	v_addc_co_u32_e32 v5, vcc, v60, v33, vcc
	global_load_dwordx2 v[4:5], v[4:5], off
	;; [unrolled: 5-line block ×8, first 2 shown]
	s_nop 0
	buffer_store_dword v58, off, s[20:23], 0 offset:88 ; 4-byte Folded Spill
	s_nop 0
	buffer_store_dword v59, off, s[20:23], 0 offset:92 ; 4-byte Folded Spill
	s_waitcnt vmcnt(2)
	v_add_f64 v[2:3], v[2:3], v[4:5]
	v_add_co_u32_e32 v4, vcc, s2, v58
	v_addc_co_u32_e32 v5, vcc, v60, v59, vcc
	global_load_dwordx2 v[4:5], v[4:5], off
	s_waitcnt vmcnt(0)
	v_add_f64 v[2:3], v[2:3], v[4:5]
	v_add_co_u32_e32 v4, vcc, s2, v16
	v_addc_co_u32_e32 v5, vcc, v60, v17, vcc
	global_load_dwordx2 v[4:5], v[4:5], off
	;; [unrolled: 5-line block ×3, first 2 shown]
	s_waitcnt vmcnt(0)
	v_add_f64 v[2:3], v[2:3], v[4:5]
	buffer_load_dword v4, off, s[20:23], 0 offset:96 ; 4-byte Folded Reload
	buffer_load_dword v5, off, s[20:23], 0 offset:100 ; 4-byte Folded Reload
	s_waitcnt vmcnt(1)
	v_add_co_u32_e32 v22, vcc, s2, v4
	s_waitcnt vmcnt(0)
	v_addc_co_u32_e32 v23, vcc, v60, v5, vcc
	global_load_dwordx2 v[4:5], v[22:23], off
	s_waitcnt vmcnt(0)
	v_add_f64 v[2:3], v[2:3], v[4:5]
	v_add_co_u32_e32 v4, vcc, s0, v50
	v_addc_co_u32_e32 v5, vcc, v61, v51, vcc
	global_load_dwordx2 v[4:5], v[4:5], off
	s_waitcnt vmcnt(0)
	v_add_f64 v[2:3], v[2:3], v[4:5]
	buffer_load_dword v4, off, s[20:23], 0 offset:104 ; 4-byte Folded Reload
	buffer_load_dword v5, off, s[20:23], 0 offset:108 ; 4-byte Folded Reload
	s_waitcnt vmcnt(1)
	v_add_co_u32_e32 v4, vcc, s2, v4
	s_waitcnt vmcnt(0)
	v_addc_co_u32_e32 v5, vcc, v60, v5, vcc
	buffer_store_dword v4, off, s[20:23], 0 offset:104 ; 4-byte Folded Spill
	s_nop 0
	buffer_store_dword v5, off, s[20:23], 0 offset:108 ; 4-byte Folded Spill
	global_load_dwordx2 v[4:5], v[4:5], off
	s_waitcnt vmcnt(0)
	v_add_f64 v[2:3], v[2:3], v[4:5]
	v_add_co_u32_e32 v4, vcc, s2, v12
	v_addc_co_u32_e32 v5, vcc, v60, v13, vcc
	global_load_dwordx2 v[4:5], v[4:5], off
	s_waitcnt vmcnt(0)
	v_add_f64 v[2:3], v[2:3], v[4:5]
	buffer_load_dword v4, off, s[20:23], 0 offset:304 ; 4-byte Folded Reload
	buffer_load_dword v5, off, s[20:23], 0 offset:308 ; 4-byte Folded Reload
	s_waitcnt vmcnt(1)
	v_add_co_u32_e32 v4, vcc, s0, v4
	s_waitcnt vmcnt(0)
	v_addc_co_u32_e32 v5, vcc, v61, v5, vcc
	buffer_store_dword v4, off, s[20:23], 0 offset:96 ; 4-byte Folded Spill
	s_nop 0
	buffer_store_dword v5, off, s[20:23], 0 offset:100 ; 4-byte Folded Spill
	global_load_dwordx2 v[4:5], v[4:5], off
	s_waitcnt vmcnt(0)
	v_add_f64 v[4:5], v[2:3], v[4:5]
	v_div_scale_f64 v[2:3], s[16:17], v[48:49], v[48:49], 1.0
	v_rcp_f64_e32 v[12:13], v[2:3]
	v_fma_f64 v[16:17], -v[2:3], v[12:13], 1.0
	v_fma_f64 v[12:13], v[12:13], v[16:17], v[12:13]
	v_fma_f64 v[16:17], -v[2:3], v[12:13], 1.0
	v_fma_f64 v[12:13], v[12:13], v[16:17], v[12:13]
	v_div_scale_f64 v[16:17], vcc, 1.0, v[48:49], 1.0
	v_mul_f64 v[40:41], v[16:17], v[12:13]
	v_fma_f64 v[2:3], -v[2:3], v[40:41], v[16:17]
	s_nop 1
	v_div_fmas_f64 v[2:3], v[2:3], v[12:13], v[40:41]
	v_add_co_u32_e32 v12, vcc, s8, v14
	v_addc_co_u32_e32 v13, vcc, v25, v15, vcc
	v_div_fixup_f64 v[2:3], v[2:3], v[48:49], 1.0
	v_mul_f64 v[4:5], v[2:3], v[4:5]
	global_store_dwordx2 v[12:13], v[4:5], off
	buffer_load_dword v4, off, s[20:23], 0 offset:176 ; 4-byte Folded Reload
	s_nop 0
	buffer_load_dword v5, off, s[20:23], 0 offset:180 ; 4-byte Folded Reload
	s_waitcnt vmcnt(0)
	global_load_dwordx2 v[4:5], v[4:5], off
	s_nop 0
	buffer_load_dword v12, off, s[20:23], 0 offset:168 ; 4-byte Folded Reload
	buffer_load_dword v13, off, s[20:23], 0 offset:172 ; 4-byte Folded Reload
	s_waitcnt vmcnt(0)
	global_load_dwordx2 v[12:13], v[12:13], off
	s_waitcnt vmcnt(0)
	v_add_f64 v[4:5], v[4:5], v[12:13]
	buffer_load_dword v12, off, s[20:23], 0 offset:152 ; 4-byte Folded Reload
	buffer_load_dword v13, off, s[20:23], 0 offset:156 ; 4-byte Folded Reload
	s_waitcnt vmcnt(0)
	global_load_dwordx2 v[12:13], v[12:13], off
	s_waitcnt vmcnt(0)
	v_add_f64 v[4:5], v[4:5], v[12:13]
	v_add_co_u32_e32 v12, vcc, s8, v10
	v_addc_co_u32_e32 v13, vcc, v25, v11, vcc
	v_mul_f64 v[4:5], v[2:3], v[4:5]
	global_store_dwordx2 v[12:13], v[4:5], off
	buffer_load_dword v4, off, s[20:23], 0 offset:224 ; 4-byte Folded Reload
	s_nop 0
	buffer_load_dword v5, off, s[20:23], 0 offset:228 ; 4-byte Folded Reload
	s_waitcnt vmcnt(0)
	global_load_dwordx2 v[4:5], v[4:5], off
	s_nop 0
	buffer_load_dword v10, off, s[20:23], 0 offset:232 ; 4-byte Folded Reload
	buffer_load_dword v11, off, s[20:23], 0 offset:236 ; 4-byte Folded Reload
	s_waitcnt vmcnt(0)
	global_load_dwordx2 v[12:13], v[10:11], off
	v_add_co_u32_e32 v10, vcc, s8, v32
	v_addc_co_u32_e32 v11, vcc, v25, v33, vcc
	v_add_co_u32_e32 v8, vcc, s8, v8
	v_addc_co_u32_e32 v9, vcc, v25, v9, vcc
	s_waitcnt vmcnt(0)
	v_add_f64 v[4:5], v[4:5], v[12:13]
	v_mul_f64 v[4:5], v[2:3], v[4:5]
	global_store_dwordx2 v[10:11], v[4:5], off
	buffer_load_dword v4, off, s[20:23], 0 offset:296 ; 4-byte Folded Reload
	s_nop 0
	buffer_load_dword v5, off, s[20:23], 0 offset:300 ; 4-byte Folded Reload
	v_add_co_u32_e32 v10, vcc, s2, v62
	v_addc_co_u32_e32 v11, vcc, v60, v63, vcc
	v_add_co_u32_e32 v16, vcc, s0, v6
	v_addc_co_u32_e32 v17, vcc, v61, v7, vcc
	global_load_dwordx2 v[6:7], v[16:17], off
	s_waitcnt vmcnt(1)
	global_load_dwordx2 v[4:5], v[4:5], off
	s_waitcnt vmcnt(0)
	v_mul_f64 v[4:5], v[2:3], v[4:5]
	global_store_dwordx2 v[8:9], v[4:5], off
	global_load_dwordx2 v[4:5], v[10:11], off
	s_waitcnt vmcnt(0)
	v_add_f64 v[4:5], v[4:5], v[6:7]
	buffer_load_dword v6, off, s[20:23], 0 offset:288 ; 4-byte Folded Reload
	buffer_load_dword v7, off, s[20:23], 0 offset:292 ; 4-byte Folded Reload
	v_mul_f64 v[4:5], v[2:3], v[4:5]
	s_waitcnt vmcnt(1)
	v_add_co_u32_e32 v6, vcc, s8, v6
	s_waitcnt vmcnt(0)
	v_addc_co_u32_e32 v7, vcc, v25, v7, vcc
	global_store_dwordx2 v[6:7], v[4:5], off
	v_add_co_u32_e32 v6, vcc, s2, v34
	v_addc_co_u32_e32 v7, vcc, v60, v35, vcc
	global_load_dwordx2 v[4:5], v[6:7], off
	buffer_load_dword v8, off, s[20:23], 0 offset:280 ; 4-byte Folded Reload
	buffer_load_dword v9, off, s[20:23], 0 offset:284 ; 4-byte Folded Reload
	s_waitcnt vmcnt(2)
	v_mul_f64 v[4:5], v[2:3], v[4:5]
	s_waitcnt vmcnt(1)
	v_add_co_u32_e32 v8, vcc, s8, v8
	s_waitcnt vmcnt(0)
	v_addc_co_u32_e32 v9, vcc, v25, v9, vcc
	global_store_dwordx2 v[8:9], v[4:5], off
	v_add_co_u32_e32 v4, vcc, s0, v26
	v_addc_co_u32_e32 v5, vcc, v61, v27, vcc
	buffer_store_dword v4, off, s[20:23], 0 offset:152 ; 4-byte Folded Spill
	s_nop 0
	buffer_store_dword v5, off, s[20:23], 0 offset:156 ; 4-byte Folded Spill
	global_load_dwordx2 v[8:9], v[4:5], off
	s_nop 0
	buffer_load_dword v4, off, s[20:23], 0 offset:272 ; 4-byte Folded Reload
	buffer_load_dword v5, off, s[20:23], 0 offset:276 ; 4-byte Folded Reload
	s_waitcnt vmcnt(2)
	v_mul_f64 v[2:3], v[2:3], v[8:9]
	s_waitcnt vmcnt(1)
	v_add_co_u32_e32 v8, vcc, s8, v4
	s_waitcnt vmcnt(0)
	v_addc_co_u32_e32 v9, vcc, v25, v5, vcc
	global_store_dwordx2 v[8:9], v[2:3], off
	v_lshlrev_b64 v[2:3], 3, v[19:20]
	v_add_u32_e32 v19, s4, v19
	v_add_co_u32_e32 v8, vcc, s0, v2
	v_lshlrev_b64 v[12:13], 3, v[19:20]
	v_addc_co_u32_e32 v9, vcc, v61, v3, vcc
	v_add_co_u32_e32 v14, vcc, s0, v12
	v_addc_co_u32_e32 v15, vcc, v61, v13, vcc
	global_load_dwordx2 v[8:9], v[8:9], off
	v_add_u32_e32 v19, s3, v19
	global_load_dwordx2 v[14:15], v[14:15], off
	v_lshlrev_b64 v[40:41], 3, v[19:20]
	v_add_u32_e32 v19, s4, v19
	s_waitcnt vmcnt(0)
	v_add_f64 v[8:9], v[8:9], v[14:15]
	global_load_dwordx2 v[14:15], v[36:37], off
	s_waitcnt vmcnt(0)
	v_add_f64 v[8:9], v[8:9], v[14:15]
	v_add_co_u32_e32 v14, vcc, s0, v40
	v_addc_co_u32_e32 v15, vcc, v61, v41, vcc
	global_load_dwordx2 v[14:15], v[14:15], off
	s_waitcnt vmcnt(0)
	v_add_f64 v[8:9], v[8:9], v[14:15]
	v_lshlrev_b64 v[14:15], 3, v[19:20]
	v_add_u32_e32 v19, s4, v19
	v_add_co_u32_e32 v26, vcc, s0, v14
	v_addc_co_u32_e32 v27, vcc, v61, v15, vcc
	global_load_dwordx2 v[26:27], v[26:27], off
	s_waitcnt vmcnt(0)
	v_add_f64 v[8:9], v[8:9], v[26:27]
	v_lshlrev_b64 v[26:27], 3, v[19:20]
	v_add_u32_e32 v19, s15, v19
	;; [unrolled: 7-line block ×5, first 2 shown]
	v_add_co_u32_e32 v34, vcc, s2, v32
	v_addc_co_u32_e32 v35, vcc, v60, v33, vcc
	v_add_co_u32_e32 v28, vcc, s0, v28
	v_addc_co_u32_e32 v29, vcc, v61, v29, vcc
	;; [unrolled: 2-line block ×3, first 2 shown]
	global_load_dwordx2 v[28:29], v[28:29], off
	s_mul_i32 s10, s4, 21
	global_load_dwordx2 v[30:31], v[30:31], off
	s_waitcnt vmcnt(0)
	v_add_f64 v[28:29], v[28:29], v[30:31]
	v_add_co_u32_e32 v30, vcc, s0, v32
	v_addc_co_u32_e32 v31, vcc, v61, v33, vcc
	global_load_dwordx2 v[30:31], v[30:31], off
	v_add_co_u32_e32 v2, vcc, s2, v2
	v_addc_co_u32_e32 v3, vcc, v60, v3, vcc
	global_load_dwordx2 v[2:3], v[2:3], off
	v_add_co_u32_e32 v12, vcc, s2, v12
	v_addc_co_u32_e32 v13, vcc, v60, v13, vcc
	global_load_dwordx2 v[12:13], v[12:13], off
	s_waitcnt vmcnt(2)
	v_add_f64 v[28:29], v[28:29], v[30:31]
	global_load_dwordx2 v[34:35], v[34:35], off
	s_waitcnt vmcnt(2)
	v_add_f64 v[2:3], v[28:29], v[2:3]
	s_waitcnt vmcnt(1)
	v_add_f64 v[2:3], v[2:3], v[12:13]
	v_add_co_u32_e32 v12, vcc, s2, v40
	v_addc_co_u32_e32 v13, vcc, v60, v41, vcc
	global_load_dwordx2 v[12:13], v[12:13], off
	s_waitcnt vmcnt(1)
	v_add_f64 v[8:9], v[8:9], v[34:35]
	s_waitcnt vmcnt(0)
	v_add_f64 v[2:3], v[2:3], v[12:13]
	v_add_co_u32_e32 v12, vcc, s2, v14
	v_addc_co_u32_e32 v13, vcc, v60, v15, vcc
	global_load_dwordx2 v[12:13], v[12:13], off
	s_waitcnt vmcnt(0)
	v_add_f64 v[2:3], v[2:3], v[12:13]
	v_add_co_u32_e32 v12, vcc, s2, v26
	v_addc_co_u32_e32 v13, vcc, v60, v27, vcc
	global_load_dwordx2 v[12:13], v[12:13], off
	s_nop 0
	buffer_load_dword v4, off, s[20:23], 0 offset:240 ; 4-byte Folded Reload
	buffer_load_dword v5, off, s[20:23], 0 offset:244 ; 4-byte Folded Reload
	s_waitcnt vmcnt(2)
	v_add_f64 v[2:3], v[2:3], v[12:13]
	v_div_scale_f64 v[12:13], s[16:17], v[8:9], v[8:9], 1.0
	v_rcp_f64_e32 v[14:15], v[12:13]
	v_fma_f64 v[26:27], -v[12:13], v[14:15], 1.0
	v_fma_f64 v[14:15], v[14:15], v[26:27], v[14:15]
	v_fma_f64 v[26:27], -v[12:13], v[14:15], 1.0
	v_fma_f64 v[14:15], v[14:15], v[26:27], v[14:15]
	v_div_scale_f64 v[26:27], vcc, 1.0, v[8:9], 1.0
	v_mul_f64 v[28:29], v[26:27], v[14:15]
	v_fma_f64 v[12:13], -v[12:13], v[28:29], v[26:27]
	s_nop 1
	v_div_fmas_f64 v[12:13], v[12:13], v[14:15], v[28:29]
	v_div_fixup_f64 v[8:9], v[12:13], v[8:9], 1.0
	s_waitcnt vmcnt(1)
	v_add_co_u32_e32 v12, vcc, s8, v4
	s_waitcnt vmcnt(0)
	v_addc_co_u32_e32 v13, vcc, v25, v5, vcc
	v_mul_f64 v[2:3], v[8:9], v[2:3]
	global_store_dwordx2 v[12:13], v[2:3], off
	global_load_dwordx2 v[2:3], v[54:55], off
	s_nop 0
	buffer_load_dword v4, off, s[20:23], 0  ; 4-byte Folded Reload
	buffer_load_dword v5, off, s[20:23], 0 offset:4 ; 4-byte Folded Reload
	s_waitcnt vmcnt(2)
	v_mul_f64 v[2:3], v[8:9], v[2:3]
	s_waitcnt vmcnt(1)
	v_add_co_u32_e32 v8, vcc, s8, v4
	s_waitcnt vmcnt(0)
	v_addc_co_u32_e32 v9, vcc, v25, v5, vcc
	global_store_dwordx2 v[8:9], v[2:3], off
	v_lshlrev_b64 v[8:9], 3, v[19:20]
	v_add_u32_e32 v19, s3, v19
	v_add_co_u32_e32 v2, vcc, s0, v8
	v_addc_co_u32_e32 v3, vcc, v61, v9, vcc
	global_load_dwordx2 v[2:3], v[2:3], off
	s_nop 0
	buffer_load_dword v4, off, s[20:23], 0 offset:256 ; 4-byte Folded Reload
	buffer_load_dword v5, off, s[20:23], 0 offset:260 ; 4-byte Folded Reload
	s_waitcnt vmcnt(0)
	global_load_dwordx2 v[12:13], v[4:5], off
	s_waitcnt vmcnt(0)
	v_add_f64 v[2:3], v[2:3], v[12:13]
	v_lshlrev_b64 v[12:13], 3, v[19:20]
	v_add_co_u32_e32 v14, vcc, s0, v12
	v_addc_co_u32_e32 v15, vcc, v61, v13, vcc
	global_load_dwordx2 v[14:15], v[14:15], off
	s_nop 0
	buffer_load_dword v4, off, s[20:23], 0 offset:248 ; 4-byte Folded Reload
	buffer_load_dword v5, off, s[20:23], 0 offset:252 ; 4-byte Folded Reload
	s_waitcnt vmcnt(2)
	v_add_f64 v[2:3], v[2:3], v[14:15]
	s_waitcnt vmcnt(0)
	global_load_dwordx2 v[14:15], v[4:5], off
	s_waitcnt vmcnt(0)
	v_add_f64 v[2:3], v[2:3], v[14:15]
	v_mad_u64_u32 v[14:15], s[16:17], s4, -10, v[19:20]
	v_mov_b32_e32 v15, v20
	s_mul_i32 s16, s4, 20
	v_lshlrev_b64 v[26:27], 3, v[14:15]
	v_add_co_u32_e32 v18, vcc, s2, v26
	v_addc_co_u32_e32 v19, vcc, v60, v27, vcc
	global_load_dwordx2 v[18:19], v[18:19], off
	s_waitcnt vmcnt(0)
	v_add_f64 v[28:29], v[2:3], v[18:19]
	v_add_u32_e32 v19, s16, v14
	v_lshlrev_b64 v[14:15], 3, v[19:20]
	v_add_u32_e32 v19, s10, v19
	v_add_co_u32_e32 v2, vcc, s2, v14
	v_addc_co_u32_e32 v3, vcc, v60, v15, vcc
	global_load_dwordx2 v[30:31], v[2:3], off
	v_mov_b32_e32 v18, v25
	s_waitcnt vmcnt(0)
	v_add_f64 v[28:29], v[28:29], v[30:31]
	v_lshlrev_b64 v[30:31], 3, v[19:20]
	v_add_u32_e32 v19, s14, v19
	v_add_co_u32_e32 v32, vcc, s2, v30
	v_addc_co_u32_e32 v33, vcc, v60, v31, vcc
	global_load_dwordx2 v[32:33], v[32:33], off
	s_waitcnt vmcnt(0)
	v_add_f64 v[28:29], v[28:29], v[32:33]
	global_load_dwordx2 v[32:33], v[52:53], off
	s_waitcnt vmcnt(0)
	v_add_f64 v[28:29], v[28:29], v[32:33]
	v_lshlrev_b64 v[32:33], 3, v[19:20]
	v_add_co_u32_e32 v34, vcc, s2, v32
	v_addc_co_u32_e32 v35, vcc, v60, v33, vcc
	v_add_co_u32_e32 v26, vcc, s0, v26
	v_addc_co_u32_e32 v27, vcc, v61, v27, vcc
	;; [unrolled: 2-line block ×3, first 2 shown]
	global_load_dwordx2 v[26:27], v[26:27], off
	v_add_co_u32_e32 v12, vcc, s2, v12
	global_load_dwordx2 v[8:9], v[8:9], off
	v_addc_co_u32_e32 v13, vcc, v60, v13, vcc
	global_load_dwordx2 v[12:13], v[12:13], off
	s_waitcnt vmcnt(1)
	v_add_f64 v[8:9], v[26:27], v[8:9]
	global_load_dwordx2 v[34:35], v[34:35], off
	s_waitcnt vmcnt(1)
	v_add_f64 v[8:9], v[8:9], v[12:13]
	v_add_co_u32_e32 v12, vcc, s0, v30
	v_addc_co_u32_e32 v13, vcc, v61, v31, vcc
	global_load_dwordx2 v[12:13], v[12:13], off
	s_waitcnt vmcnt(1)
	v_add_f64 v[28:29], v[28:29], v[34:35]
	s_waitcnt vmcnt(0)
	v_add_f64 v[8:9], v[8:9], v[12:13]
	v_add_co_u32_e32 v12, vcc, s0, v32
	v_addc_co_u32_e32 v13, vcc, v61, v33, vcc
	global_load_dwordx2 v[12:13], v[12:13], off
	s_waitcnt vmcnt(0)
	v_add_f64 v[8:9], v[8:9], v[12:13]
	v_div_scale_f64 v[12:13], s[14:15], v[28:29], v[28:29], 1.0
	s_mul_i32 s14, s4, 0xffffffb9
	v_add_u32_e32 v19, s14, v19
	v_rcp_f64_e32 v[26:27], v[12:13]
	v_fma_f64 v[30:31], -v[12:13], v[26:27], 1.0
	v_fma_f64 v[26:27], v[26:27], v[30:31], v[26:27]
	v_fma_f64 v[30:31], -v[12:13], v[26:27], 1.0
	v_fma_f64 v[26:27], v[26:27], v[30:31], v[26:27]
	v_div_scale_f64 v[30:31], vcc, 1.0, v[28:29], 1.0
	v_mul_f64 v[32:33], v[30:31], v[26:27]
	v_fma_f64 v[12:13], -v[12:13], v[32:33], v[30:31]
	s_nop 1
	v_div_fmas_f64 v[12:13], v[12:13], v[26:27], v[32:33]
	v_add_co_u32_e32 v26, vcc, s8, v38
	v_addc_co_u32_e32 v27, vcc, v18, v39, vcc
	v_div_fixup_f64 v[12:13], v[12:13], v[28:29], 1.0
	v_mul_f64 v[8:9], v[12:13], v[8:9]
	global_store_dwordx2 v[26:27], v[8:9], off
	buffer_load_dword v4, off, s[20:23], 0 offset:184 ; 4-byte Folded Reload
	buffer_load_dword v5, off, s[20:23], 0 offset:188 ; 4-byte Folded Reload
	s_waitcnt vmcnt(0)
	global_load_dwordx2 v[8:9], v[4:5], off
	s_nop 0
	buffer_load_dword v4, off, s[20:23], 0 offset:192 ; 4-byte Folded Reload
	buffer_load_dword v5, off, s[20:23], 0 offset:196 ; 4-byte Folded Reload
	s_waitcnt vmcnt(0)
	global_load_dwordx2 v[26:27], v[4:5], off
	s_nop 0
	buffer_load_dword v4, off, s[20:23], 0 offset:216 ; 4-byte Folded Reload
	buffer_load_dword v5, off, s[20:23], 0 offset:220 ; 4-byte Folded Reload
	s_waitcnt vmcnt(2)
	v_add_f64 v[8:9], v[8:9], v[26:27]
	s_waitcnt vmcnt(1)
	v_add_co_u32_e32 v26, vcc, s8, v4
	s_waitcnt vmcnt(0)
	v_addc_co_u32_e32 v27, vcc, v18, v5, vcc
	v_mul_f64 v[8:9], v[12:13], v[8:9]
	global_store_dwordx2 v[26:27], v[8:9], off
	buffer_load_dword v4, off, s[20:23], 0 offset:264 ; 4-byte Folded Reload
	buffer_load_dword v5, off, s[20:23], 0 offset:268 ; 4-byte Folded Reload
	s_waitcnt vmcnt(0)
	global_load_dwordx2 v[8:9], v[4:5], off
	s_nop 0
	buffer_load_dword v4, off, s[20:23], 0 offset:208 ; 4-byte Folded Reload
	buffer_load_dword v5, off, s[20:23], 0 offset:212 ; 4-byte Folded Reload
	s_waitcnt vmcnt(2)
	v_mul_f64 v[8:9], v[12:13], v[8:9]
	s_waitcnt vmcnt(1)
	v_add_co_u32_e32 v26, vcc, s8, v4
	s_waitcnt vmcnt(0)
	v_addc_co_u32_e32 v27, vcc, v18, v5, vcc
	global_load_dwordx2 v[16:17], v[16:17], off
	s_nop 0
	global_store_dwordx2 v[26:27], v[8:9], off
	v_add_co_u32_e32 v8, vcc, s0, v14
	v_addc_co_u32_e32 v9, vcc, v61, v15, vcc
	global_load_dwordx2 v[8:9], v[8:9], off
	v_add_co_u32_e32 v0, vcc, s8, v0
	v_addc_co_u32_e32 v1, vcc, v18, v1, vcc
	s_waitcnt vmcnt(0)
	v_mul_f64 v[12:13], v[12:13], v[8:9]
	global_store_dwordx2 v[0:1], v[12:13], off
	v_lshlrev_b64 v[0:1], 3, v[19:20]
	v_add_u32_e32 v19, s13, v19
	v_add_co_u32_e32 v12, vcc, s0, v0
	v_lshlrev_b64 v[14:15], 3, v[19:20]
	v_addc_co_u32_e32 v13, vcc, v61, v1, vcc
	v_add_co_u32_e32 v26, vcc, s0, v14
	v_addc_co_u32_e32 v27, vcc, v61, v15, vcc
	global_load_dwordx2 v[12:13], v[12:13], off
	v_add_u32_e32 v19, s4, v19
	global_load_dwordx2 v[26:27], v[26:27], off
	s_waitcnt vmcnt(0)
	v_add_f64 v[12:13], v[12:13], v[26:27]
	v_lshlrev_b64 v[26:27], 3, v[19:20]
	v_add_u32_e32 v19, s3, v19
	v_add_co_u32_e32 v28, vcc, s0, v26
	v_addc_co_u32_e32 v29, vcc, v61, v27, vcc
	global_load_dwordx2 v[28:29], v[28:29], off
	s_waitcnt vmcnt(0)
	v_add_f64 v[12:13], v[12:13], v[28:29]
	v_lshlrev_b64 v[28:29], 3, v[19:20]
	v_add_u32_e32 v19, s4, v19
	v_lshlrev_b64 v[32:33], 3, v[19:20]
	v_add_u32_e32 v19, s4, v19
	;; [unrolled: 2-line block ×3, first 2 shown]
	v_lshlrev_b64 v[38:39], 3, v[19:20]
	v_add_f64 v[8:9], v[12:13], v[8:9]
	v_add_co_u32_e32 v12, vcc, s0, v28
	v_addc_co_u32_e32 v13, vcc, v61, v29, vcc
	global_load_dwordx2 v[12:13], v[12:13], off
	v_add_u32_e32 v19, s4, v19
	s_waitcnt vmcnt(0)
	v_add_f64 v[8:9], v[8:9], v[12:13]
	v_add_co_u32_e32 v12, vcc, s0, v32
	v_addc_co_u32_e32 v13, vcc, v61, v33, vcc
	global_load_dwordx2 v[12:13], v[12:13], off
	s_waitcnt vmcnt(0)
	v_add_f64 v[8:9], v[8:9], v[12:13]
	v_add_co_u32_e32 v12, vcc, s0, v36
	v_addc_co_u32_e32 v13, vcc, v61, v37, vcc
	global_load_dwordx2 v[12:13], v[12:13], off
	;; [unrolled: 5-line block ×3, first 2 shown]
	s_waitcnt vmcnt(0)
	v_add_f64 v[12:13], v[8:9], v[12:13]
	v_lshlrev_b64 v[8:9], 3, v[19:20]
	v_add_u32_e32 v19, s3, v19
	v_add_co_u32_e32 v30, vcc, s0, v8
	v_addc_co_u32_e32 v31, vcc, v61, v9, vcc
	global_load_dwordx2 v[34:35], v[30:31], off
	s_waitcnt vmcnt(0)
	v_add_f64 v[12:13], v[12:13], v[34:35]
	v_add_f64 v[16:17], v[12:13], v[16:17]
	v_lshlrev_b64 v[12:13], 3, v[19:20]
	v_add_u32_e32 v19, s4, v19
	v_add_co_u32_e32 v34, vcc, s0, v12
	v_addc_co_u32_e32 v35, vcc, v61, v13, vcc
	global_load_dwordx2 v[42:43], v[34:35], off
	s_waitcnt vmcnt(0)
	v_add_f64 v[16:17], v[16:17], v[42:43]
	v_lshlrev_b64 v[42:43], 3, v[19:20]
	v_add_u32_e32 v19, s3, v19
	v_add_co_u32_e32 v44, vcc, s0, v42
	v_addc_co_u32_e32 v45, vcc, v61, v43, vcc
	global_load_dwordx2 v[44:45], v[44:45], off
	s_waitcnt vmcnt(0)
	;; [unrolled: 7-line block ×4, first 2 shown]
	v_add_f64 v[16:17], v[16:17], v[48:49]
	v_lshlrev_b64 v[48:49], 3, v[19:20]
	v_add_u32_e32 v19, s12, v19
	v_add_co_u32_e32 v50, vcc, s0, v48
	v_addc_co_u32_e32 v51, vcc, v61, v49, vcc
	global_load_dwordx2 v[50:51], v[50:51], off
	s_nop 0
	buffer_load_dword v4, off, s[20:23], 0 offset:160 ; 4-byte Folded Reload
	buffer_load_dword v5, off, s[20:23], 0 offset:164 ; 4-byte Folded Reload
	s_waitcnt vmcnt(2)
	v_add_f64 v[16:17], v[16:17], v[50:51]
	s_waitcnt vmcnt(0)
	global_load_dwordx2 v[50:51], v[4:5], off
	s_nop 0
	buffer_load_dword v4, off, s[20:23], 0 offset:200 ; 4-byte Folded Reload
	buffer_load_dword v5, off, s[20:23], 0 offset:204 ; 4-byte Folded Reload
	s_waitcnt vmcnt(2)
	v_add_f64 v[16:17], v[16:17], v[50:51]
	s_waitcnt vmcnt(0)
	global_load_dwordx2 v[50:51], v[4:5], off
	s_nop 0
	global_load_dwordx2 v[10:11], v[10:11], off
	s_waitcnt vmcnt(1)
	v_add_f64 v[16:17], v[16:17], v[50:51]
	s_waitcnt vmcnt(0)
	v_add_f64 v[10:11], v[16:17], v[10:11]
	v_lshlrev_b64 v[16:17], 3, v[19:20]
	v_add_u32_e32 v19, s4, v19
	v_add_co_u32_e32 v50, vcc, s2, v16
	v_addc_co_u32_e32 v51, vcc, v60, v17, vcc
	global_load_dwordx2 v[50:51], v[50:51], off
	s_waitcnt vmcnt(0)
	v_add_f64 v[10:11], v[10:11], v[50:51]
	v_lshlrev_b64 v[50:51], 3, v[19:20]
	v_add_u32_e32 v19, s7, v19
	v_add_co_u32_e32 v52, vcc, s2, v50
	v_addc_co_u32_e32 v53, vcc, v60, v51, vcc
	global_load_dwordx2 v[52:53], v[52:53], off
	;; [unrolled: 7-line block ×4, first 2 shown]
	s_mul_i32 s11, s4, 0xffffff92
	s_waitcnt vmcnt(0)
	v_add_f64 v[10:11], v[10:11], v[56:57]
	v_lshlrev_b64 v[56:57], 3, v[19:20]
	v_add_u32_e32 v19, s16, v19
	v_add_co_u32_e32 v58, vcc, s2, v56
	v_addc_co_u32_e32 v59, vcc, v60, v57, vcc
	global_load_dwordx2 v[58:59], v[58:59], off
	s_waitcnt vmcnt(0)
	v_add_f64 v[10:11], v[10:11], v[58:59]
	v_lshlrev_b64 v[58:59], 3, v[19:20]
	v_add_u32_e32 v19, s11, v19
	v_add_co_u32_e32 v62, vcc, s2, v58
	v_addc_co_u32_e32 v63, vcc, v60, v59, vcc
	global_load_dwordx2 v[62:63], v[62:63], off
	v_add_co_u32_e32 v0, vcc, s2, v0
	v_addc_co_u32_e32 v1, vcc, v60, v1, vcc
	global_load_dwordx2 v[0:1], v[0:1], off
	s_waitcnt vmcnt(1)
	v_add_f64 v[62:63], v[10:11], v[62:63]
	v_add_co_u32_e32 v10, vcc, s2, v14
	v_addc_co_u32_e32 v11, vcc, v60, v15, vcc
	global_load_dwordx2 v[10:11], v[10:11], off
	s_waitcnt vmcnt(0)
	v_add_f64 v[0:1], v[0:1], v[10:11]
	;; [unrolled: 5-line block ×8, first 2 shown]
	global_load_dwordx2 v[10:11], v[22:23], off
	s_waitcnt vmcnt(0)
	v_add_f64 v[0:1], v[0:1], v[10:11]
	v_add_co_u32_e32 v10, vcc, s2, v44
	v_addc_co_u32_e32 v11, vcc, v60, v45, vcc
	global_load_dwordx2 v[10:11], v[10:11], off
	s_waitcnt vmcnt(0)
	v_add_f64 v[0:1], v[0:1], v[10:11]
	v_add_co_u32_e32 v10, vcc, s2, v46
	v_addc_co_u32_e32 v11, vcc, v60, v47, vcc
	;; [unrolled: 5-line block ×9, first 2 shown]
	global_load_dwordx2 v[10:11], v[10:11], off
	s_nop 0
	buffer_load_dword v4, off, s[20:23], 0 offset:136 ; 4-byte Folded Reload
	buffer_load_dword v5, off, s[20:23], 0 offset:140 ; 4-byte Folded Reload
	s_waitcnt vmcnt(2)
	v_add_f64 v[0:1], v[0:1], v[10:11]
	s_waitcnt vmcnt(1)
	v_add_co_u32_e32 v10, vcc, s2, v4
	s_waitcnt vmcnt(0)
	v_addc_co_u32_e32 v11, vcc, v60, v5, vcc
	global_load_dwordx2 v[14:15], v[10:11], off
	buffer_load_dword v4, off, s[20:23], 0 offset:144 ; 4-byte Folded Reload
	buffer_load_dword v5, off, s[20:23], 0 offset:148 ; 4-byte Folded Reload
	s_waitcnt vmcnt(2)
	v_add_f64 v[0:1], v[0:1], v[14:15]
	v_div_scale_f64 v[14:15], s[12:13], v[62:63], v[62:63], 1.0
	v_rcp_f64_e32 v[16:17], v[14:15]
	v_fma_f64 v[21:22], -v[14:15], v[16:17], 1.0
	v_fma_f64 v[16:17], v[16:17], v[21:22], v[16:17]
	v_fma_f64 v[21:22], -v[14:15], v[16:17], 1.0
	v_fma_f64 v[16:17], v[16:17], v[21:22], v[16:17]
	v_div_scale_f64 v[21:22], vcc, 1.0, v[62:63], 1.0
	v_mul_f64 v[23:24], v[21:22], v[16:17]
	v_fma_f64 v[14:15], -v[14:15], v[23:24], v[21:22]
	s_nop 1
	v_div_fmas_f64 v[14:15], v[14:15], v[16:17], v[23:24]
	s_waitcnt vmcnt(1)
	v_add_co_u32_e32 v16, vcc, s8, v4
	s_waitcnt vmcnt(0)
	v_addc_co_u32_e32 v17, vcc, v18, v5, vcc
	v_div_fixup_f64 v[14:15], v[14:15], v[62:63], 1.0
	v_mul_f64 v[0:1], v[14:15], v[0:1]
	global_store_dwordx2 v[16:17], v[0:1], off
	buffer_load_dword v0, off, s[20:23], 0 offset:128 ; 4-byte Folded Reload
	s_nop 0
	buffer_load_dword v1, off, s[20:23], 0 offset:132 ; 4-byte Folded Reload
	v_lshlrev_b64 v[16:17], 3, v[19:20]
	v_add_u32_e32 v19, s4, v19
	v_add_co_u32_e32 v16, vcc, s8, v16
	v_addc_co_u32_e32 v17, vcc, v18, v17, vcc
	s_waitcnt vmcnt(0)
	global_load_dwordx2 v[0:1], v[0:1], off
	s_waitcnt vmcnt(0)
	v_mul_f64 v[0:1], v[14:15], v[0:1]
	global_store_dwordx2 v[16:17], v[0:1], off
	buffer_load_dword v0, off, s[20:23], 0 offset:64 ; 4-byte Folded Reload
	s_nop 0
	buffer_load_dword v1, off, s[20:23], 0 offset:68 ; 4-byte Folded Reload
	v_lshlrev_b64 v[16:17], 3, v[19:20]
	v_add_u32_e32 v19, s9, v19
	v_add_co_u32_e32 v16, vcc, s8, v16
	v_addc_co_u32_e32 v17, vcc, v18, v17, vcc
	s_mul_i32 s9, s4, 0x54
	s_waitcnt vmcnt(0)
	global_load_dwordx2 v[0:1], v[0:1], off
	s_waitcnt vmcnt(0)
	v_mul_f64 v[0:1], v[14:15], v[0:1]
	global_store_dwordx2 v[16:17], v[0:1], off
	buffer_load_dword v0, off, s[20:23], 0 offset:112 ; 4-byte Folded Reload
	s_nop 0
	buffer_load_dword v1, off, s[20:23], 0 offset:116 ; 4-byte Folded Reload
	s_waitcnt vmcnt(0)
	global_load_dwordx2 v[0:1], v[0:1], off
	s_nop 0
	buffer_load_dword v4, off, s[20:23], 0 offset:120 ; 4-byte Folded Reload
	buffer_load_dword v5, off, s[20:23], 0 offset:124 ; 4-byte Folded Reload
	s_waitcnt vmcnt(0)
	global_load_dwordx2 v[16:17], v[4:5], off
	s_nop 0
	buffer_load_dword v4, off, s[20:23], 0 offset:80 ; 4-byte Folded Reload
	buffer_load_dword v5, off, s[20:23], 0 offset:84 ; 4-byte Folded Reload
	s_waitcnt vmcnt(2)
	v_add_f64 v[0:1], v[0:1], v[16:17]
	s_waitcnt vmcnt(1)
	v_add_co_u32_e32 v16, vcc, s8, v4
	s_waitcnt vmcnt(0)
	v_addc_co_u32_e32 v17, vcc, v18, v5, vcc
	global_load_dwordx2 v[6:7], v[6:7], off
	v_mul_f64 v[0:1], v[14:15], v[0:1]
	global_store_dwordx2 v[16:17], v[0:1], off
	global_load_dwordx2 v[0:1], v[2:3], off
	v_lshlrev_b64 v[2:3], 3, v[19:20]
	v_add_u32_e32 v19, s7, v19
	v_add_co_u32_e32 v2, vcc, s8, v2
	v_addc_co_u32_e32 v3, vcc, v18, v3, vcc
	s_waitcnt vmcnt(0)
	v_mul_f64 v[0:1], v[14:15], v[0:1]
	global_store_dwordx2 v[2:3], v[0:1], off
	v_add_co_u32_e32 v2, vcc, s2, v8
	v_addc_co_u32_e32 v3, vcc, v60, v9, vcc
	v_add_co_u32_e32 v8, vcc, s2, v12
	v_addc_co_u32_e32 v9, vcc, v60, v13, vcc
	global_load_dwordx2 v[0:1], v[2:3], off
	global_load_dwordx2 v[12:13], v[8:9], off
	s_waitcnt vmcnt(0)
	v_add_f64 v[0:1], v[0:1], v[12:13]
	v_lshlrev_b64 v[12:13], 3, v[19:20]
	v_add_u32_e32 v19, s9, v19
	v_add_co_u32_e32 v12, vcc, s8, v12
	v_lshlrev_b64 v[26:27], 3, v[19:20]
	v_addc_co_u32_e32 v13, vcc, v18, v13, vcc
	v_mul_f64 v[0:1], v[14:15], v[0:1]
	v_add_u32_e32 v19, s4, v19
	v_lshlrev_b64 v[28:29], 3, v[19:20]
	v_add_u32_e32 v19, s4, v19
	v_lshlrev_b64 v[32:33], 3, v[19:20]
	;; [unrolled: 2-line block ×3, first 2 shown]
	v_add_u32_e32 v19, s4, v19
	global_store_dwordx2 v[12:13], v[0:1], off
	v_add_co_u32_e32 v0, vcc, s0, v26
	v_addc_co_u32_e32 v1, vcc, v61, v27, vcc
	v_add_co_u32_e32 v12, vcc, s0, v28
	v_addc_co_u32_e32 v13, vcc, v61, v29, vcc
	global_load_dwordx2 v[0:1], v[0:1], off
	v_lshlrev_b64 v[38:39], 3, v[19:20]
	global_load_dwordx2 v[12:13], v[12:13], off
	v_add_u32_e32 v19, s4, v19
	v_lshlrev_b64 v[42:43], 3, v[19:20]
	v_add_u32_e32 v19, s4, v19
	v_lshlrev_b64 v[44:45], 3, v[19:20]
	;; [unrolled: 2-line block ×4, first 2 shown]
	s_mul_i32 s9, s4, 0xffffffac
	v_add_u32_e32 v19, s9, v19
	v_lshlrev_b64 v[50:51], 3, v[19:20]
	s_waitcnt vmcnt(0)
	v_add_f64 v[0:1], v[0:1], v[12:13]
	v_add_co_u32_e32 v12, vcc, s0, v32
	v_addc_co_u32_e32 v13, vcc, v61, v33, vcc
	global_load_dwordx2 v[12:13], v[12:13], off
	s_waitcnt vmcnt(0)
	v_add_f64 v[0:1], v[0:1], v[12:13]
	v_add_co_u32_e32 v12, vcc, s0, v36
	v_addc_co_u32_e32 v13, vcc, v61, v37, vcc
	global_load_dwordx2 v[12:13], v[12:13], off
	;; [unrolled: 5-line block ×8, first 2 shown]
	s_waitcnt vmcnt(0)
	v_add_f64 v[0:1], v[0:1], v[12:13]
	v_mad_u64_u32 v[12:13], s[12:13], s4, 62, v[19:20]
	v_mov_b32_e32 v13, v20
	v_lshlrev_b64 v[52:53], 3, v[12:13]
	v_add_co_u32_e32 v13, vcc, s2, v52
	v_addc_co_u32_e32 v14, vcc, v60, v53, vcc
	global_load_dwordx2 v[13:14], v[13:14], off
	s_waitcnt vmcnt(0)
	v_add_f64 v[0:1], v[0:1], v[13:14]
	v_add_f64 v[0:1], v[0:1], v[6:7]
	v_mad_u64_u32 v[6:7], s[12:13], s4, 24, v[12:13]
	v_mov_b32_e32 v7, v20
	v_lshlrev_b64 v[54:55], 3, v[6:7]
	v_add_u32_e32 v19, s4, v6
	v_add_co_u32_e32 v12, vcc, s2, v54
	v_addc_co_u32_e32 v13, vcc, v60, v55, vcc
	global_load_dwordx2 v[12:13], v[12:13], off
	v_lshlrev_b64 v[56:57], 3, v[19:20]
	v_add_u32_e32 v19, s4, v19
	v_add_co_u32_e32 v6, vcc, s2, v56
	v_addc_co_u32_e32 v7, vcc, v60, v57, vcc
	global_load_dwordx2 v[6:7], v[6:7], off
	v_lshlrev_b64 v[58:59], 3, v[19:20]
	v_add_u32_e32 v19, s3, v19
	v_lshlrev_b64 v[62:63], 3, v[19:20]
	v_add_u32_e32 v19, s6, v19
	s_waitcnt vmcnt(1)
	v_add_f64 v[0:1], v[0:1], v[12:13]
	s_waitcnt vmcnt(0)
	v_add_f64 v[0:1], v[0:1], v[6:7]
	v_add_co_u32_e32 v6, vcc, s2, v58
	v_addc_co_u32_e32 v7, vcc, v60, v59, vcc
	global_load_dwordx2 v[6:7], v[6:7], off
	s_nop 0
	buffer_load_dword v4, off, s[20:23], 0 offset:72 ; 4-byte Folded Reload
	buffer_load_dword v5, off, s[20:23], 0 offset:76 ; 4-byte Folded Reload
	s_waitcnt vmcnt(2)
	v_add_f64 v[0:1], v[0:1], v[6:7]
	s_waitcnt vmcnt(0)
	global_load_dwordx2 v[6:7], v[4:5], off
	s_waitcnt vmcnt(0)
	v_add_f64 v[0:1], v[0:1], v[6:7]
	v_add_co_u32_e32 v6, vcc, s2, v62
	v_addc_co_u32_e32 v7, vcc, v60, v63, vcc
	global_load_dwordx2 v[6:7], v[6:7], off
	s_waitcnt vmcnt(0)
	v_add_f64 v[12:13], v[0:1], v[6:7]
	v_lshlrev_b64 v[6:7], 3, v[19:20]
	v_add_u32_e32 v19, s3, v19
	v_add_co_u32_e32 v4, vcc, s2, v6
	v_addc_co_u32_e32 v5, vcc, v60, v7, vcc
	global_load_dwordx2 v[14:15], v[4:5], off
	s_waitcnt vmcnt(0)
	v_add_f64 v[14:15], v[12:13], v[14:15]
	v_lshlrev_b64 v[12:13], 3, v[19:20]
	v_add_u32_e32 v19, s7, v19
	;; [unrolled: 7-line block ×3, first 2 shown]
	v_add_co_u32_e32 v16, vcc, s2, v14
	v_addc_co_u32_e32 v17, vcc, v60, v15, vcc
	buffer_store_dword v16, off, s[20:23], 0 ; 4-byte Folded Spill
	s_nop 0
	buffer_store_dword v17, off, s[20:23], 0 offset:4 ; 4-byte Folded Spill
	s_mul_i32 s5, s4, 0xffffffe4
	global_load_dwordx2 v[16:17], v[16:17], off
	s_waitcnt vmcnt(0)
	v_add_f64 v[0:1], v[0:1], v[16:17]
	v_add_co_u32_e32 v16, vcc, s0, v50
	v_addc_co_u32_e32 v17, vcc, v61, v51, vcc
	v_add_co_u32_e32 v50, vcc, s0, v52
	v_addc_co_u32_e32 v51, vcc, v61, v53, vcc
	global_load_dwordx2 v[16:17], v[16:17], off
	v_add_co_u32_e32 v26, vcc, s2, v26
	global_load_dwordx2 v[50:51], v[50:51], off
	v_addc_co_u32_e32 v27, vcc, v60, v27, vcc
	global_load_dwordx2 v[26:27], v[26:27], off
	s_waitcnt vmcnt(1)
	v_add_f64 v[16:17], v[16:17], v[50:51]
	s_waitcnt vmcnt(0)
	v_add_f64 v[16:17], v[16:17], v[26:27]
	v_add_co_u32_e32 v26, vcc, s2, v28
	v_addc_co_u32_e32 v27, vcc, v60, v29, vcc
	global_load_dwordx2 v[26:27], v[26:27], off
	s_waitcnt vmcnt(0)
	v_add_f64 v[16:17], v[16:17], v[26:27]
	v_add_co_u32_e32 v26, vcc, s2, v32
	v_addc_co_u32_e32 v27, vcc, v60, v33, vcc
	global_load_dwordx2 v[26:27], v[26:27], off
	s_waitcnt vmcnt(0)
	v_add_f64 v[16:17], v[16:17], v[26:27]
	v_add_co_u32_e32 v26, vcc, s2, v36
	v_addc_co_u32_e32 v27, vcc, v60, v37, vcc
	global_load_dwordx2 v[26:27], v[26:27], off
	s_waitcnt vmcnt(0)
	v_add_f64 v[16:17], v[16:17], v[26:27]
	v_add_co_u32_e32 v26, vcc, s2, v38
	v_addc_co_u32_e32 v27, vcc, v60, v39, vcc
	global_load_dwordx2 v[26:27], v[26:27], off
	s_waitcnt vmcnt(0)
	v_add_f64 v[16:17], v[16:17], v[26:27]
	v_add_co_u32_e32 v26, vcc, s2, v42
	v_addc_co_u32_e32 v27, vcc, v60, v43, vcc
	global_load_dwordx2 v[26:27], v[26:27], off
	s_waitcnt vmcnt(0)
	v_add_f64 v[16:17], v[16:17], v[26:27]
	v_add_co_u32_e32 v26, vcc, s2, v44
	v_addc_co_u32_e32 v27, vcc, v60, v45, vcc
	global_load_dwordx2 v[26:27], v[26:27], off
	s_waitcnt vmcnt(0)
	v_add_f64 v[16:17], v[16:17], v[26:27]
	v_add_co_u32_e32 v26, vcc, s2, v46
	v_addc_co_u32_e32 v27, vcc, v60, v47, vcc
	global_load_dwordx2 v[26:27], v[26:27], off
	s_waitcnt vmcnt(0)
	v_add_f64 v[16:17], v[16:17], v[26:27]
	v_add_co_u32_e32 v26, vcc, s2, v48
	v_addc_co_u32_e32 v27, vcc, v60, v49, vcc
	global_load_dwordx2 v[26:27], v[26:27], off
	s_nop 0
	buffer_load_dword v24, off, s[20:23], 0 offset:104 ; 4-byte Folded Reload
	buffer_load_dword v25, off, s[20:23], 0 offset:108 ; 4-byte Folded Reload
	s_waitcnt vmcnt(2)
	v_add_f64 v[16:17], v[16:17], v[26:27]
	s_waitcnt vmcnt(0)
	global_load_dwordx2 v[26:27], v[24:25], off
	s_waitcnt vmcnt(0)
	v_add_f64 v[16:17], v[16:17], v[26:27]
	v_add_co_u32_e32 v26, vcc, s0, v54
	v_addc_co_u32_e32 v27, vcc, v61, v55, vcc
	global_load_dwordx2 v[26:27], v[26:27], off
	s_waitcnt vmcnt(0)
	v_add_f64 v[16:17], v[16:17], v[26:27]
	v_add_co_u32_e32 v26, vcc, s0, v56
	v_addc_co_u32_e32 v27, vcc, v61, v57, vcc
	;; [unrolled: 5-line block ×4, first 2 shown]
	global_load_dwordx2 v[26:27], v[26:27], off
	s_nop 0
	buffer_load_dword v24, off, s[20:23], 0 offset:96 ; 4-byte Folded Reload
	buffer_load_dword v25, off, s[20:23], 0 offset:100 ; 4-byte Folded Reload
	s_waitcnt vmcnt(2)
	v_add_f64 v[16:17], v[16:17], v[26:27]
	s_waitcnt vmcnt(0)
	global_load_dwordx2 v[26:27], v[24:25], off
	s_waitcnt vmcnt(0)
	v_add_f64 v[16:17], v[16:17], v[26:27]
	global_load_dwordx2 v[10:11], v[10:11], off
	s_waitcnt vmcnt(0)
	v_add_f64 v[16:17], v[16:17], v[10:11]
	v_div_scale_f64 v[10:11], s[6:7], v[0:1], v[0:1], 1.0
	v_rcp_f64_e32 v[26:27], v[10:11]
	v_fma_f64 v[28:29], -v[10:11], v[26:27], 1.0
	v_fma_f64 v[26:27], v[26:27], v[28:29], v[26:27]
	v_fma_f64 v[28:29], -v[10:11], v[26:27], 1.0
	v_fma_f64 v[26:27], v[26:27], v[28:29], v[26:27]
	v_div_scale_f64 v[28:29], vcc, 1.0, v[0:1], 1.0
	v_mul_f64 v[32:33], v[28:29], v[26:27]
	v_fma_f64 v[10:11], -v[10:11], v[32:33], v[28:29]
	s_nop 1
	v_div_fmas_f64 v[10:11], v[10:11], v[26:27], v[32:33]
	v_div_fixup_f64 v[10:11], v[10:11], v[0:1], 1.0
	v_mul_f64 v[0:1], v[10:11], v[16:17]
	buffer_load_dword v16, off, s[20:23], 0 offset:88 ; 4-byte Folded Reload
	buffer_load_dword v17, off, s[20:23], 0 offset:92 ; 4-byte Folded Reload
	s_waitcnt vmcnt(1)
	v_add_co_u32_e32 v16, vcc, s8, v16
	s_waitcnt vmcnt(0)
	v_addc_co_u32_e32 v17, vcc, v18, v17, vcc
	global_store_dwordx2 v[16:17], v[0:1], off
	buffer_load_dword v0, off, s[20:23], 0 offset:56 ; 4-byte Folded Reload
	s_nop 0
	buffer_load_dword v1, off, s[20:23], 0 offset:60 ; 4-byte Folded Reload
	s_waitcnt vmcnt(0)
	global_load_dwordx2 v[0:1], v[0:1], off
	s_nop 0
	buffer_load_dword v16, off, s[20:23], 0 offset:24 ; 4-byte Folded Reload
	buffer_load_dword v17, off, s[20:23], 0 offset:28 ; 4-byte Folded Reload
	s_waitcnt vmcnt(2)
	v_mul_f64 v[0:1], v[10:11], v[0:1]
	s_waitcnt vmcnt(1)
	v_add_co_u32_e32 v16, vcc, s8, v16
	s_waitcnt vmcnt(0)
	v_addc_co_u32_e32 v17, vcc, v18, v17, vcc
	global_store_dwordx2 v[16:17], v[0:1], off
	buffer_load_dword v0, off, s[20:23], 0 offset:48 ; 4-byte Folded Reload
	s_nop 0
	buffer_load_dword v1, off, s[20:23], 0 offset:52 ; 4-byte Folded Reload
	s_waitcnt vmcnt(0)
	global_load_dwordx2 v[0:1], v[0:1], off
	s_nop 0
	buffer_load_dword v16, off, s[20:23], 0 offset:32 ; 4-byte Folded Reload
	buffer_load_dword v17, off, s[20:23], 0 offset:36 ; 4-byte Folded Reload
	s_waitcnt vmcnt(2)
	v_mul_f64 v[0:1], v[10:11], v[0:1]
	s_waitcnt vmcnt(1)
	v_add_co_u32_e32 v16, vcc, s8, v16
	s_waitcnt vmcnt(0)
	v_addc_co_u32_e32 v17, vcc, v18, v17, vcc
	global_store_dwordx2 v[16:17], v[0:1], off
	v_add_co_u32_e32 v0, vcc, s0, v6
	v_addc_co_u32_e32 v1, vcc, v61, v7, vcc
	v_add_co_u32_e32 v12, vcc, s0, v12
	v_addc_co_u32_e32 v13, vcc, v61, v13, vcc
	;; [unrolled: 2-line block ×3, first 2 shown]
	global_load_dwordx2 v[26:27], v[0:1], off
	global_load_dwordx2 v[14:15], v[6:7], off
	s_nop 0
	global_load_dwordx2 v[0:1], v[12:13], off
	s_waitcnt vmcnt(0)
	v_add_f64 v[0:1], v[26:27], v[0:1]
	v_add_f64 v[0:1], v[0:1], v[14:15]
	v_mul_f64 v[0:1], v[10:11], v[0:1]
	buffer_load_dword v10, off, s[20:23], 0 offset:40 ; 4-byte Folded Reload
	buffer_load_dword v11, off, s[20:23], 0 offset:44 ; 4-byte Folded Reload
	s_waitcnt vmcnt(1)
	v_add_co_u32_e32 v10, vcc, s8, v10
	s_waitcnt vmcnt(0)
	v_addc_co_u32_e32 v11, vcc, v18, v11, vcc
	global_store_dwordx2 v[10:11], v[0:1], off
	v_lshlrev_b64 v[0:1], 3, v[19:20]
	v_add_u32_e32 v19, s4, v19
	v_add_co_u32_e32 v10, vcc, s0, v0
	v_lshlrev_b64 v[14:15], 3, v[19:20]
	v_addc_co_u32_e32 v11, vcc, v61, v1, vcc
	v_add_co_u32_e32 v16, vcc, s0, v14
	v_addc_co_u32_e32 v17, vcc, v61, v15, vcc
	global_load_dwordx2 v[10:11], v[10:11], off
	v_add_u32_e32 v19, s3, v19
	global_load_dwordx2 v[16:17], v[16:17], off
	s_waitcnt vmcnt(0)
	v_add_f64 v[10:11], v[10:11], v[16:17]
	buffer_load_dword v16, off, s[20:23], 0 offset:152 ; 4-byte Folded Reload
	buffer_load_dword v17, off, s[20:23], 0 offset:156 ; 4-byte Folded Reload
	s_nop 0
	global_load_dwordx2 v[2:3], v[2:3], off
	s_nop 0
	global_load_dwordx2 v[8:9], v[8:9], off
	s_waitcnt vmcnt(2)
	global_load_dwordx2 v[16:17], v[16:17], off
	s_waitcnt vmcnt(0)
	v_add_f64 v[10:11], v[10:11], v[16:17]
	v_lshlrev_b64 v[16:17], 3, v[19:20]
	v_add_u32_e32 v19, s4, v19
	v_add_co_u32_e32 v28, vcc, s0, v16
	v_addc_co_u32_e32 v29, vcc, v61, v17, vcc
	global_load_dwordx2 v[28:29], v[28:29], off
	s_waitcnt vmcnt(0)
	v_add_f64 v[10:11], v[10:11], v[28:29]
	v_lshlrev_b64 v[28:29], 3, v[19:20]
	v_add_u32_e32 v19, s4, v19
	v_add_co_u32_e32 v32, vcc, s0, v28
	v_addc_co_u32_e32 v33, vcc, v61, v29, vcc
	;; [unrolled: 7-line block ×5, first 2 shown]
	global_load_dwordx2 v[42:43], v[42:43], off
	s_mul_i32 s5, s4, 0xffffffe9
	s_waitcnt vmcnt(0)
	v_add_f64 v[10:11], v[10:11], v[42:43]
	v_lshlrev_b64 v[42:43], 3, v[19:20]
	v_add_u32_e32 v19, s5, v19
	v_add_co_u32_e32 v44, vcc, s2, v42
	v_addc_co_u32_e32 v45, vcc, v60, v43, vcc
	global_load_dwordx2 v[44:45], v[44:45], off
	s_mul_i32 s5, s4, 0x61
	s_waitcnt vmcnt(0)
	v_add_f64 v[10:11], v[10:11], v[44:45]
	v_add_f64 v[2:3], v[10:11], v[2:3]
	;; [unrolled: 1-line block ×3, first 2 shown]
	v_add_co_u32_e32 v8, vcc, s0, v42
	v_addc_co_u32_e32 v9, vcc, v61, v43, vcc
	v_add_co_u32_e32 v0, vcc, s2, v0
	v_addc_co_u32_e32 v1, vcc, v60, v1, vcc
	global_load_dwordx2 v[8:9], v[8:9], off
	s_nop 0
	global_load_dwordx2 v[0:1], v[0:1], off
	s_waitcnt vmcnt(0)
	v_add_f64 v[0:1], v[8:9], v[0:1]
	v_add_co_u32_e32 v8, vcc, s2, v14
	v_addc_co_u32_e32 v9, vcc, v60, v15, vcc
	global_load_dwordx2 v[8:9], v[8:9], off
	s_waitcnt vmcnt(0)
	v_add_f64 v[0:1], v[0:1], v[8:9]
	v_add_co_u32_e32 v8, vcc, s2, v16
	v_addc_co_u32_e32 v9, vcc, v60, v17, vcc
	;; [unrolled: 5-line block ×6, first 2 shown]
	global_load_dwordx2 v[8:9], v[8:9], off
	s_waitcnt vmcnt(0)
	v_add_f64 v[0:1], v[0:1], v[8:9]
	v_div_scale_f64 v[8:9], s[6:7], v[2:3], v[2:3], 1.0
	v_rcp_f64_e32 v[10:11], v[8:9]
	v_fma_f64 v[14:15], -v[8:9], v[10:11], 1.0
	v_fma_f64 v[10:11], v[10:11], v[14:15], v[10:11]
	v_fma_f64 v[14:15], -v[8:9], v[10:11], 1.0
	v_fma_f64 v[10:11], v[10:11], v[14:15], v[10:11]
	v_div_scale_f64 v[14:15], vcc, 1.0, v[2:3], 1.0
	v_mul_f64 v[16:17], v[14:15], v[10:11]
	v_fma_f64 v[8:9], -v[8:9], v[16:17], v[14:15]
	s_nop 1
	v_div_fmas_f64 v[8:9], v[8:9], v[10:11], v[16:17]
	v_div_fixup_f64 v[2:3], v[8:9], v[2:3], 1.0
	v_add_co_u32_e32 v8, vcc, s8, v40
	v_addc_co_u32_e32 v9, vcc, v18, v41, vcc
	v_mul_f64 v[0:1], v[2:3], v[0:1]
	global_store_dwordx2 v[8:9], v[0:1], off
	buffer_load_dword v0, off, s[20:23], 0 offset:16 ; 4-byte Folded Reload
	s_nop 0
	buffer_load_dword v1, off, s[20:23], 0 offset:20 ; 4-byte Folded Reload
	v_lshlrev_b64 v[8:9], 3, v[19:20]
	v_add_u32_e32 v19, s5, v19
	v_add_co_u32_e32 v8, vcc, s8, v8
	v_addc_co_u32_e32 v9, vcc, v18, v9, vcc
	s_waitcnt vmcnt(0)
	global_load_dwordx2 v[0:1], v[0:1], off
	s_waitcnt vmcnt(0)
	v_mul_f64 v[0:1], v[2:3], v[0:1]
	global_store_dwordx2 v[8:9], v[0:1], off
	global_load_dwordx2 v[0:1], v[30:31], off
	s_nop 0
	global_load_dwordx2 v[8:9], v[34:35], off
	s_waitcnt vmcnt(0)
	v_add_f64 v[0:1], v[0:1], v[8:9]
	v_mul_f64 v[0:1], v[2:3], v[0:1]
	buffer_load_dword v2, off, s[20:23], 0 offset:8 ; 4-byte Folded Reload
	buffer_load_dword v3, off, s[20:23], 0 offset:12 ; 4-byte Folded Reload
	global_load_dwordx2 v[8:9], v[12:13], off
	s_waitcnt vmcnt(2)
	v_add_co_u32_e32 v2, vcc, s8, v2
	s_waitcnt vmcnt(1)
	v_addc_co_u32_e32 v3, vcc, v18, v3, vcc
	global_store_dwordx2 v[2:3], v[0:1], off
	v_lshlrev_b64 v[0:1], 3, v[19:20]
	global_load_dwordx2 v[6:7], v[6:7], off
	v_add_co_u32_e32 v2, vcc, s0, v0
	v_addc_co_u32_e32 v3, vcc, v61, v1, vcc
	global_load_dwordx2 v[2:3], v[2:3], off
	v_add_u32_e32 v19, s3, v19
	s_waitcnt vmcnt(0)
	v_add_f64 v[2:3], v[26:27], v[2:3]
	v_add_f64 v[2:3], v[2:3], v[8:9]
	v_lshlrev_b64 v[8:9], 3, v[19:20]
	v_add_u32_e32 v19, s4, v19
	v_add_co_u32_e32 v10, vcc, s0, v8
	v_addc_co_u32_e32 v11, vcc, v61, v9, vcc
	global_load_dwordx2 v[10:11], v[10:11], off
	s_waitcnt vmcnt(0)
	v_add_f64 v[2:3], v[2:3], v[10:11]
	v_lshlrev_b64 v[10:11], 3, v[19:20]
	v_add_u32_e32 v19, s3, v19
	v_add_co_u32_e32 v12, vcc, s0, v10
	v_addc_co_u32_e32 v13, vcc, v61, v11, vcc
	global_load_dwordx2 v[12:13], v[12:13], off
	s_mul_i32 s3, s4, 0xffffffdc
	s_mulk_i32 s4, 0xffb0
	s_waitcnt vmcnt(0)
	v_add_f64 v[2:3], v[2:3], v[12:13]
	v_add_f64 v[2:3], v[2:3], v[6:7]
	v_lshlrev_b64 v[6:7], 3, v[19:20]
	v_add_u32_e32 v19, s3, v19
	v_add_co_u32_e32 v12, vcc, s0, v6
	v_addc_co_u32_e32 v13, vcc, v61, v7, vcc
	global_load_dwordx2 v[12:13], v[12:13], off
	s_waitcnt vmcnt(0)
	v_add_f64 v[2:3], v[2:3], v[12:13]
	v_lshlrev_b64 v[12:13], 3, v[19:20]
	v_add_u32_e32 v19, s10, v19
	v_add_co_u32_e32 v14, vcc, s2, v12
	v_addc_co_u32_e32 v15, vcc, v60, v13, vcc
	global_load_dwordx2 v[14:15], v[14:15], off
	s_waitcnt vmcnt(0)
	v_add_f64 v[2:3], v[2:3], v[14:15]
	v_lshlrev_b64 v[14:15], 3, v[19:20]
	v_add_u32_e32 v19, s4, v19
	v_add_co_u32_e32 v16, vcc, s2, v14
	v_addc_co_u32_e32 v17, vcc, v60, v15, vcc
	v_add_co_u32_e32 v12, vcc, s0, v12
	v_addc_co_u32_e32 v13, vcc, v61, v13, vcc
	;; [unrolled: 2-line block ×3, first 2 shown]
	global_load_dwordx2 v[12:13], v[12:13], off
	v_add_co_u32_e32 v0, vcc, s2, v0
	global_load_dwordx2 v[14:15], v[14:15], off
	v_addc_co_u32_e32 v1, vcc, v60, v1, vcc
	global_load_dwordx2 v[0:1], v[0:1], off
	v_add_co_u32_e32 v8, vcc, s2, v8
	v_addc_co_u32_e32 v9, vcc, v60, v9, vcc
	global_load_dwordx2 v[8:9], v[8:9], off
	s_waitcnt vmcnt(2)
	v_add_f64 v[12:13], v[12:13], v[14:15]
	global_load_dwordx2 v[16:17], v[16:17], off
	s_waitcnt vmcnt(2)
	v_add_f64 v[0:1], v[12:13], v[0:1]
	s_waitcnt vmcnt(1)
	v_add_f64 v[0:1], v[0:1], v[8:9]
	v_add_co_u32_e32 v8, vcc, s2, v10
	v_addc_co_u32_e32 v9, vcc, v60, v11, vcc
	global_load_dwordx2 v[8:9], v[8:9], off
	v_add_co_u32_e32 v6, vcc, s2, v6
	v_addc_co_u32_e32 v7, vcc, v60, v7, vcc
	global_load_dwordx2 v[6:7], v[6:7], off
	s_waitcnt vmcnt(2)
	v_add_f64 v[2:3], v[2:3], v[16:17]
	s_waitcnt vmcnt(1)
	v_add_f64 v[0:1], v[0:1], v[8:9]
	;; [unrolled: 2-line block ×3, first 2 shown]
	v_div_scale_f64 v[6:7], s[2:3], v[2:3], v[2:3], 1.0
	v_rcp_f64_e32 v[8:9], v[6:7]
	v_fma_f64 v[10:11], -v[6:7], v[8:9], 1.0
	v_fma_f64 v[8:9], v[8:9], v[10:11], v[8:9]
	v_fma_f64 v[10:11], -v[6:7], v[8:9], 1.0
	v_fma_f64 v[8:9], v[8:9], v[10:11], v[8:9]
	v_div_scale_f64 v[10:11], vcc, 1.0, v[2:3], 1.0
	v_mul_f64 v[12:13], v[10:11], v[8:9]
	v_fma_f64 v[6:7], -v[6:7], v[12:13], v[10:11]
	s_nop 1
	v_div_fmas_f64 v[6:7], v[6:7], v[8:9], v[12:13]
	v_div_fixup_f64 v[2:3], v[6:7], v[2:3], 1.0
	v_lshlrev_b64 v[6:7], 3, v[19:20]
	v_add_u32_e32 v19, s1, v19
	v_add_co_u32_e32 v6, vcc, s8, v6
	v_addc_co_u32_e32 v7, vcc, v18, v7, vcc
	v_mul_f64 v[0:1], v[2:3], v[0:1]
	global_store_dwordx2 v[6:7], v[0:1], off
	global_load_dwordx2 v[0:1], v[4:5], off
	s_nop 0
	global_load_dwordx2 v[6:7], v[22:23], off
	s_waitcnt vmcnt(0)
	v_add_f64 v[4:5], v[0:1], v[6:7]
	buffer_load_dword v0, off, s[20:23], 0  ; 4-byte Folded Reload
	buffer_load_dword v1, off, s[20:23], 0 offset:4 ; 4-byte Folded Reload
	s_waitcnt vmcnt(0)
	global_load_dwordx2 v[6:7], v[0:1], off
	s_waitcnt vmcnt(0)
	v_add_f64 v[0:1], v[4:5], v[6:7]
	v_mul_f64 v[0:1], v[2:3], v[0:1]
	v_lshlrev_b64 v[2:3], 3, v[19:20]
	v_add_co_u32_e32 v2, vcc, s8, v2
	v_addc_co_u32_e32 v3, vcc, v18, v3, vcc
	global_store_dwordx2 v[2:3], v[0:1], off
	s_endpgm
	.section	.rodata,"a",@progbits
	.p2align	6, 0x0
	.amdhsa_kernel _Z11qssa_kernelIdEvPT_S1_S1_
		.amdhsa_group_segment_fixed_size 0
		.amdhsa_private_segment_fixed_size 348
		.amdhsa_kernarg_size 280
		.amdhsa_user_sgpr_count 6
		.amdhsa_user_sgpr_private_segment_buffer 1
		.amdhsa_user_sgpr_dispatch_ptr 0
		.amdhsa_user_sgpr_queue_ptr 0
		.amdhsa_user_sgpr_kernarg_segment_ptr 1
		.amdhsa_user_sgpr_dispatch_id 0
		.amdhsa_user_sgpr_flat_scratch_init 0
		.amdhsa_user_sgpr_private_segment_size 0
		.amdhsa_uses_dynamic_stack 0
		.amdhsa_system_sgpr_private_segment_wavefront_offset 1
		.amdhsa_system_sgpr_workgroup_id_x 1
		.amdhsa_system_sgpr_workgroup_id_y 0
		.amdhsa_system_sgpr_workgroup_id_z 0
		.amdhsa_system_sgpr_workgroup_info 0
		.amdhsa_system_vgpr_workitem_id 0
		.amdhsa_next_free_vgpr 64
		.amdhsa_next_free_sgpr 24
		.amdhsa_reserve_vcc 1
		.amdhsa_reserve_flat_scratch 0
		.amdhsa_float_round_mode_32 0
		.amdhsa_float_round_mode_16_64 0
		.amdhsa_float_denorm_mode_32 3
		.amdhsa_float_denorm_mode_16_64 3
		.amdhsa_dx10_clamp 1
		.amdhsa_ieee_mode 1
		.amdhsa_fp16_overflow 0
		.amdhsa_exception_fp_ieee_invalid_op 0
		.amdhsa_exception_fp_denorm_src 0
		.amdhsa_exception_fp_ieee_div_zero 0
		.amdhsa_exception_fp_ieee_overflow 0
		.amdhsa_exception_fp_ieee_underflow 0
		.amdhsa_exception_fp_ieee_inexact 0
		.amdhsa_exception_int_div_zero 0
	.end_amdhsa_kernel
	.section	.text._Z11qssa_kernelIdEvPT_S1_S1_,"axG",@progbits,_Z11qssa_kernelIdEvPT_S1_S1_,comdat
.Lfunc_end43:
	.size	_Z11qssa_kernelIdEvPT_S1_S1_, .Lfunc_end43-_Z11qssa_kernelIdEvPT_S1_S1_
                                        ; -- End function
	.set _Z11qssa_kernelIdEvPT_S1_S1_.num_vgpr, 64
	.set _Z11qssa_kernelIdEvPT_S1_S1_.num_agpr, 0
	.set _Z11qssa_kernelIdEvPT_S1_S1_.numbered_sgpr, 24
	.set _Z11qssa_kernelIdEvPT_S1_S1_.num_named_barrier, 0
	.set _Z11qssa_kernelIdEvPT_S1_S1_.private_seg_size, 348
	.set _Z11qssa_kernelIdEvPT_S1_S1_.uses_vcc, 1
	.set _Z11qssa_kernelIdEvPT_S1_S1_.uses_flat_scratch, 0
	.set _Z11qssa_kernelIdEvPT_S1_S1_.has_dyn_sized_stack, 0
	.set _Z11qssa_kernelIdEvPT_S1_S1_.has_recursion, 0
	.set _Z11qssa_kernelIdEvPT_S1_S1_.has_indirect_call, 0
	.section	.AMDGPU.csdata,"",@progbits
; Kernel info:
; codeLenInByte = 15500
; TotalNumSgprs: 28
; NumVgprs: 64
; ScratchSize: 348
; MemoryBound: 1
; FloatMode: 240
; IeeeMode: 1
; LDSByteSize: 0 bytes/workgroup (compile time only)
; SGPRBlocks: 3
; VGPRBlocks: 15
; NumSGPRsForWavesPerEU: 28
; NumVGPRsForWavesPerEU: 64
; Occupancy: 4
; WaveLimiterHint : 1
; COMPUTE_PGM_RSRC2:SCRATCH_EN: 1
; COMPUTE_PGM_RSRC2:USER_SGPR: 6
; COMPUTE_PGM_RSRC2:TRAP_HANDLER: 0
; COMPUTE_PGM_RSRC2:TGID_X_EN: 1
; COMPUTE_PGM_RSRC2:TGID_Y_EN: 0
; COMPUTE_PGM_RSRC2:TGID_Z_EN: 0
; COMPUTE_PGM_RSRC2:TIDIG_COMP_CNT: 0
	.section	.text._Z12qssab_kernelIdEvPT_S1_S1_,"axG",@progbits,_Z12qssab_kernelIdEvPT_S1_S1_,comdat
	.protected	_Z12qssab_kernelIdEvPT_S1_S1_ ; -- Begin function _Z12qssab_kernelIdEvPT_S1_S1_
	.globl	_Z12qssab_kernelIdEvPT_S1_S1_
	.p2align	8
	.type	_Z12qssab_kernelIdEvPT_S1_S1_,@function
_Z12qssab_kernelIdEvPT_S1_S1_:          ; @_Z12qssab_kernelIdEvPT_S1_S1_
; %bb.0:
	s_load_dword s2, s[4:5], 0x24
	s_load_dword s3, s[4:5], 0x18
	s_load_dwordx2 s[0:1], s[4:5], 0x10
	v_mov_b32_e32 v13, 0
	s_waitcnt lgkmcnt(0)
	s_and_b32 s4, s2, 0xffff
	s_mul_i32 s2, s3, s4
	s_mul_i32 s3, s2, 0x57
	;; [unrolled: 1-line block ×3, first 2 shown]
	s_add_i32 s3, s3, s6
	v_add_u32_e32 v12, s3, v0
	v_mad_u64_u32 v[2:3], s[4:5], s2, 10, v[12:13]
	v_lshlrev_b64 v[0:1], 3, v[12:13]
	v_mov_b32_e32 v52, s1
	v_add_co_u32_e32 v18, vcc, s0, v0
	v_mov_b32_e32 v3, v13
	v_addc_co_u32_e32 v19, vcc, v52, v1, vcc
	v_lshlrev_b64 v[0:1], 3, v[2:3]
	v_mad_u64_u32 v[2:3], s[4:5], s2, 12, v[2:3]
	v_mov_b32_e32 v3, v13
	v_add_co_u32_e32 v0, vcc, s0, v0
	v_lshlrev_b64 v[3:4], 3, v[2:3]
	v_addc_co_u32_e32 v1, vcc, v52, v1, vcc
	v_add_co_u32_e32 v3, vcc, s0, v3
	v_addc_co_u32_e32 v4, vcc, v52, v4, vcc
	global_load_dwordx2 v[5:6], v[18:19], off
	global_load_dwordx2 v[7:8], v[0:1], off
	;; [unrolled: 1-line block ×3, first 2 shown]
	v_lshl_add_u32 v12, s2, 3, v2
	s_mul_i32 s1, s2, 0xffffffe6
	s_mul_i32 s7, s2, 5
	;; [unrolled: 1-line block ×4, first 2 shown]
	s_waitcnt vmcnt(0)
	v_fma_f64 v[3:4], v[7:8], v[9:10], v[5:6]
	v_lshlrev_b64 v[5:6], 3, v[12:13]
	v_add_u32_e32 v12, s1, v12
	v_add_co_u32_e32 v5, vcc, s0, v5
	v_addc_co_u32_e32 v6, vcc, v52, v6, vcc
	s_mul_i32 s1, s2, 3
	global_store_dwordx2 v[18:19], v[3:4], off
	global_load_dwordx2 v[7:8], v[0:1], off
	global_load_dwordx2 v[9:10], v[5:6], off
	s_waitcnt vmcnt(0)
	v_fma_f64 v[0:1], -v[7:8], v[9:10], 1.0
	v_div_scale_f64 v[5:6], s[4:5], v[0:1], v[0:1], 1.0
	s_mul_i32 s5, s2, 0xffffffc6
	s_mul_i32 s4, s2, 9
	v_rcp_f64_e32 v[7:8], v[5:6]
	v_fma_f64 v[9:10], -v[5:6], v[7:8], 1.0
	v_fma_f64 v[7:8], v[7:8], v[9:10], v[7:8]
	v_div_scale_f64 v[9:10], vcc, 1.0, v[0:1], 1.0
	v_fma_f64 v[14:15], -v[5:6], v[7:8], 1.0
	v_fma_f64 v[7:8], v[7:8], v[14:15], v[7:8]
	v_mul_f64 v[14:15], v[9:10], v[7:8]
	v_fma_f64 v[5:6], -v[5:6], v[14:15], v[9:10]
	v_div_fmas_f64 v[5:6], v[5:6], v[7:8], v[14:15]
	v_div_fixup_f64 v[5:6], v[5:6], v[0:1], 1.0
	v_mul_f64 v[0:1], v[3:4], v[5:6]
	v_lshlrev_b64 v[2:3], 3, v[12:13]
	v_subrev_u32_e32 v12, s2, v12
	v_add_co_u32_e32 v28, vcc, s0, v2
	v_addc_co_u32_e32 v29, vcc, v52, v3, vcc
	v_lshlrev_b64 v[2:3], 3, v[12:13]
	global_store_dwordx2 v[18:19], v[0:1], off
	global_load_dwordx2 v[0:1], v[28:29], off
	v_add_co_u32_e32 v30, vcc, s0, v2
	v_addc_co_u32_e32 v31, vcc, v52, v3, vcc
	v_add_u32_e32 v12, s5, v12
	s_waitcnt vmcnt(0)
	v_mul_f64 v[0:1], v[0:1], v[5:6]
	global_store_dwordx2 v[28:29], v[0:1], off
	global_load_dwordx2 v[2:3], v[30:31], off
	v_lshlrev_b64 v[0:1], 3, v[12:13]
	v_add_u32_e32 v12, s7, v12
	v_mad_u64_u32 v[9:10], s[8:9], s2, 17, v[12:13]
	v_lshlrev_b64 v[7:8], 3, v[12:13]
	v_add_co_u32_e32 v0, vcc, s0, v0
	v_mov_b32_e32 v10, v13
	v_addc_co_u32_e32 v1, vcc, v52, v1, vcc
	v_add_co_u32_e32 v4, vcc, s0, v7
	v_add_u32_e32 v12, s1, v9
	s_waitcnt vmcnt(0)
	v_mul_f64 v[2:3], v[5:6], v[2:3]
	v_lshlrev_b64 v[6:7], 3, v[9:10]
	v_addc_co_u32_e32 v5, vcc, v52, v8, vcc
	v_add_co_u32_e32 v6, vcc, s0, v6
	v_addc_co_u32_e32 v7, vcc, v52, v7, vcc
	global_store_dwordx2 v[30:31], v[2:3], off
	global_load_dwordx2 v[2:3], v[0:1], off
	s_nop 0
	global_load_dwordx2 v[10:11], v[6:7], off
	global_load_dwordx2 v[14:15], v[4:5], off
	v_lshlrev_b64 v[6:7], 3, v[12:13]
	v_add_u32_e32 v12, s3, v12
	v_add_co_u32_e32 v6, vcc, s0, v6
	v_addc_co_u32_e32 v7, vcc, v52, v7, vcc
	s_lshl_b32 s3, s2, 1
	s_waitcnt vmcnt(0)
	v_fma_f64 v[2:3], v[14:15], v[10:11], v[2:3]
	global_store_dwordx2 v[0:1], v[2:3], off
	global_load_dwordx2 v[8:9], v[4:5], off
	global_load_dwordx2 v[10:11], v[6:7], off
	s_waitcnt vmcnt(0)
	v_fma_f64 v[4:5], -v[8:9], v[10:11], 1.0
	v_div_scale_f64 v[6:7], s[8:9], v[4:5], v[4:5], 1.0
	s_mul_i32 s8, s2, 7
	s_mul_i32 s9, s2, 0xffffffc8
	v_rcp_f64_e32 v[8:9], v[6:7]
	v_fma_f64 v[10:11], -v[6:7], v[8:9], 1.0
	v_fma_f64 v[8:9], v[8:9], v[10:11], v[8:9]
	v_div_scale_f64 v[10:11], vcc, 1.0, v[4:5], 1.0
	v_fma_f64 v[14:15], -v[6:7], v[8:9], 1.0
	v_fma_f64 v[8:9], v[8:9], v[14:15], v[8:9]
	v_mul_f64 v[14:15], v[10:11], v[8:9]
	v_fma_f64 v[6:7], -v[6:7], v[14:15], v[10:11]
	v_div_fmas_f64 v[6:7], v[6:7], v[8:9], v[14:15]
	v_div_fixup_f64 v[6:7], v[6:7], v[4:5], 1.0
	v_mul_f64 v[4:5], v[2:3], v[6:7]
	v_lshlrev_b64 v[2:3], 3, v[12:13]
	v_subrev_u32_e32 v12, s3, v12
	v_add_co_u32_e32 v2, vcc, s0, v2
	v_addc_co_u32_e32 v3, vcc, v52, v3, vcc
	v_lshlrev_b64 v[8:9], 3, v[12:13]
	global_store_dwordx2 v[0:1], v[4:5], off
	global_load_dwordx2 v[4:5], v[2:3], off
	v_add_co_u32_e32 v10, vcc, s0, v8
	v_addc_co_u32_e32 v11, vcc, v52, v9, vcc
	v_subrev_u32_e32 v12, s2, v12
	v_lshlrev_b64 v[8:9], 3, v[12:13]
	v_add_u32_e32 v12, s8, v12
	v_add_co_u32_e32 v26, vcc, s0, v8
	v_addc_co_u32_e32 v27, vcc, v52, v9, vcc
	v_lshlrev_b64 v[8:9], 3, v[12:13]
	v_subrev_u32_e32 v12, s3, v12
	v_add_co_u32_e32 v34, vcc, s0, v8
	v_addc_co_u32_e32 v35, vcc, v52, v9, vcc
	v_lshlrev_b64 v[8:9], 3, v[12:13]
	v_add_u32_e32 v12, s7, v12
	v_add_co_u32_e32 v32, vcc, s0, v8
	v_addc_co_u32_e32 v33, vcc, v52, v9, vcc
	s_waitcnt vmcnt(0)
	v_mul_f64 v[4:5], v[4:5], v[6:7]
	global_store_dwordx2 v[2:3], v[4:5], off
	global_load_dwordx2 v[4:5], v[10:11], off
	s_waitcnt vmcnt(0)
	v_mul_f64 v[4:5], v[6:7], v[4:5]
	global_store_dwordx2 v[10:11], v[4:5], off
	global_load_dwordx2 v[4:5], v[26:27], off
	;; [unrolled: 4-line block ×4, first 2 shown]
	v_lshlrev_b64 v[4:5], 3, v[12:13]
	v_add_u32_e32 v12, s4, v12
	v_mad_u64_u32 v[20:21], s[10:11], s2, 46, v[12:13]
	v_lshlrev_b64 v[14:15], 3, v[12:13]
	v_add_co_u32_e32 v4, vcc, s0, v4
	v_mov_b32_e32 v21, v13
	v_addc_co_u32_e32 v5, vcc, v52, v5, vcc
	v_add_co_u32_e32 v14, vcc, s0, v14
	v_addc_co_u32_e32 v15, vcc, v52, v15, vcc
	v_add_u32_e32 v12, s6, v20
	v_mad_u64_u32 v[38:39], s[10:11], s2, 55, v[12:13]
	v_lshlrev_b64 v[36:37], 3, v[12:13]
	v_mov_b32_e32 v39, v13
	s_mul_i32 s6, s2, -3
	v_add_u32_e32 v12, s6, v38
	s_waitcnt vmcnt(0)
	v_mul_f64 v[6:7], v[6:7], v[8:9]
	v_lshlrev_b64 v[8:9], 3, v[20:21]
	v_add_co_u32_e32 v16, vcc, s0, v8
	v_addc_co_u32_e32 v17, vcc, v52, v9, vcc
	global_store_dwordx2 v[32:33], v[6:7], off
	global_load_dwordx2 v[7:8], v[4:5], off
	s_nop 0
	global_load_dwordx2 v[21:22], v[14:15], off
	global_load_dwordx2 v[23:24], v[16:17], off
	v_add_co_u32_e32 v6, vcc, s0, v36
	s_waitcnt vmcnt(0)
	v_fma_f64 v[8:9], v[21:22], v[23:24], v[7:8]
	v_lshlrev_b64 v[20:21], 3, v[38:39]
	v_addc_co_u32_e32 v7, vcc, v52, v37, vcc
	v_add_co_u32_e32 v22, vcc, s0, v20
	v_addc_co_u32_e32 v23, vcc, v52, v21, vcc
	global_store_dwordx2 v[4:5], v[8:9], off
	global_load_dwordx2 v[8:9], v[6:7], off
	s_nop 0
	global_load_dwordx2 v[20:21], v[22:23], off
	global_load_dwordx2 v[24:25], v[14:15], off
	s_waitcnt vmcnt(0)
	v_fma_f64 v[8:9], v[24:25], v[20:21], v[8:9]
	v_lshlrev_b64 v[20:21], 3, v[12:13]
	v_add_u32_e32 v12, s9, v12
	v_add_co_u32_e32 v24, vcc, s0, v20
	v_addc_co_u32_e32 v25, vcc, v52, v21, vcc
	global_store_dwordx2 v[6:7], v[8:9], off
	global_load_dwordx2 v[8:9], v[14:15], off
	s_nop 0
	global_load_dwordx2 v[14:15], v[24:25], off
	global_load_dwordx2 v[36:37], v[4:5], off
	s_waitcnt vmcnt(1)
	v_fma_f64 v[8:9], -v[8:9], v[14:15], 1.0
	v_div_scale_f64 v[14:15], s[10:11], v[8:9], v[8:9], 1.0
	v_rcp_f64_e32 v[20:21], v[14:15]
	v_fma_f64 v[38:39], -v[14:15], v[20:21], 1.0
	v_fma_f64 v[20:21], v[20:21], v[38:39], v[20:21]
	v_div_scale_f64 v[38:39], vcc, 1.0, v[8:9], 1.0
	v_fma_f64 v[40:41], -v[14:15], v[20:21], 1.0
	v_fma_f64 v[20:21], v[20:21], v[40:41], v[20:21]
	v_mul_f64 v[40:41], v[38:39], v[20:21]
	v_fma_f64 v[14:15], -v[14:15], v[40:41], v[38:39]
	v_div_fmas_f64 v[14:15], v[14:15], v[20:21], v[40:41]
	v_div_fixup_f64 v[14:15], v[14:15], v[8:9], 1.0
	v_lshlrev_b64 v[8:9], 3, v[12:13]
	v_subrev_u32_e32 v12, s2, v12
	v_add_co_u32_e32 v8, vcc, s0, v8
	v_addc_co_u32_e32 v9, vcc, v52, v9, vcc
	s_waitcnt vmcnt(0)
	v_mul_f64 v[20:21], v[36:37], v[14:15]
	global_store_dwordx2 v[4:5], v[20:21], off
	global_load_dwordx2 v[20:21], v[8:9], off
	s_waitcnt vmcnt(0)
	v_mul_f64 v[20:21], v[20:21], v[14:15]
	global_store_dwordx2 v[8:9], v[20:21], off
	global_load_dwordx2 v[20:21], v[6:7], off
	s_waitcnt vmcnt(0)
	v_mul_f64 v[36:37], v[14:15], v[20:21]
	v_lshlrev_b64 v[20:21], 3, v[12:13]
	v_subrev_u32_e32 v12, s2, v12
	v_add_co_u32_e32 v20, vcc, s0, v20
	v_addc_co_u32_e32 v21, vcc, v52, v21, vcc
	v_lshlrev_b64 v[38:39], 3, v[12:13]
	global_store_dwordx2 v[6:7], v[36:37], off
	global_load_dwordx2 v[36:37], v[20:21], off
	v_add_co_u32_e32 v40, vcc, s0, v38
	v_addc_co_u32_e32 v41, vcc, v52, v39, vcc
	v_add_u32_e32 v12, s8, v12
	v_lshlrev_b64 v[38:39], 3, v[12:13]
	v_add_co_u32_e32 v48, vcc, s0, v38
	v_addc_co_u32_e32 v49, vcc, v52, v39, vcc
	v_mad_u64_u32 v[38:39], s[10:11], s2, 25, v[12:13]
	v_mov_b32_e32 v39, v13
	v_add_u32_e32 v12, s4, v38
	v_lshlrev_b64 v[38:39], 3, v[38:39]
	v_lshlrev_b64 v[42:43], 3, v[12:13]
	s_mul_i32 s4, s2, -5
	v_add_u32_e32 v12, s4, v12
	s_waitcnt vmcnt(0)
	v_mul_f64 v[36:37], v[14:15], v[36:37]
	global_store_dwordx2 v[20:21], v[36:37], off
	global_load_dwordx2 v[36:37], v[40:41], off
	s_waitcnt vmcnt(0)
	v_mul_f64 v[36:37], v[14:15], v[36:37]
	global_store_dwordx2 v[40:41], v[36:37], off
	global_load_dwordx2 v[36:37], v[48:49], off
	s_waitcnt vmcnt(0)
	v_mul_f64 v[36:37], v[14:15], v[36:37]
	v_add_co_u32_e32 v14, vcc, s0, v38
	v_addc_co_u32_e32 v15, vcc, v52, v39, vcc
	v_add_co_u32_e32 v38, vcc, s0, v42
	v_addc_co_u32_e32 v39, vcc, v52, v43, vcc
	global_store_dwordx2 v[48:49], v[36:37], off
	global_load_dwordx2 v[36:37], v[38:39], off
	s_nop 0
	global_load_dwordx2 v[16:17], v[16:17], off
	s_nop 0
	global_load_dwordx2 v[42:43], v[14:15], off
	s_waitcnt vmcnt(0)
	v_fma_f64 v[36:37], v[36:37], v[16:17], v[42:43]
	v_lshlrev_b64 v[16:17], 3, v[12:13]
	v_subrev_u32_e32 v12, s3, v12
	v_add_co_u32_e32 v16, vcc, s0, v16
	v_addc_co_u32_e32 v17, vcc, v52, v17, vcc
	global_store_dwordx2 v[14:15], v[36:37], off
	global_load_dwordx2 v[24:25], v[24:25], off
	s_nop 0
	global_load_dwordx2 v[36:37], v[16:17], off
	global_load_dwordx2 v[42:43], v[38:39], off
	s_waitcnt vmcnt(0)
	v_fma_f64 v[24:25], v[42:43], v[24:25], v[36:37]
	global_store_dwordx2 v[16:17], v[24:25], off
	global_load_dwordx2 v[24:25], v[38:39], off
	s_nop 0
	global_load_dwordx2 v[22:23], v[22:23], off
	s_waitcnt vmcnt(0)
	v_fma_f64 v[22:23], -v[24:25], v[22:23], 1.0
	global_load_dwordx2 v[38:39], v[14:15], off
	v_div_scale_f64 v[24:25], s[10:11], v[22:23], v[22:23], 1.0
	v_rcp_f64_e32 v[36:37], v[24:25]
	v_fma_f64 v[42:43], -v[24:25], v[36:37], 1.0
	v_fma_f64 v[36:37], v[36:37], v[42:43], v[36:37]
	v_div_scale_f64 v[42:43], vcc, 1.0, v[22:23], 1.0
	v_fma_f64 v[44:45], -v[24:25], v[36:37], 1.0
	v_fma_f64 v[36:37], v[36:37], v[44:45], v[36:37]
	v_mul_f64 v[44:45], v[42:43], v[36:37]
	v_fma_f64 v[24:25], -v[24:25], v[44:45], v[42:43]
	v_div_fmas_f64 v[24:25], v[24:25], v[36:37], v[44:45]
	v_div_fixup_f64 v[22:23], v[24:25], v[22:23], 1.0
	s_waitcnt vmcnt(0)
	v_mul_f64 v[24:25], v[38:39], v[22:23]
	global_store_dwordx2 v[14:15], v[24:25], off
	global_load_dwordx2 v[24:25], v[16:17], off
	s_waitcnt vmcnt(0)
	v_mul_f64 v[36:37], v[24:25], v[22:23]
	v_lshlrev_b64 v[24:25], 3, v[12:13]
	v_subrev_u32_e32 v12, s2, v12
	v_add_co_u32_e32 v24, vcc, s0, v24
	v_addc_co_u32_e32 v25, vcc, v52, v25, vcc
	v_lshlrev_b64 v[38:39], 3, v[12:13]
	global_store_dwordx2 v[16:17], v[36:37], off
	global_load_dwordx2 v[36:37], v[24:25], off
	v_add_co_u32_e32 v38, vcc, s0, v38
	v_addc_co_u32_e32 v39, vcc, v52, v39, vcc
	v_add_u32_e32 v12, s7, v12
	s_mul_i32 s7, s2, 0xffffffef
	s_waitcnt vmcnt(0)
	v_mul_f64 v[36:37], v[22:23], v[36:37]
	global_store_dwordx2 v[24:25], v[36:37], off
	global_load_dwordx2 v[36:37], v[38:39], off
	s_waitcnt vmcnt(0)
	v_mul_f64 v[42:43], v[22:23], v[36:37]
	v_lshlrev_b64 v[36:37], 3, v[12:13]
	v_add_u32_e32 v12, s7, v12
	v_add_co_u32_e32 v36, vcc, s0, v36
	v_addc_co_u32_e32 v37, vcc, v52, v37, vcc
	s_mul_i32 s7, s2, 0xffffffdf
	global_store_dwordx2 v[38:39], v[42:43], off
	global_load_dwordx2 v[42:43], v[36:37], off
	s_waitcnt vmcnt(0)
	v_mul_f64 v[22:23], v[22:23], v[42:43]
	v_lshlrev_b64 v[42:43], 3, v[12:13]
	v_add_u32_e32 v12, s8, v12
	v_add_co_u32_e32 v42, vcc, s0, v42
	v_addc_co_u32_e32 v43, vcc, v52, v43, vcc
	v_lshlrev_b64 v[50:51], 3, v[12:13]
	global_store_dwordx2 v[36:37], v[22:23], off
	global_load_dwordx2 v[22:23], v[0:1], off
	s_nop 0
	global_load_dwordx2 v[44:45], v[32:33], off
	global_load_dwordx2 v[46:47], v[42:43], off
	v_add_u32_e32 v12, s7, v12
	v_mad_u64_u32 v[53:54], s[8:9], s2, 28, v[12:13]
	v_mov_b32_e32 v54, v13
	s_waitcnt vmcnt(0)
	v_fma_f64 v[44:45], v[44:45], v[46:47], v[22:23]
	v_add_co_u32_e32 v46, vcc, s0, v50
	v_addc_co_u32_e32 v47, vcc, v52, v51, vcc
	v_lshlrev_b64 v[22:23], 3, v[12:13]
	v_add_u32_e32 v12, s2, v53
	v_add_co_u32_e32 v22, vcc, s0, v22
	global_store_dwordx2 v[0:1], v[44:45], off
	global_load_dwordx2 v[44:45], v[32:33], off
	s_nop 0
	global_load_dwordx2 v[50:51], v[46:47], off
	v_addc_co_u32_e32 v23, vcc, v52, v23, vcc
	s_waitcnt vmcnt(0)
	v_mul_f64 v[44:45], v[44:45], v[50:51]
	v_lshlrev_b64 v[50:51], 3, v[53:54]
	v_add_co_u32_e32 v50, vcc, s0, v50
	v_addc_co_u32_e32 v51, vcc, v52, v51, vcc
	global_store_dwordx2 v[22:23], v[44:45], off
	global_load_dwordx2 v[44:45], v[10:11], off
	s_nop 0
	global_load_dwordx2 v[54:55], v[32:33], off
	global_load_dwordx2 v[56:57], v[50:51], off
	s_waitcnt vmcnt(0)
	v_fma_f64 v[54:55], v[54:55], v[56:57], v[44:45]
	v_lshlrev_b64 v[44:45], 3, v[12:13]
	v_add_co_u32_e32 v44, vcc, s0, v44
	v_addc_co_u32_e32 v45, vcc, v52, v45, vcc
	global_store_dwordx2 v[10:11], v[54:55], off
	global_load_dwordx2 v[32:33], v[32:33], off
	s_nop 0
	global_load_dwordx2 v[53:54], v[44:45], off
	s_waitcnt vmcnt(0)
	v_fma_f64 v[32:33], -v[32:33], v[53:54], 1.0
	v_div_scale_f64 v[53:54], s[8:9], v[32:33], v[32:33], 1.0
	v_rcp_f64_e32 v[55:56], v[53:54]
	v_fma_f64 v[57:58], -v[53:54], v[55:56], 1.0
	v_fma_f64 v[55:56], v[55:56], v[57:58], v[55:56]
	v_fma_f64 v[57:58], -v[53:54], v[55:56], 1.0
	v_fma_f64 v[55:56], v[55:56], v[57:58], v[55:56]
	v_div_scale_f64 v[57:58], vcc, 1.0, v[32:33], 1.0
	v_mul_f64 v[59:60], v[57:58], v[55:56]
	v_fma_f64 v[53:54], -v[53:54], v[59:60], v[57:58]
	s_nop 1
	v_div_fmas_f64 v[53:54], v[53:54], v[55:56], v[59:60]
	v_div_fixup_f64 v[32:33], v[53:54], v[32:33], 1.0
	global_load_dwordx2 v[53:54], v[0:1], off
	s_waitcnt vmcnt(0)
	v_mul_f64 v[53:54], v[53:54], v[32:33]
	global_store_dwordx2 v[0:1], v[53:54], off
	global_load_dwordx2 v[53:54], v[2:3], off
	s_waitcnt vmcnt(0)
	v_mul_f64 v[53:54], v[53:54], v[32:33]
	global_store_dwordx2 v[2:3], v[53:54], off
	global_load_dwordx2 v[53:54], v[22:23], off
	s_waitcnt vmcnt(0)
	v_mul_f64 v[53:54], v[32:33], v[53:54]
	global_store_dwordx2 v[22:23], v[53:54], off
	global_load_dwordx2 v[53:54], v[10:11], off
	s_waitcnt vmcnt(0)
	v_mul_f64 v[53:54], v[32:33], v[53:54]
	global_store_dwordx2 v[10:11], v[53:54], off
	global_load_dwordx2 v[53:54], v[26:27], off
	s_waitcnt vmcnt(0)
	v_mul_f64 v[53:54], v[32:33], v[53:54]
	global_store_dwordx2 v[26:27], v[53:54], off
	global_load_dwordx2 v[53:54], v[34:35], off
	s_waitcnt vmcnt(0)
	v_mul_f64 v[32:33], v[32:33], v[53:54]
	global_store_dwordx2 v[34:35], v[32:33], off
	global_load_dwordx2 v[32:33], v[14:15], off
	s_nop 0
	global_load_dwordx2 v[53:54], v[36:37], off
	global_load_dwordx2 v[55:56], v[42:43], off
	s_waitcnt vmcnt(0)
	v_fma_f64 v[32:33], v[53:54], v[55:56], v[32:33]
	v_mad_u64_u32 v[55:56], s[8:9], s2, 11, v[12:13]
	v_mov_b32_e32 v56, v13
	v_add_u32_e32 v12, s5, v55
	s_lshl_b32 s5, s2, 2
	global_store_dwordx2 v[14:15], v[32:33], off
	global_load_dwordx2 v[32:33], v[36:37], off
	s_nop 0
	global_load_dwordx2 v[53:54], v[44:45], off
	s_waitcnt vmcnt(0)
	v_mul_f64 v[53:54], v[32:33], v[53:54]
	v_lshlrev_b64 v[32:33], 3, v[55:56]
	v_add_co_u32_e32 v32, vcc, s0, v32
	v_addc_co_u32_e32 v33, vcc, v52, v33, vcc
	global_store_dwordx2 v[32:33], v[53:54], off
	global_load_dwordx2 v[53:54], v[24:25], off
	s_nop 0
	global_load_dwordx2 v[56:57], v[36:37], off
	global_load_dwordx2 v[58:59], v[50:51], off
	s_waitcnt vmcnt(0)
	v_fma_f64 v[53:54], v[56:57], v[58:59], v[53:54]
	global_store_dwordx2 v[24:25], v[53:54], off
	global_load_dwordx2 v[36:37], v[36:37], off
	s_nop 0
	global_load_dwordx2 v[53:54], v[46:47], off
	s_waitcnt vmcnt(0)
	v_fma_f64 v[53:54], -v[36:37], v[53:54], 1.0
	v_div_scale_f64 v[36:37], s[8:9], v[53:54], v[53:54], 1.0
	v_rcp_f64_e32 v[56:57], v[36:37]
	v_fma_f64 v[58:59], -v[36:37], v[56:57], 1.0
	v_fma_f64 v[56:57], v[56:57], v[58:59], v[56:57]
	v_fma_f64 v[58:59], -v[36:37], v[56:57], 1.0
	v_fma_f64 v[56:57], v[56:57], v[58:59], v[56:57]
	v_div_scale_f64 v[58:59], vcc, 1.0, v[53:54], 1.0
	v_mul_f64 v[60:61], v[58:59], v[56:57]
	v_fma_f64 v[36:37], -v[36:37], v[60:61], v[58:59]
	s_nop 1
	v_div_fmas_f64 v[56:57], v[36:37], v[56:57], v[60:61]
	v_lshlrev_b64 v[36:37], 3, v[12:13]
	v_add_co_u32_e32 v36, vcc, s0, v36
	v_addc_co_u32_e32 v37, vcc, v52, v37, vcc
	v_div_fixup_f64 v[53:54], v[56:57], v[53:54], 1.0
	global_load_dwordx2 v[55:56], v[14:15], off
	s_waitcnt vmcnt(0)
	v_mul_f64 v[55:56], v[55:56], v[53:54]
	global_store_dwordx2 v[14:15], v[55:56], off
	global_load_dwordx2 v[55:56], v[16:17], off
	s_waitcnt vmcnt(0)
	v_mul_f64 v[55:56], v[55:56], v[53:54]
	global_store_dwordx2 v[16:17], v[55:56], off
	;; [unrolled: 4-line block ×4, first 2 shown]
	global_load_dwordx2 v[55:56], v[38:39], off
	s_waitcnt vmcnt(0)
	v_mul_f64 v[53:54], v[53:54], v[55:56]
	v_mad_u64_u32 v[55:56], s[8:9], s2, 6, v[12:13]
	v_mov_b32_e32 v56, v13
	v_lshlrev_b64 v[56:57], 3, v[55:56]
	v_add_u32_e32 v12, s6, v55
	v_add_co_u32_e32 v56, vcc, s0, v56
	global_store_dwordx2 v[38:39], v[53:54], off
	v_addc_co_u32_e32 v57, vcc, v52, v57, vcc
	global_load_dwordx2 v[42:43], v[42:43], off
	s_nop 0
	global_load_dwordx2 v[53:54], v[56:57], off
	global_load_dwordx2 v[58:59], v[36:37], off
	s_waitcnt vmcnt(0)
	v_fma_f64 v[53:54], v[53:54], v[42:43], v[58:59]
	v_lshlrev_b64 v[42:43], 3, v[12:13]
	v_add_u32_e32 v12, s5, v12
	v_add_co_u32_e32 v42, vcc, s0, v42
	v_addc_co_u32_e32 v43, vcc, v52, v43, vcc
	global_store_dwordx2 v[36:37], v[53:54], off
	global_load_dwordx2 v[44:45], v[44:45], off
	s_nop 0
	global_load_dwordx2 v[53:54], v[42:43], off
	global_load_dwordx2 v[58:59], v[56:57], off
	s_waitcnt vmcnt(0)
	v_fma_f64 v[53:54], v[58:59], v[44:45], v[53:54]
	v_lshlrev_b64 v[44:45], 3, v[12:13]
	v_add_u32_e32 v12, s6, v12
	v_add_co_u32_e32 v44, vcc, s0, v44
	v_addc_co_u32_e32 v45, vcc, v52, v45, vcc
	global_store_dwordx2 v[42:43], v[53:54], off
	global_load_dwordx2 v[46:47], v[46:47], off
	s_nop 0
	global_load_dwordx2 v[53:54], v[44:45], off
	global_load_dwordx2 v[58:59], v[56:57], off
	s_waitcnt vmcnt(0)
	v_fma_f64 v[46:47], v[58:59], v[46:47], v[53:54]
	global_store_dwordx2 v[44:45], v[46:47], off
	global_load_dwordx2 v[46:47], v[56:57], off
	s_nop 0
	global_load_dwordx2 v[50:51], v[50:51], off
	s_waitcnt vmcnt(0)
	v_fma_f64 v[53:54], -v[46:47], v[50:51], 1.0
	v_div_scale_f64 v[46:47], s[8:9], v[53:54], v[53:54], 1.0
	v_rcp_f64_e32 v[50:51], v[46:47]
	v_fma_f64 v[55:56], -v[46:47], v[50:51], 1.0
	v_fma_f64 v[50:51], v[50:51], v[55:56], v[50:51]
	v_fma_f64 v[55:56], -v[46:47], v[50:51], 1.0
	v_fma_f64 v[50:51], v[50:51], v[55:56], v[50:51]
	v_div_scale_f64 v[55:56], vcc, 1.0, v[53:54], 1.0
	v_mul_f64 v[57:58], v[55:56], v[50:51]
	v_fma_f64 v[46:47], -v[46:47], v[57:58], v[55:56]
	s_nop 1
	v_div_fmas_f64 v[55:56], v[46:47], v[50:51], v[57:58]
	v_lshlrev_b64 v[46:47], 3, v[12:13]
	v_add_u32_e32 v12, s6, v12
	v_add_co_u32_e32 v46, vcc, s0, v46
	v_addc_co_u32_e32 v47, vcc, v52, v47, vcc
	v_lshlrev_b64 v[50:51], 3, v[12:13]
	v_add_co_u32_e32 v50, vcc, s0, v50
	v_addc_co_u32_e32 v51, vcc, v52, v51, vcc
	v_div_fixup_f64 v[53:54], v[55:56], v[53:54], 1.0
	global_load_dwordx2 v[55:56], v[36:37], off
	s_waitcnt vmcnt(0)
	v_mul_f64 v[55:56], v[55:56], v[53:54]
	global_store_dwordx2 v[36:37], v[55:56], off
	global_load_dwordx2 v[55:56], v[46:47], off
	s_waitcnt vmcnt(0)
	v_mul_f64 v[55:56], v[55:56], v[53:54]
	global_store_dwordx2 v[46:47], v[55:56], off
	;; [unrolled: 4-line block ×5, first 2 shown]
	global_load_dwordx2 v[53:54], v[4:5], off
	s_nop 0
	global_load_dwordx2 v[55:56], v[48:49], off
	global_load_dwordx2 v[57:58], v[18:19], off
	s_waitcnt vmcnt(0)
	v_fma_f64 v[53:54], v[55:56], v[57:58], v[53:54]
	global_store_dwordx2 v[4:5], v[53:54], off
	global_load_dwordx2 v[53:54], v[8:9], off
	s_nop 0
	global_load_dwordx2 v[55:56], v[48:49], off
	global_load_dwordx2 v[57:58], v[30:31], off
	s_waitcnt vmcnt(0)
	v_fma_f64 v[53:54], v[55:56], v[57:58], v[53:54]
	global_store_dwordx2 v[8:9], v[53:54], off
	global_load_dwordx2 v[48:49], v[48:49], off
	s_nop 0
	global_load_dwordx2 v[53:54], v[28:29], off
	s_waitcnt vmcnt(0)
	v_fma_f64 v[48:49], -v[48:49], v[53:54], 1.0
	v_div_scale_f64 v[53:54], s[6:7], v[48:49], v[48:49], 1.0
	v_rcp_f64_e32 v[55:56], v[53:54]
	v_fma_f64 v[57:58], -v[53:54], v[55:56], 1.0
	v_fma_f64 v[55:56], v[55:56], v[57:58], v[55:56]
	v_fma_f64 v[57:58], -v[53:54], v[55:56], 1.0
	v_fma_f64 v[55:56], v[55:56], v[57:58], v[55:56]
	v_div_scale_f64 v[57:58], vcc, 1.0, v[48:49], 1.0
	v_mul_f64 v[59:60], v[57:58], v[55:56]
	v_fma_f64 v[53:54], -v[53:54], v[59:60], v[57:58]
	s_nop 1
	v_div_fmas_f64 v[53:54], v[53:54], v[55:56], v[59:60]
	v_div_fixup_f64 v[48:49], v[53:54], v[48:49], 1.0
	global_load_dwordx2 v[53:54], v[4:5], off
	s_waitcnt vmcnt(0)
	v_mul_f64 v[53:54], v[53:54], v[48:49]
	global_store_dwordx2 v[4:5], v[53:54], off
	global_load_dwordx2 v[53:54], v[8:9], off
	s_waitcnt vmcnt(0)
	v_mul_f64 v[53:54], v[53:54], v[48:49]
	global_store_dwordx2 v[8:9], v[53:54], off
	;; [unrolled: 4-line block ×5, first 2 shown]
	global_load_dwordx2 v[48:49], v[34:35], off
	s_nop 0
	global_load_dwordx2 v[18:19], v[18:19], off
	s_nop 0
	global_load_dwordx2 v[53:54], v[0:1], off
	s_waitcnt vmcnt(0)
	v_fma_f64 v[18:19], v[48:49], v[18:19], v[53:54]
	global_store_dwordx2 v[0:1], v[18:19], off
	global_load_dwordx2 v[18:19], v[34:35], off
	s_nop 0
	global_load_dwordx2 v[28:29], v[28:29], off
	s_nop 0
	global_load_dwordx2 v[48:49], v[2:3], off
	s_waitcnt vmcnt(0)
	v_fma_f64 v[18:19], v[18:19], v[28:29], v[48:49]
	global_store_dwordx2 v[2:3], v[18:19], off
	global_load_dwordx2 v[18:19], v[34:35], off
	s_nop 0
	global_load_dwordx2 v[28:29], v[30:31], off
	s_waitcnt vmcnt(0)
	v_fma_f64 v[18:19], -v[18:19], v[28:29], 1.0
	v_div_scale_f64 v[28:29], s[6:7], v[18:19], v[18:19], 1.0
	v_rcp_f64_e32 v[30:31], v[28:29]
	v_fma_f64 v[34:35], -v[28:29], v[30:31], 1.0
	v_fma_f64 v[30:31], v[30:31], v[34:35], v[30:31]
	v_div_scale_f64 v[34:35], vcc, 1.0, v[18:19], 1.0
	v_fma_f64 v[48:49], -v[28:29], v[30:31], 1.0
	v_fma_f64 v[30:31], v[30:31], v[48:49], v[30:31]
	v_mul_f64 v[48:49], v[34:35], v[30:31]
	v_fma_f64 v[28:29], -v[28:29], v[48:49], v[34:35]
	global_load_dwordx2 v[34:35], v[0:1], off
	v_div_fmas_f64 v[28:29], v[28:29], v[30:31], v[48:49]
	v_mad_u64_u32 v[30:31], s[6:7], s2, -12, v[12:13]
	v_mov_b32_e32 v31, v13
	v_add_u32_e32 v12, s1, v30
	v_div_fixup_f64 v[18:19], v[28:29], v[18:19], 1.0
	s_waitcnt vmcnt(0)
	v_mul_f64 v[28:29], v[34:35], v[18:19]
	global_store_dwordx2 v[0:1], v[28:29], off
	global_load_dwordx2 v[28:29], v[2:3], off
	s_waitcnt vmcnt(0)
	v_mul_f64 v[28:29], v[28:29], v[18:19]
	global_store_dwordx2 v[2:3], v[28:29], off
	global_load_dwordx2 v[28:29], v[22:23], off
	;; [unrolled: 4-line block ×4, first 2 shown]
	s_waitcnt vmcnt(0)
	v_mul_f64 v[28:29], v[18:19], v[28:29]
	v_lshlrev_b64 v[18:19], 3, v[30:31]
	v_add_co_u32_e32 v18, vcc, s0, v18
	v_addc_co_u32_e32 v19, vcc, v52, v19, vcc
	global_store_dwordx2 v[26:27], v[28:29], off
	global_load_dwordx2 v[28:29], v[4:5], off
	s_nop 0
	global_load_dwordx2 v[34:35], v[40:41], off
	global_load_dwordx2 v[48:49], v[18:19], off
	s_waitcnt vmcnt(0)
	v_fma_f64 v[34:35], v[34:35], v[48:49], v[28:29]
	v_lshlrev_b64 v[28:29], 3, v[12:13]
	v_add_u32_e32 v12, s5, v12
	v_add_co_u32_e32 v28, vcc, s0, v28
	v_addc_co_u32_e32 v29, vcc, v52, v29, vcc
	global_store_dwordx2 v[4:5], v[34:35], off
	global_load_dwordx2 v[30:31], v[8:9], off
	s_nop 0
	global_load_dwordx2 v[34:35], v[40:41], off
	global_load_dwordx2 v[48:49], v[28:29], off
	s_waitcnt vmcnt(0)
	v_fma_f64 v[34:35], v[34:35], v[48:49], v[30:31]
	v_lshlrev_b64 v[30:31], 3, v[12:13]
	v_add_u32_e32 v12, s4, v12
	;; [unrolled: 11-line block ×3, first 2 shown]
	v_add_co_u32_e32 v34, vcc, s0, v34
	v_addc_co_u32_e32 v35, vcc, v52, v35, vcc
	v_lshlrev_b64 v[12:13], 3, v[12:13]
	global_store_dwordx2 v[6:7], v[48:49], off
	global_load_dwordx2 v[48:49], v[20:21], off
	s_nop 0
	global_load_dwordx2 v[53:54], v[40:41], off
	global_load_dwordx2 v[55:56], v[34:35], off
	v_add_co_u32_e32 v12, vcc, s0, v12
	v_addc_co_u32_e32 v13, vcc, v52, v13, vcc
	s_waitcnt vmcnt(0)
	v_fma_f64 v[48:49], v[53:54], v[55:56], v[48:49]
	global_store_dwordx2 v[20:21], v[48:49], off
	global_load_dwordx2 v[40:41], v[40:41], off
	s_nop 0
	global_load_dwordx2 v[48:49], v[12:13], off
	s_waitcnt vmcnt(0)
	v_fma_f64 v[40:41], -v[40:41], v[48:49], 1.0
	v_div_scale_f64 v[48:49], s[0:1], v[40:41], v[40:41], 1.0
	v_rcp_f64_e32 v[52:53], v[48:49]
	v_fma_f64 v[54:55], -v[48:49], v[52:53], 1.0
	v_fma_f64 v[52:53], v[52:53], v[54:55], v[52:53]
	v_fma_f64 v[54:55], -v[48:49], v[52:53], 1.0
	v_fma_f64 v[52:53], v[52:53], v[54:55], v[52:53]
	v_div_scale_f64 v[54:55], vcc, 1.0, v[40:41], 1.0
	v_mul_f64 v[56:57], v[54:55], v[52:53]
	v_fma_f64 v[48:49], -v[48:49], v[56:57], v[54:55]
	s_nop 1
	v_div_fmas_f64 v[48:49], v[48:49], v[52:53], v[56:57]
	v_div_fixup_f64 v[40:41], v[48:49], v[40:41], 1.0
	global_load_dwordx2 v[48:49], v[4:5], off
	s_waitcnt vmcnt(0)
	v_mul_f64 v[48:49], v[48:49], v[40:41]
	global_store_dwordx2 v[4:5], v[48:49], off
	global_load_dwordx2 v[48:49], v[8:9], off
	s_waitcnt vmcnt(0)
	v_mul_f64 v[48:49], v[48:49], v[40:41]
	global_store_dwordx2 v[8:9], v[48:49], off
	;; [unrolled: 4-line block ×4, first 2 shown]
	global_load_dwordx2 v[40:41], v[0:1], off
	s_nop 0
	global_load_dwordx2 v[48:49], v[26:27], off
	global_load_dwordx2 v[52:53], v[18:19], off
	s_waitcnt vmcnt(0)
	v_fma_f64 v[40:41], v[48:49], v[52:53], v[40:41]
	global_store_dwordx2 v[0:1], v[40:41], off
	global_load_dwordx2 v[40:41], v[2:3], off
	s_nop 0
	global_load_dwordx2 v[48:49], v[26:27], off
	global_load_dwordx2 v[52:53], v[12:13], off
	s_waitcnt vmcnt(0)
	v_fma_f64 v[40:41], v[48:49], v[52:53], v[40:41]
	global_store_dwordx2 v[2:3], v[40:41], off
	;; [unrolled: 7-line block ×4, first 2 shown]
	global_load_dwordx2 v[26:27], v[26:27], off
	s_nop 0
	global_load_dwordx2 v[40:41], v[28:29], off
	s_waitcnt vmcnt(0)
	v_fma_f64 v[26:27], -v[26:27], v[40:41], 1.0
	v_div_scale_f64 v[40:41], s[0:1], v[26:27], v[26:27], 1.0
	v_rcp_f64_e32 v[48:49], v[40:41]
	v_fma_f64 v[52:53], -v[40:41], v[48:49], 1.0
	v_fma_f64 v[48:49], v[48:49], v[52:53], v[48:49]
	v_fma_f64 v[52:53], -v[40:41], v[48:49], 1.0
	v_fma_f64 v[48:49], v[48:49], v[52:53], v[48:49]
	v_div_scale_f64 v[52:53], vcc, 1.0, v[26:27], 1.0
	v_mul_f64 v[54:55], v[52:53], v[48:49]
	v_fma_f64 v[40:41], -v[40:41], v[54:55], v[52:53]
	s_nop 1
	v_div_fmas_f64 v[40:41], v[40:41], v[48:49], v[54:55]
	global_load_dwordx2 v[48:49], v[0:1], off
	v_div_fixup_f64 v[26:27], v[40:41], v[26:27], 1.0
	s_waitcnt vmcnt(0)
	v_mul_f64 v[40:41], v[48:49], v[26:27]
	global_store_dwordx2 v[0:1], v[40:41], off
	global_load_dwordx2 v[40:41], v[2:3], off
	s_waitcnt vmcnt(0)
	v_mul_f64 v[40:41], v[40:41], v[26:27]
	global_store_dwordx2 v[2:3], v[40:41], off
	global_load_dwordx2 v[40:41], v[22:23], off
	;; [unrolled: 4-line block ×4, first 2 shown]
	s_nop 0
	global_load_dwordx2 v[40:41], v[38:39], off
	global_load_dwordx2 v[48:49], v[18:19], off
	s_waitcnt vmcnt(0)
	v_fma_f64 v[26:27], v[40:41], v[48:49], v[26:27]
	global_store_dwordx2 v[14:15], v[26:27], off
	global_load_dwordx2 v[26:27], v[16:17], off
	s_nop 0
	global_load_dwordx2 v[40:41], v[38:39], off
	global_load_dwordx2 v[48:49], v[12:13], off
	s_waitcnt vmcnt(0)
	v_fma_f64 v[26:27], v[40:41], v[48:49], v[26:27]
	global_store_dwordx2 v[16:17], v[26:27], off
	global_load_dwordx2 v[26:27], v[32:33], off
	;; [unrolled: 7-line block ×4, first 2 shown]
	s_nop 0
	global_load_dwordx2 v[38:39], v[30:31], off
	s_waitcnt vmcnt(0)
	v_fma_f64 v[26:27], -v[26:27], v[38:39], 1.0
	v_div_scale_f64 v[38:39], s[0:1], v[26:27], v[26:27], 1.0
	v_rcp_f64_e32 v[40:41], v[38:39]
	v_fma_f64 v[48:49], -v[38:39], v[40:41], 1.0
	v_fma_f64 v[40:41], v[40:41], v[48:49], v[40:41]
	v_fma_f64 v[48:49], -v[38:39], v[40:41], 1.0
	v_fma_f64 v[40:41], v[40:41], v[48:49], v[40:41]
	v_div_scale_f64 v[48:49], vcc, 1.0, v[26:27], 1.0
	v_mul_f64 v[52:53], v[48:49], v[40:41]
	v_fma_f64 v[38:39], -v[38:39], v[52:53], v[48:49]
	s_nop 1
	v_div_fmas_f64 v[38:39], v[38:39], v[40:41], v[52:53]
	global_load_dwordx2 v[40:41], v[14:15], off
	v_div_fixup_f64 v[26:27], v[38:39], v[26:27], 1.0
	s_waitcnt vmcnt(0)
	v_mul_f64 v[38:39], v[40:41], v[26:27]
	global_store_dwordx2 v[14:15], v[38:39], off
	global_load_dwordx2 v[38:39], v[16:17], off
	s_waitcnt vmcnt(0)
	v_mul_f64 v[38:39], v[38:39], v[26:27]
	global_store_dwordx2 v[16:17], v[38:39], off
	global_load_dwordx2 v[38:39], v[32:33], off
	;; [unrolled: 4-line block ×4, first 2 shown]
	s_nop 0
	global_load_dwordx2 v[26:27], v[36:37], off
	global_load_dwordx2 v[38:39], v[50:51], off
	s_waitcnt vmcnt(0)
	v_fma_f64 v[18:19], v[38:39], v[18:19], v[26:27]
	global_store_dwordx2 v[36:37], v[18:19], off
	global_load_dwordx2 v[12:13], v[12:13], off
	s_nop 0
	global_load_dwordx2 v[18:19], v[46:47], off
	global_load_dwordx2 v[26:27], v[50:51], off
	s_waitcnt vmcnt(0)
	v_fma_f64 v[12:13], v[26:27], v[12:13], v[18:19]
	global_store_dwordx2 v[46:47], v[12:13], off
	global_load_dwordx2 v[12:13], v[28:29], off
	;; [unrolled: 7-line block ×4, first 2 shown]
	s_nop 0
	global_load_dwordx2 v[18:19], v[34:35], off
	global_load_dwordx2 v[28:29], v[36:37], off
	s_waitcnt vmcnt(1)
	v_fma_f64 v[12:13], -v[12:13], v[18:19], 1.0
	v_div_scale_f64 v[18:19], s[0:1], v[12:13], v[12:13], 1.0
	v_rcp_f64_e32 v[26:27], v[18:19]
	v_fma_f64 v[30:31], -v[18:19], v[26:27], 1.0
	v_fma_f64 v[26:27], v[26:27], v[30:31], v[26:27]
	v_div_scale_f64 v[30:31], vcc, 1.0, v[12:13], 1.0
	v_fma_f64 v[34:35], -v[18:19], v[26:27], 1.0
	v_fma_f64 v[26:27], v[26:27], v[34:35], v[26:27]
	v_mul_f64 v[34:35], v[30:31], v[26:27]
	v_fma_f64 v[18:19], -v[18:19], v[34:35], v[30:31]
	v_div_fmas_f64 v[18:19], v[18:19], v[26:27], v[34:35]
	v_div_fixup_f64 v[12:13], v[18:19], v[12:13], 1.0
	s_waitcnt vmcnt(0)
	v_mul_f64 v[18:19], v[28:29], v[12:13]
	global_store_dwordx2 v[36:37], v[18:19], off
	global_load_dwordx2 v[18:19], v[46:47], off
	s_waitcnt vmcnt(0)
	v_mul_f64 v[18:19], v[18:19], v[12:13]
	global_store_dwordx2 v[46:47], v[18:19], off
	global_load_dwordx2 v[18:19], v[42:43], off
	;; [unrolled: 4-line block ×4, first 2 shown]
	s_nop 0
	global_load_dwordx2 v[18:19], v[20:21], off
	global_load_dwordx2 v[26:27], v[36:37], off
	s_waitcnt vmcnt(0)
	v_fma_f64 v[12:13], v[18:19], v[26:27], v[12:13]
	global_store_dwordx2 v[4:5], v[12:13], off
	global_load_dwordx2 v[12:13], v[8:9], off
	s_nop 0
	global_load_dwordx2 v[18:19], v[20:21], off
	global_load_dwordx2 v[26:27], v[42:43], off
	s_waitcnt vmcnt(0)
	v_fma_f64 v[12:13], v[18:19], v[26:27], v[12:13]
	global_store_dwordx2 v[8:9], v[12:13], off
	global_load_dwordx2 v[12:13], v[6:7], off
	s_nop 0
	global_load_dwordx2 v[18:19], v[20:21], off
	global_load_dwordx2 v[26:27], v[44:45], off
	s_waitcnt vmcnt(0)
	v_fma_f64 v[12:13], v[18:19], v[26:27], v[12:13]
	global_store_dwordx2 v[6:7], v[12:13], off
	global_load_dwordx2 v[12:13], v[20:21], off
	s_nop 0
	global_load_dwordx2 v[18:19], v[46:47], off
	global_load_dwordx2 v[26:27], v[4:5], off
	s_waitcnt vmcnt(1)
	v_fma_f64 v[12:13], -v[12:13], v[18:19], 1.0
	v_div_scale_f64 v[18:19], s[0:1], v[12:13], v[12:13], 1.0
	v_rcp_f64_e32 v[20:21], v[18:19]
	v_fma_f64 v[28:29], -v[18:19], v[20:21], 1.0
	v_fma_f64 v[20:21], v[20:21], v[28:29], v[20:21]
	v_div_scale_f64 v[28:29], vcc, 1.0, v[12:13], 1.0
	v_fma_f64 v[30:31], -v[18:19], v[20:21], 1.0
	v_fma_f64 v[20:21], v[20:21], v[30:31], v[20:21]
	v_mul_f64 v[30:31], v[28:29], v[20:21]
	v_fma_f64 v[18:19], -v[18:19], v[30:31], v[28:29]
	v_div_fmas_f64 v[18:19], v[18:19], v[20:21], v[30:31]
	v_div_fixup_f64 v[12:13], v[18:19], v[12:13], 1.0
	s_waitcnt vmcnt(0)
	v_mul_f64 v[18:19], v[26:27], v[12:13]
	global_store_dwordx2 v[4:5], v[18:19], off
	global_load_dwordx2 v[18:19], v[8:9], off
	s_waitcnt vmcnt(0)
	v_mul_f64 v[18:19], v[18:19], v[12:13]
	global_store_dwordx2 v[8:9], v[18:19], off
	global_load_dwordx2 v[18:19], v[6:7], off
	s_waitcnt vmcnt(0)
	v_mul_f64 v[12:13], v[12:13], v[18:19]
	global_store_dwordx2 v[6:7], v[12:13], off
	global_load_dwordx2 v[12:13], v[0:1], off
	s_nop 0
	global_load_dwordx2 v[18:19], v[10:11], off
	global_load_dwordx2 v[20:21], v[36:37], off
	s_waitcnt vmcnt(0)
	v_fma_f64 v[12:13], v[18:19], v[20:21], v[12:13]
	global_store_dwordx2 v[0:1], v[12:13], off
	global_load_dwordx2 v[12:13], v[2:3], off
	s_nop 0
	global_load_dwordx2 v[18:19], v[10:11], off
	global_load_dwordx2 v[20:21], v[46:47], off
	s_waitcnt vmcnt(0)
	v_fma_f64 v[12:13], v[18:19], v[20:21], v[12:13]
	global_store_dwordx2 v[2:3], v[12:13], off
	global_load_dwordx2 v[12:13], v[22:23], off
	s_nop 0
	global_load_dwordx2 v[18:19], v[44:45], off
	global_load_dwordx2 v[20:21], v[10:11], off
	s_waitcnt vmcnt(0)
	v_fma_f64 v[12:13], v[20:21], v[18:19], v[12:13]
	global_store_dwordx2 v[22:23], v[12:13], off
	global_load_dwordx2 v[10:11], v[10:11], off
	s_nop 0
	global_load_dwordx2 v[12:13], v[42:43], off
	global_load_dwordx2 v[20:21], v[0:1], off
	s_waitcnt vmcnt(1)
	v_fma_f64 v[10:11], -v[10:11], v[12:13], 1.0
	v_div_scale_f64 v[12:13], s[0:1], v[10:11], v[10:11], 1.0
	v_rcp_f64_e32 v[18:19], v[12:13]
	v_fma_f64 v[26:27], -v[12:13], v[18:19], 1.0
	v_fma_f64 v[18:19], v[18:19], v[26:27], v[18:19]
	v_div_scale_f64 v[26:27], vcc, 1.0, v[10:11], 1.0
	v_fma_f64 v[28:29], -v[12:13], v[18:19], 1.0
	v_fma_f64 v[18:19], v[18:19], v[28:29], v[18:19]
	v_mul_f64 v[28:29], v[26:27], v[18:19]
	v_fma_f64 v[12:13], -v[12:13], v[28:29], v[26:27]
	v_div_fmas_f64 v[12:13], v[12:13], v[18:19], v[28:29]
	v_div_fixup_f64 v[10:11], v[12:13], v[10:11], 1.0
	s_waitcnt vmcnt(0)
	v_mul_f64 v[12:13], v[20:21], v[10:11]
	global_store_dwordx2 v[0:1], v[12:13], off
	global_load_dwordx2 v[12:13], v[2:3], off
	s_waitcnt vmcnt(0)
	v_mul_f64 v[12:13], v[12:13], v[10:11]
	global_store_dwordx2 v[2:3], v[12:13], off
	global_load_dwordx2 v[12:13], v[22:23], off
	s_waitcnt vmcnt(0)
	v_mul_f64 v[10:11], v[10:11], v[12:13]
	global_store_dwordx2 v[22:23], v[10:11], off
	global_load_dwordx2 v[10:11], v[36:37], off
	;; [unrolled: 49-line block ×3, first 2 shown]
	s_nop 0
	global_load_dwordx2 v[12:13], v[6:7], off
	global_load_dwordx2 v[18:19], v[14:15], off
	s_waitcnt vmcnt(0)
	v_fma_f64 v[10:11], v[12:13], v[18:19], v[10:11]
	global_store_dwordx2 v[4:5], v[10:11], off
	global_load_dwordx2 v[10:11], v[8:9], off
	s_nop 0
	global_load_dwordx2 v[12:13], v[32:33], off
	global_load_dwordx2 v[18:19], v[6:7], off
	s_waitcnt vmcnt(0)
	v_fma_f64 v[10:11], v[18:19], v[12:13], v[10:11]
	global_store_dwordx2 v[8:9], v[10:11], off
	global_load_dwordx2 v[10:11], v[6:7], off
	s_nop 0
	global_load_dwordx2 v[12:13], v[16:17], off
	global_load_dwordx2 v[18:19], v[4:5], off
	s_waitcnt vmcnt(1)
	v_fma_f64 v[6:7], -v[10:11], v[12:13], 1.0
	v_div_scale_f64 v[10:11], s[0:1], v[6:7], v[6:7], 1.0
	v_rcp_f64_e32 v[12:13], v[10:11]
	v_fma_f64 v[20:21], -v[10:11], v[12:13], 1.0
	v_fma_f64 v[12:13], v[12:13], v[20:21], v[12:13]
	v_div_scale_f64 v[20:21], vcc, 1.0, v[6:7], 1.0
	v_fma_f64 v[24:25], -v[10:11], v[12:13], 1.0
	v_fma_f64 v[12:13], v[12:13], v[24:25], v[12:13]
	v_mul_f64 v[24:25], v[20:21], v[12:13]
	v_fma_f64 v[10:11], -v[10:11], v[24:25], v[20:21]
	v_div_fmas_f64 v[10:11], v[10:11], v[12:13], v[24:25]
	v_div_fixup_f64 v[6:7], v[10:11], v[6:7], 1.0
	s_waitcnt vmcnt(0)
	v_mul_f64 v[10:11], v[18:19], v[6:7]
	global_store_dwordx2 v[4:5], v[10:11], off
	global_load_dwordx2 v[10:11], v[8:9], off
	s_waitcnt vmcnt(0)
	v_mul_f64 v[6:7], v[10:11], v[6:7]
	global_store_dwordx2 v[8:9], v[6:7], off
	global_load_dwordx2 v[6:7], v[0:1], off
	s_nop 0
	global_load_dwordx2 v[10:11], v[22:23], off
	global_load_dwordx2 v[12:13], v[14:15], off
	s_waitcnt vmcnt(0)
	v_fma_f64 v[6:7], v[10:11], v[12:13], v[6:7]
	global_store_dwordx2 v[0:1], v[6:7], off
	global_load_dwordx2 v[6:7], v[2:3], off
	s_nop 0
	global_load_dwordx2 v[10:11], v[22:23], off
	global_load_dwordx2 v[12:13], v[16:17], off
	s_waitcnt vmcnt(0)
	v_fma_f64 v[6:7], v[10:11], v[12:13], v[6:7]
	global_store_dwordx2 v[2:3], v[6:7], off
	global_load_dwordx2 v[6:7], v[22:23], off
	s_nop 0
	global_load_dwordx2 v[10:11], v[32:33], off
	global_load_dwordx2 v[14:15], v[0:1], off
	s_waitcnt vmcnt(1)
	v_fma_f64 v[6:7], -v[6:7], v[10:11], 1.0
	v_div_scale_f64 v[10:11], s[0:1], v[6:7], v[6:7], 1.0
	v_rcp_f64_e32 v[12:13], v[10:11]
	v_fma_f64 v[16:17], -v[10:11], v[12:13], 1.0
	v_fma_f64 v[12:13], v[12:13], v[16:17], v[12:13]
	v_div_scale_f64 v[16:17], vcc, 1.0, v[6:7], 1.0
	v_fma_f64 v[18:19], -v[10:11], v[12:13], 1.0
	v_fma_f64 v[12:13], v[12:13], v[18:19], v[12:13]
	v_mul_f64 v[18:19], v[16:17], v[12:13]
	v_fma_f64 v[10:11], -v[10:11], v[18:19], v[16:17]
	v_div_fmas_f64 v[10:11], v[10:11], v[12:13], v[18:19]
	v_div_fixup_f64 v[6:7], v[10:11], v[6:7], 1.0
	s_waitcnt vmcnt(0)
	v_mul_f64 v[10:11], v[14:15], v[6:7]
	global_store_dwordx2 v[0:1], v[10:11], off
	global_load_dwordx2 v[10:11], v[2:3], off
	s_waitcnt vmcnt(0)
	v_mul_f64 v[6:7], v[10:11], v[6:7]
	global_store_dwordx2 v[2:3], v[6:7], off
	global_load_dwordx2 v[6:7], v[4:5], off
	s_nop 0
	global_load_dwordx2 v[10:11], v[8:9], off
	global_load_dwordx2 v[12:13], v[0:1], off
	s_waitcnt vmcnt(0)
	v_fma_f64 v[0:1], v[10:11], v[12:13], v[6:7]
	global_store_dwordx2 v[4:5], v[0:1], off
	global_load_dwordx2 v[6:7], v[8:9], off
	global_load_dwordx2 v[10:11], v[2:3], off
	s_waitcnt vmcnt(0)
	v_fma_f64 v[2:3], -v[6:7], v[10:11], 1.0
	v_div_scale_f64 v[6:7], s[0:1], v[2:3], v[2:3], 1.0
	v_div_scale_f64 v[12:13], vcc, 1.0, v[2:3], 1.0
	v_rcp_f64_e32 v[8:9], v[6:7]
	v_fma_f64 v[10:11], -v[6:7], v[8:9], 1.0
	v_fma_f64 v[8:9], v[8:9], v[10:11], v[8:9]
	v_fma_f64 v[10:11], -v[6:7], v[8:9], 1.0
	v_fma_f64 v[8:9], v[8:9], v[10:11], v[8:9]
	v_mul_f64 v[10:11], v[12:13], v[8:9]
	v_fma_f64 v[6:7], -v[6:7], v[10:11], v[12:13]
	v_div_fmas_f64 v[6:7], v[6:7], v[8:9], v[10:11]
	v_div_fixup_f64 v[2:3], v[6:7], v[2:3], 1.0
	v_mul_f64 v[0:1], v[0:1], v[2:3]
	global_store_dwordx2 v[4:5], v[0:1], off
	s_endpgm
	.section	.rodata,"a",@progbits
	.p2align	6, 0x0
	.amdhsa_kernel _Z12qssab_kernelIdEvPT_S1_S1_
		.amdhsa_group_segment_fixed_size 0
		.amdhsa_private_segment_fixed_size 0
		.amdhsa_kernarg_size 280
		.amdhsa_user_sgpr_count 6
		.amdhsa_user_sgpr_private_segment_buffer 1
		.amdhsa_user_sgpr_dispatch_ptr 0
		.amdhsa_user_sgpr_queue_ptr 0
		.amdhsa_user_sgpr_kernarg_segment_ptr 1
		.amdhsa_user_sgpr_dispatch_id 0
		.amdhsa_user_sgpr_flat_scratch_init 0
		.amdhsa_user_sgpr_private_segment_size 0
		.amdhsa_uses_dynamic_stack 0
		.amdhsa_system_sgpr_private_segment_wavefront_offset 0
		.amdhsa_system_sgpr_workgroup_id_x 1
		.amdhsa_system_sgpr_workgroup_id_y 0
		.amdhsa_system_sgpr_workgroup_id_z 0
		.amdhsa_system_sgpr_workgroup_info 0
		.amdhsa_system_vgpr_workitem_id 0
		.amdhsa_next_free_vgpr 62
		.amdhsa_next_free_sgpr 12
		.amdhsa_reserve_vcc 1
		.amdhsa_reserve_flat_scratch 0
		.amdhsa_float_round_mode_32 0
		.amdhsa_float_round_mode_16_64 0
		.amdhsa_float_denorm_mode_32 3
		.amdhsa_float_denorm_mode_16_64 3
		.amdhsa_dx10_clamp 1
		.amdhsa_ieee_mode 1
		.amdhsa_fp16_overflow 0
		.amdhsa_exception_fp_ieee_invalid_op 0
		.amdhsa_exception_fp_denorm_src 0
		.amdhsa_exception_fp_ieee_div_zero 0
		.amdhsa_exception_fp_ieee_overflow 0
		.amdhsa_exception_fp_ieee_underflow 0
		.amdhsa_exception_fp_ieee_inexact 0
		.amdhsa_exception_int_div_zero 0
	.end_amdhsa_kernel
	.section	.text._Z12qssab_kernelIdEvPT_S1_S1_,"axG",@progbits,_Z12qssab_kernelIdEvPT_S1_S1_,comdat
.Lfunc_end44:
	.size	_Z12qssab_kernelIdEvPT_S1_S1_, .Lfunc_end44-_Z12qssab_kernelIdEvPT_S1_S1_
                                        ; -- End function
	.set _Z12qssab_kernelIdEvPT_S1_S1_.num_vgpr, 62
	.set _Z12qssab_kernelIdEvPT_S1_S1_.num_agpr, 0
	.set _Z12qssab_kernelIdEvPT_S1_S1_.numbered_sgpr, 12
	.set _Z12qssab_kernelIdEvPT_S1_S1_.num_named_barrier, 0
	.set _Z12qssab_kernelIdEvPT_S1_S1_.private_seg_size, 0
	.set _Z12qssab_kernelIdEvPT_S1_S1_.uses_vcc, 1
	.set _Z12qssab_kernelIdEvPT_S1_S1_.uses_flat_scratch, 0
	.set _Z12qssab_kernelIdEvPT_S1_S1_.has_dyn_sized_stack, 0
	.set _Z12qssab_kernelIdEvPT_S1_S1_.has_recursion, 0
	.set _Z12qssab_kernelIdEvPT_S1_S1_.has_indirect_call, 0
	.section	.AMDGPU.csdata,"",@progbits
; Kernel info:
; codeLenInByte = 7856
; TotalNumSgprs: 16
; NumVgprs: 62
; ScratchSize: 0
; MemoryBound: 1
; FloatMode: 240
; IeeeMode: 1
; LDSByteSize: 0 bytes/workgroup (compile time only)
; SGPRBlocks: 1
; VGPRBlocks: 15
; NumSGPRsForWavesPerEU: 16
; NumVGPRsForWavesPerEU: 62
; Occupancy: 4
; WaveLimiterHint : 1
; COMPUTE_PGM_RSRC2:SCRATCH_EN: 0
; COMPUTE_PGM_RSRC2:USER_SGPR: 6
; COMPUTE_PGM_RSRC2:TRAP_HANDLER: 0
; COMPUTE_PGM_RSRC2:TGID_X_EN: 1
; COMPUTE_PGM_RSRC2:TGID_Y_EN: 0
; COMPUTE_PGM_RSRC2:TGID_Z_EN: 0
; COMPUTE_PGM_RSRC2:TIDIG_COMP_CNT: 0
	.section	.text._Z12qssa2_kernelIdEvPT_S1_PKS0_,"axG",@progbits,_Z12qssa2_kernelIdEvPT_S1_PKS0_,comdat
	.protected	_Z12qssa2_kernelIdEvPT_S1_PKS0_ ; -- Begin function _Z12qssa2_kernelIdEvPT_S1_PKS0_
	.globl	_Z12qssa2_kernelIdEvPT_S1_PKS0_
	.p2align	8
	.type	_Z12qssa2_kernelIdEvPT_S1_PKS0_,@function
_Z12qssa2_kernelIdEvPT_S1_PKS0_:        ; @_Z12qssa2_kernelIdEvPT_S1_PKS0_
; %bb.0:
	s_load_dwordx4 s[0:3], s[4:5], 0x0
	s_load_dwordx2 s[8:9], s[4:5], 0x10
	s_load_dword s7, s[4:5], 0x18
	s_load_dword s10, s[4:5], 0x24
	v_mov_b32_e32 v1, 0
	s_waitcnt lgkmcnt(0)
	v_mov_b32_e32 v8, s9
	s_and_b32 s5, s10, 0xffff
	s_mul_i32 s4, s7, s5
	s_mul_i32 s7, s4, 43
	;; [unrolled: 1-line block ×3, first 2 shown]
	s_add_i32 s7, s7, s6
	v_add_u32_e32 v0, s7, v0
	v_mad_u64_u32 v[4:5], s[6:7], s4, -11, v[0:1]
	v_lshlrev_b64 v[46:47], 3, v[0:1]
	v_mov_b32_e32 v5, v1
	v_add_co_u32_e32 v2, vcc, s8, v46
	v_lshlrev_b64 v[5:6], 3, v[4:5]
	s_lshl_b32 s5, s4, 2
	v_addc_co_u32_e32 v3, vcc, v8, v47, vcc
	v_add_u32_e32 v0, s5, v4
	v_add_co_u32_e32 v5, vcc, s8, v5
	v_lshlrev_b64 v[50:51], 3, v[0:1]
	v_addc_co_u32_e32 v6, vcc, v8, v6, vcc
	v_add_co_u32_e32 v9, vcc, s8, v50
	v_addc_co_u32_e32 v10, vcc, v8, v51, vcc
	global_load_dwordx2 v[2:3], v[2:3], off
	s_nop 0
	global_load_dwordx2 v[5:6], v[5:6], off
	s_nop 0
	global_load_dwordx2 v[9:10], v[9:10], off
	s_waitcnt vmcnt(0)
	v_fma_f64 v[10:11], v[2:3], v[9:10], v[5:6]
	v_mad_u64_u32 v[4:5], s[6:7], s4, 40, v[0:1]
	v_mov_b32_e32 v5, v1
	s_mul_i32 s6, s4, 0xffffffc6
	v_lshlrev_b64 v[34:35], 3, v[4:5]
	v_add_u32_e32 v0, s5, v4
	v_add_co_u32_e32 v5, vcc, s8, v34
	v_lshlrev_b64 v[26:27], 3, v[0:1]
	v_addc_co_u32_e32 v6, vcc, v8, v35, vcc
	v_add_co_u32_e32 v12, vcc, s8, v26
	v_addc_co_u32_e32 v13, vcc, v8, v27, vcc
	global_load_dwordx2 v[5:6], v[5:6], off
	v_subrev_u32_e32 v0, s4, v0
	global_load_dwordx2 v[12:13], v[12:13], off
	v_lshlrev_b64 v[30:31], 3, v[0:1]
	v_add_u32_e32 v0, s6, v0
	s_mul_i32 s6, s4, 0xffffffee
	s_mul_i32 s7, s4, -5
	s_waitcnt vmcnt(0)
	v_fma_f64 v[4:5], v[2:3], v[12:13], v[5:6]
	v_add_co_u32_e32 v6, vcc, s8, v30
	v_addc_co_u32_e32 v7, vcc, v8, v31, vcc
	global_load_dwordx2 v[6:7], v[6:7], off
	s_waitcnt vmcnt(0)
	v_fma_f64 v[6:7], v[10:11], v[6:7], v[4:5]
	v_lshlrev_b64 v[4:5], 3, v[0:1]
	v_add_u32_e32 v0, s5, v0
	v_add_co_u32_e32 v4, vcc, s8, v4
	v_lshlrev_b64 v[12:13], 3, v[0:1]
	v_addc_co_u32_e32 v5, vcc, v8, v5, vcc
	v_add_co_u32_e32 v12, vcc, s8, v12
	v_addc_co_u32_e32 v13, vcc, v8, v13, vcc
	global_load_dwordx2 v[4:5], v[4:5], off
	v_subrev_u32_e32 v0, s4, v0
	global_load_dwordx2 v[12:13], v[12:13], off
	s_waitcnt vmcnt(0)
	v_fma_f64 v[4:5], v[2:3], v[12:13], v[4:5]
	v_lshlrev_b64 v[12:13], 3, v[0:1]
	v_add_u32_e32 v0, s5, v0
	v_add_co_u32_e32 v12, vcc, s8, v12
	v_addc_co_u32_e32 v13, vcc, v8, v13, vcc
	global_load_dwordx2 v[12:13], v[12:13], off
	s_waitcnt vmcnt(0)
	v_fma_f64 v[4:5], v[10:11], v[12:13], v[4:5]
	v_lshlrev_b64 v[12:13], 3, v[0:1]
	v_add_u32_e32 v0, s6, v0
	v_add_co_u32_e32 v12, vcc, s8, v12
	v_addc_co_u32_e32 v13, vcc, v8, v13, vcc
	global_load_dwordx2 v[12:13], v[12:13], off
	s_mul_i32 s6, s4, 0x4b
	s_waitcnt vmcnt(0)
	v_fma_f64 v[14:15], v[6:7], v[12:13], v[4:5]
	v_lshlrev_b64 v[4:5], 3, v[0:1]
	v_add_u32_e32 v0, s5, v0
	v_add_co_u32_e32 v4, vcc, s8, v4
	v_lshlrev_b64 v[12:13], 3, v[0:1]
	v_addc_co_u32_e32 v5, vcc, v8, v5, vcc
	v_add_co_u32_e32 v12, vcc, s8, v12
	v_addc_co_u32_e32 v13, vcc, v8, v13, vcc
	global_load_dwordx2 v[4:5], v[4:5], off
	v_subrev_u32_e32 v0, s4, v0
	global_load_dwordx2 v[12:13], v[12:13], off
	s_waitcnt vmcnt(0)
	v_fma_f64 v[4:5], v[2:3], v[12:13], v[4:5]
	v_lshlrev_b64 v[12:13], 3, v[0:1]
	v_add_u32_e32 v0, s5, v0
	v_add_co_u32_e32 v12, vcc, s8, v12
	v_addc_co_u32_e32 v13, vcc, v8, v13, vcc
	global_load_dwordx2 v[12:13], v[12:13], off
	s_waitcnt vmcnt(0)
	v_fma_f64 v[4:5], v[10:11], v[12:13], v[4:5]
	v_lshlrev_b64 v[12:13], 3, v[0:1]
	v_add_u32_e32 v0, s7, v0
	v_add_co_u32_e32 v12, vcc, s8, v12
	v_addc_co_u32_e32 v13, vcc, v8, v13, vcc
	;; [unrolled: 7-line block ×3, first 2 shown]
	global_load_dwordx2 v[12:13], v[12:13], off
	v_lshlrev_b64 v[36:37], 3, v[0:1]
	v_add_u32_e32 v0, s5, v0
	v_lshlrev_b64 v[28:29], 3, v[0:1]
	v_subrev_u32_e32 v0, s4, v0
	v_lshlrev_b64 v[32:33], 3, v[0:1]
	s_mul_i32 s6, s4, 0xffffffe7
	v_add_u32_e32 v0, s6, v0
	v_lshlrev_b64 v[44:45], 3, v[0:1]
	s_mul_i32 s6, s4, 3
	v_add_u32_e32 v0, s6, v0
	v_lshlrev_b64 v[40:41], 3, v[0:1]
	v_add_u32_e32 v0, s5, v0
	v_lshlrev_b64 v[38:39], 3, v[0:1]
	;; [unrolled: 2-line block ×3, first 2 shown]
	s_mul_i32 s7, s4, 0xffffffcd
	s_waitcnt vmcnt(0)
	v_fma_f64 v[18:19], v[14:15], v[12:13], v[4:5]
	v_add_co_u32_e32 v4, vcc, s8, v36
	v_addc_co_u32_e32 v5, vcc, v8, v37, vcc
	v_add_co_u32_e32 v12, vcc, s8, v28
	v_addc_co_u32_e32 v13, vcc, v8, v29, vcc
	global_load_dwordx2 v[4:5], v[4:5], off
	s_nop 0
	global_load_dwordx2 v[12:13], v[12:13], off
	s_waitcnt vmcnt(0)
	v_fma_f64 v[4:5], v[2:3], v[12:13], v[4:5]
	v_add_co_u32_e32 v12, vcc, s8, v32
	v_addc_co_u32_e32 v13, vcc, v8, v33, vcc
	global_load_dwordx2 v[12:13], v[12:13], off
	s_waitcnt vmcnt(0)
	v_fma_f64 v[4:5], v[10:11], v[12:13], v[4:5]
	v_add_co_u32_e32 v12, vcc, s8, v44
	v_addc_co_u32_e32 v13, vcc, v8, v45, vcc
	v_add_co_u32_e32 v16, vcc, s8, v40
	v_addc_co_u32_e32 v17, vcc, v8, v41, vcc
	global_load_dwordx2 v[12:13], v[12:13], off
	s_nop 0
	global_load_dwordx2 v[16:17], v[16:17], off
	s_waitcnt vmcnt(0)
	v_fma_f64 v[12:13], v[10:11], v[16:17], v[12:13]
	v_add_co_u32_e32 v16, vcc, s8, v38
	v_addc_co_u32_e32 v17, vcc, v8, v39, vcc
	global_load_dwordx2 v[16:17], v[16:17], off
	s_waitcnt vmcnt(0)
	v_fma_f64 v[12:13], v[6:7], v[16:17], v[12:13]
	v_add_co_u32_e32 v16, vcc, s8, v42
	v_addc_co_u32_e32 v17, vcc, v8, v43, vcc
	global_load_dwordx2 v[16:17], v[16:17], off
	s_waitcnt vmcnt(0)
	v_fma_f64 v[12:13], v[14:15], v[16:17], v[12:13]
	v_mad_u64_u32 v[16:17], s[10:11], s4, 31, v[0:1]
	v_mov_b32_e32 v17, v1
	v_lshlrev_b64 v[22:23], 3, v[16:17]
	v_add_u32_e32 v0, s5, v16
	v_add_co_u32_e32 v20, vcc, s8, v22
	v_lshlrev_b64 v[16:17], 3, v[0:1]
	v_addc_co_u32_e32 v21, vcc, v8, v23, vcc
	v_add_co_u32_e32 v16, vcc, s8, v16
	v_addc_co_u32_e32 v17, vcc, v8, v17, vcc
	global_load_dwordx2 v[20:21], v[20:21], off
	v_add_u32_e32 v0, s6, v0
	global_load_dwordx2 v[16:17], v[16:17], off
	s_waitcnt vmcnt(0)
	v_fma_f64 v[16:17], v[2:3], v[16:17], v[20:21]
	v_lshlrev_b64 v[20:21], 3, v[0:1]
	v_add_u32_e32 v0, s7, v0
	v_add_co_u32_e32 v24, vcc, s8, v20
	v_addc_co_u32_e32 v25, vcc, v8, v21, vcc
	global_load_dwordx2 v[24:25], v[24:25], off
	v_lshlrev_b64 v[48:49], 3, v[0:1]
	v_add_u32_e32 v0, s6, v0
	v_lshlrev_b64 v[52:53], 3, v[0:1]
	s_mul_i32 s7, s4, 0xffffffac
	s_waitcnt vmcnt(0)
	v_fma_f64 v[16:17], v[6:7], v[24:25], v[16:17]
	v_add_co_u32_e32 v24, vcc, s8, v48
	v_addc_co_u32_e32 v25, vcc, v8, v49, vcc
	v_add_co_u32_e32 v52, vcc, s8, v52
	v_addc_co_u32_e32 v53, vcc, v8, v53, vcc
	global_load_dwordx2 v[24:25], v[24:25], off
	s_nop 0
	global_load_dwordx2 v[52:53], v[52:53], off
	s_waitcnt vmcnt(0)
	v_fma_f64 v[24:25], v[10:11], v[52:53], v[24:25]
	v_mad_u64_u32 v[52:53], s[10:11], s4, 52, v[0:1]
	v_mov_b32_e32 v53, v1
	v_lshlrev_b64 v[53:54], 3, v[52:53]
	v_lshl_add_u32 v0, s4, 3, v52
	v_add_co_u32_e32 v53, vcc, s8, v53
	v_lshlrev_b64 v[55:56], 3, v[0:1]
	v_addc_co_u32_e32 v54, vcc, v8, v54, vcc
	v_add_co_u32_e32 v55, vcc, s8, v55
	v_addc_co_u32_e32 v56, vcc, v8, v56, vcc
	global_load_dwordx2 v[53:54], v[53:54], off
	v_add_u32_e32 v0, s7, v0
	global_load_dwordx2 v[8:9], v[55:56], off
	s_waitcnt vmcnt(0)
	v_fma_f64 v[8:9], v[4:5], v[8:9], v[53:54]
	v_lshlrev_b64 v[52:53], 3, v[0:1]
	v_add_u32_e32 v0, s4, v0
	v_add_co_u32_e32 v54, vcc, s0, v52
	v_mov_b32_e32 v52, s1
	v_addc_co_u32_e32 v55, vcc, v52, v53, vcc
	global_load_dwordx2 v[56:57], v[54:55], off
	s_lshl_b32 s1, s4, 1
	s_waitcnt vmcnt(0)
	v_mul_f64 v[56:57], v[18:19], v[56:57]
	global_store_dwordx2 v[54:55], v[56:57], off
	v_lshlrev_b64 v[53:54], 3, v[0:1]
	v_add_u32_e32 v0, s4, v0
	v_add_co_u32_e32 v55, vcc, s0, v53
	v_addc_co_u32_e32 v56, vcc, v52, v54, vcc
	global_load_dwordx2 v[57:58], v[55:56], off
	s_waitcnt vmcnt(0)
	v_mul_f64 v[57:58], v[18:19], v[57:58]
	global_store_dwordx2 v[55:56], v[57:58], off
	v_add_co_u32_e32 v55, vcc, s2, v53
	v_mov_b32_e32 v53, s3
	v_addc_co_u32_e32 v56, vcc, v53, v54, vcc
	global_load_dwordx2 v[57:58], v[55:56], off
	s_waitcnt vmcnt(0)
	v_mul_f64 v[57:58], v[2:3], v[57:58]
	global_store_dwordx2 v[55:56], v[57:58], off
	v_lshlrev_b64 v[54:55], 3, v[0:1]
	v_add_u32_e32 v0, s1, v0
	v_add_co_u32_e32 v56, vcc, s0, v54
	v_addc_co_u32_e32 v57, vcc, v52, v55, vcc
	global_load_dwordx2 v[58:59], v[56:57], off
	v_add_co_u32_e32 v54, vcc, s2, v54
	v_addc_co_u32_e32 v55, vcc, v53, v55, vcc
	v_add_co_u32_e32 v50, vcc, s0, v50
	v_addc_co_u32_e32 v51, vcc, v52, v51, vcc
	s_waitcnt vmcnt(0)
	v_mul_f64 v[58:59], v[18:19], v[58:59]
	global_store_dwordx2 v[56:57], v[58:59], off
	global_load_dwordx2 v[56:57], v[54:55], off
	s_waitcnt vmcnt(0)
	v_mul_f64 v[56:57], v[14:15], v[56:57]
	global_store_dwordx2 v[54:55], v[56:57], off
	global_load_dwordx2 v[54:55], v[50:51], off
	s_waitcnt vmcnt(0)
	v_mul_f64 v[54:55], v[18:19], v[54:55]
	global_store_dwordx2 v[50:51], v[54:55], off
	v_lshlrev_b64 v[50:51], 3, v[0:1]
	v_add_u32_e32 v0, s4, v0
	v_add_co_u32_e32 v54, vcc, s0, v50
	v_addc_co_u32_e32 v55, vcc, v52, v51, vcc
	global_load_dwordx2 v[56:57], v[54:55], off
	v_add_co_u32_e32 v50, vcc, s2, v50
	v_addc_co_u32_e32 v51, vcc, v53, v51, vcc
	s_waitcnt vmcnt(0)
	v_mul_f64 v[56:57], v[18:19], v[56:57]
	global_store_dwordx2 v[54:55], v[56:57], off
	global_load_dwordx2 v[54:55], v[50:51], off
	s_waitcnt vmcnt(0)
	v_mul_f64 v[54:55], v[2:3], v[54:55]
	global_store_dwordx2 v[50:51], v[54:55], off
	v_lshlrev_b64 v[50:51], 3, v[0:1]
	v_add_u32_e32 v0, s4, v0
	v_add_co_u32_e32 v50, vcc, s0, v50
	v_addc_co_u32_e32 v51, vcc, v52, v51, vcc
	global_load_dwordx2 v[54:55], v[50:51], off
	s_waitcnt vmcnt(0)
	v_mul_f64 v[54:55], v[18:19], v[54:55]
	global_store_dwordx2 v[50:51], v[54:55], off
	v_lshlrev_b64 v[50:51], 3, v[0:1]
	v_add_u32_e32 v0, s4, v0
	v_add_co_u32_e32 v54, vcc, s0, v50
	v_addc_co_u32_e32 v55, vcc, v52, v51, vcc
	global_load_dwordx2 v[56:57], v[54:55], off
	v_add_co_u32_e32 v50, vcc, s2, v50
	v_addc_co_u32_e32 v51, vcc, v53, v51, vcc
	s_waitcnt vmcnt(0)
	v_mul_f64 v[56:57], v[18:19], v[56:57]
	global_store_dwordx2 v[54:55], v[56:57], off
	global_load_dwordx2 v[54:55], v[50:51], off
	s_waitcnt vmcnt(0)
	v_mul_f64 v[54:55], v[2:3], v[54:55]
	global_store_dwordx2 v[50:51], v[54:55], off
	v_lshlrev_b64 v[50:51], 3, v[0:1]
	v_add_u32_e32 v0, s4, v0
	v_add_co_u32_e32 v50, vcc, s0, v50
	v_addc_co_u32_e32 v51, vcc, v52, v51, vcc
	global_load_dwordx2 v[54:55], v[50:51], off
	s_waitcnt vmcnt(0)
	v_mul_f64 v[54:55], v[2:3], v[54:55]
	global_store_dwordx2 v[50:51], v[54:55], off
	v_lshlrev_b64 v[50:51], 3, v[0:1]
	v_add_u32_e32 v0, s4, v0
	v_add_co_u32_e32 v50, vcc, s0, v50
	v_addc_co_u32_e32 v51, vcc, v52, v51, vcc
	;; [unrolled: 8-line block ×3, first 2 shown]
	global_load_dwordx2 v[54:55], v[50:51], off
	v_add_co_u32_e32 v46, vcc, s0, v46
	v_addc_co_u32_e32 v47, vcc, v52, v47, vcc
	s_waitcnt vmcnt(0)
	v_mul_f64 v[54:55], v[2:3], v[54:55]
	global_store_dwordx2 v[50:51], v[54:55], off
	global_load_dwordx2 v[50:51], v[46:47], off
	s_waitcnt vmcnt(0)
	v_mul_f64 v[50:51], v[2:3], v[50:51]
	global_store_dwordx2 v[46:47], v[50:51], off
	v_lshlrev_b64 v[46:47], 3, v[0:1]
	v_add_u32_e32 v0, s4, v0
	v_add_co_u32_e32 v46, vcc, s0, v46
	v_addc_co_u32_e32 v47, vcc, v52, v47, vcc
	global_load_dwordx2 v[50:51], v[46:47], off
	s_waitcnt vmcnt(0)
	v_mul_f64 v[50:51], v[2:3], v[50:51]
	global_store_dwordx2 v[46:47], v[50:51], off
	v_lshlrev_b64 v[46:47], 3, v[0:1]
	v_add_u32_e32 v0, s4, v0
	v_add_co_u32_e32 v46, vcc, s0, v46
	v_addc_co_u32_e32 v47, vcc, v52, v47, vcc
	;; [unrolled: 8-line block ×6, first 2 shown]
	global_load_dwordx2 v[54:55], v[50:51], off
	v_add_co_u32_e32 v46, vcc, s2, v46
	v_addc_co_u32_e32 v47, vcc, v53, v47, vcc
	s_waitcnt vmcnt(0)
	v_mul_f64 v[54:55], v[14:15], v[54:55]
	global_store_dwordx2 v[50:51], v[54:55], off
	global_load_dwordx2 v[50:51], v[46:47], off
	s_waitcnt vmcnt(0)
	v_mul_f64 v[50:51], v[2:3], v[50:51]
	global_store_dwordx2 v[46:47], v[50:51], off
	v_lshlrev_b64 v[46:47], 3, v[0:1]
	v_add_u32_e32 v0, s4, v0
	v_add_co_u32_e32 v50, vcc, s0, v46
	v_addc_co_u32_e32 v51, vcc, v52, v47, vcc
	global_load_dwordx2 v[54:55], v[50:51], off
	v_add_co_u32_e32 v46, vcc, s2, v46
	v_addc_co_u32_e32 v47, vcc, v53, v47, vcc
	s_waitcnt vmcnt(0)
	v_mul_f64 v[54:55], v[14:15], v[54:55]
	global_store_dwordx2 v[50:51], v[54:55], off
	global_load_dwordx2 v[50:51], v[46:47], off
	s_waitcnt vmcnt(0)
	v_mul_f64 v[50:51], v[2:3], v[50:51]
	global_store_dwordx2 v[46:47], v[50:51], off
	v_lshlrev_b64 v[46:47], 3, v[0:1]
	v_add_u32_e32 v0, s4, v0
	v_add_co_u32_e32 v46, vcc, s0, v46
	v_addc_co_u32_e32 v47, vcc, v52, v47, vcc
	global_load_dwordx2 v[50:51], v[46:47], off
	s_waitcnt vmcnt(0)
	v_mul_f64 v[50:51], v[14:15], v[50:51]
	global_store_dwordx2 v[46:47], v[50:51], off
	v_lshlrev_b64 v[46:47], 3, v[0:1]
	v_add_u32_e32 v0, s4, v0
	v_add_co_u32_e32 v46, vcc, s0, v46
	v_addc_co_u32_e32 v47, vcc, v52, v47, vcc
	;; [unrolled: 8-line block ×3, first 2 shown]
	global_load_dwordx2 v[54:55], v[50:51], off
	v_add_co_u32_e32 v46, vcc, s2, v46
	v_addc_co_u32_e32 v47, vcc, v53, v47, vcc
	s_waitcnt vmcnt(0)
	v_mul_f64 v[54:55], v[14:15], v[54:55]
	global_store_dwordx2 v[50:51], v[54:55], off
	global_load_dwordx2 v[50:51], v[46:47], off
	s_waitcnt vmcnt(0)
	v_mul_f64 v[50:51], v[18:19], v[50:51]
	global_store_dwordx2 v[46:47], v[50:51], off
	v_add_co_u32_e32 v46, vcc, s0, v48
	v_addc_co_u32_e32 v47, vcc, v52, v49, vcc
	global_load_dwordx2 v[48:49], v[46:47], off
	s_waitcnt vmcnt(0)
	v_mul_f64 v[48:49], v[14:15], v[48:49]
	global_store_dwordx2 v[46:47], v[48:49], off
	v_lshlrev_b64 v[46:47], 3, v[0:1]
	v_add_u32_e32 v0, s6, v0
	v_add_co_u32_e32 v46, vcc, s0, v46
	v_addc_co_u32_e32 v47, vcc, v52, v47, vcc
	global_load_dwordx2 v[48:49], v[46:47], off
	s_waitcnt vmcnt(0)
	v_mul_f64 v[48:49], v[14:15], v[48:49]
	global_store_dwordx2 v[46:47], v[48:49], off
	v_lshlrev_b64 v[46:47], 3, v[0:1]
	v_add_u32_e32 v0, s4, v0
	v_add_co_u32_e32 v48, vcc, s0, v46
	v_addc_co_u32_e32 v49, vcc, v52, v47, vcc
	global_load_dwordx2 v[50:51], v[48:49], off
	v_add_co_u32_e32 v46, vcc, s2, v46
	v_addc_co_u32_e32 v47, vcc, v53, v47, vcc
	s_waitcnt vmcnt(0)
	v_mul_f64 v[50:51], v[10:11], v[50:51]
	global_store_dwordx2 v[48:49], v[50:51], off
	global_load_dwordx2 v[48:49], v[46:47], off
	s_waitcnt vmcnt(0)
	v_mul_f64 v[48:49], v[14:15], v[48:49]
	global_store_dwordx2 v[46:47], v[48:49], off
	v_lshlrev_b64 v[46:47], 3, v[0:1]
	v_add_u32_e32 v0, s4, v0
	v_add_co_u32_e32 v48, vcc, s0, v46
	v_addc_co_u32_e32 v49, vcc, v52, v47, vcc
	global_load_dwordx2 v[50:51], v[48:49], off
	v_add_co_u32_e32 v46, vcc, s2, v46
	v_addc_co_u32_e32 v47, vcc, v53, v47, vcc
	s_waitcnt vmcnt(0)
	v_mul_f64 v[50:51], v[10:11], v[50:51]
	global_store_dwordx2 v[48:49], v[50:51], off
	global_load_dwordx2 v[48:49], v[46:47], off
	s_waitcnt vmcnt(0)
	v_mul_f64 v[48:49], v[18:19], v[48:49]
	global_store_dwordx2 v[46:47], v[48:49], off
	v_lshlrev_b64 v[46:47], 3, v[0:1]
	v_add_u32_e32 v0, s4, v0
	v_add_co_u32_e32 v46, vcc, s0, v46
	v_addc_co_u32_e32 v47, vcc, v52, v47, vcc
	global_load_dwordx2 v[48:49], v[46:47], off
	s_waitcnt vmcnt(0)
	v_mul_f64 v[48:49], v[10:11], v[48:49]
	global_store_dwordx2 v[46:47], v[48:49], off
	v_lshlrev_b64 v[46:47], 3, v[0:1]
	v_add_u32_e32 v0, s4, v0
	v_add_co_u32_e32 v48, vcc, s0, v46
	v_addc_co_u32_e32 v49, vcc, v52, v47, vcc
	global_load_dwordx2 v[50:51], v[48:49], off
	v_add_co_u32_e32 v46, vcc, s2, v46
	v_addc_co_u32_e32 v47, vcc, v53, v47, vcc
	s_waitcnt vmcnt(0)
	v_mul_f64 v[50:51], v[10:11], v[50:51]
	global_store_dwordx2 v[48:49], v[50:51], off
	global_load_dwordx2 v[48:49], v[46:47], off
	s_waitcnt vmcnt(0)
	v_mul_f64 v[48:49], v[2:3], v[48:49]
	global_store_dwordx2 v[46:47], v[48:49], off
	v_lshlrev_b64 v[46:47], 3, v[0:1]
	v_add_u32_e32 v0, s4, v0
	v_add_co_u32_e32 v46, vcc, s0, v46
	v_addc_co_u32_e32 v47, vcc, v52, v47, vcc
	global_load_dwordx2 v[48:49], v[46:47], off
	s_waitcnt vmcnt(0)
	v_mul_f64 v[48:49], v[10:11], v[48:49]
	global_store_dwordx2 v[46:47], v[48:49], off
	v_lshlrev_b64 v[46:47], 3, v[0:1]
	v_add_u32_e32 v0, s4, v0
	v_add_co_u32_e32 v46, vcc, s0, v46
	v_addc_co_u32_e32 v47, vcc, v52, v47, vcc
	;; [unrolled: 8-line block ×3, first 2 shown]
	global_load_dwordx2 v[48:49], v[46:47], off
	v_add_co_u32_e32 v44, vcc, s0, v44
	v_addc_co_u32_e32 v45, vcc, v52, v45, vcc
	s_waitcnt vmcnt(0)
	v_mul_f64 v[48:49], v[10:11], v[48:49]
	global_store_dwordx2 v[46:47], v[48:49], off
	global_load_dwordx2 v[46:47], v[44:45], off
	s_waitcnt vmcnt(0)
	v_mul_f64 v[46:47], v[10:11], v[46:47]
	global_store_dwordx2 v[44:45], v[46:47], off
	v_lshlrev_b64 v[44:45], 3, v[0:1]
	v_add_u32_e32 v0, s6, v0
	v_add_co_u32_e32 v46, vcc, s0, v44
	v_addc_co_u32_e32 v47, vcc, v52, v45, vcc
	global_load_dwordx2 v[48:49], v[46:47], off
	v_add_co_u32_e32 v44, vcc, s2, v44
	v_addc_co_u32_e32 v45, vcc, v53, v45, vcc
	s_waitcnt vmcnt(0)
	v_mul_f64 v[48:49], v[10:11], v[48:49]
	global_store_dwordx2 v[46:47], v[48:49], off
	global_load_dwordx2 v[46:47], v[44:45], off
	s_waitcnt vmcnt(0)
	v_mul_f64 v[46:47], v[14:15], v[46:47]
	global_store_dwordx2 v[44:45], v[46:47], off
	v_add_co_u32_e32 v44, vcc, s0, v42
	v_addc_co_u32_e32 v45, vcc, v52, v43, vcc
	global_load_dwordx2 v[46:47], v[44:45], off
	v_add_co_u32_e32 v42, vcc, s2, v42
	v_addc_co_u32_e32 v43, vcc, v53, v43, vcc
	s_waitcnt vmcnt(0)
	v_mul_f64 v[46:47], v[10:11], v[46:47]
	global_store_dwordx2 v[44:45], v[46:47], off
	global_load_dwordx2 v[44:45], v[42:43], off
	s_waitcnt vmcnt(0)
	v_mul_f64 v[44:45], v[14:15], v[44:45]
	global_store_dwordx2 v[42:43], v[44:45], off
	;; [unrolled: 12-line block ×3, first 2 shown]
	v_lshlrev_b64 v[40:41], 3, v[0:1]
	v_add_u32_e32 v0, s4, v0
	v_add_co_u32_e32 v40, vcc, s0, v40
	v_addc_co_u32_e32 v41, vcc, v52, v41, vcc
	global_load_dwordx2 v[42:43], v[40:41], off
	s_waitcnt vmcnt(0)
	v_mul_f64 v[42:43], v[10:11], v[42:43]
	global_store_dwordx2 v[40:41], v[42:43], off
	v_lshlrev_b64 v[40:41], 3, v[0:1]
	v_add_u32_e32 v0, s4, v0
	v_add_co_u32_e32 v40, vcc, s2, v40
	v_addc_co_u32_e32 v41, vcc, v53, v41, vcc
	global_load_dwordx2 v[42:43], v[40:41], off
	s_waitcnt vmcnt(0)
	v_mul_f64 v[42:43], v[24:25], v[42:43]
	global_store_dwordx2 v[40:41], v[42:43], off
	v_lshlrev_b64 v[40:41], 3, v[0:1]
	v_add_u32_e32 v0, s1, v0
	v_add_co_u32_e32 v40, vcc, s2, v40
	v_addc_co_u32_e32 v41, vcc, v53, v41, vcc
	global_load_dwordx2 v[42:43], v[40:41], off
	v_add_co_u32_e32 v38, vcc, s2, v38
	v_addc_co_u32_e32 v39, vcc, v53, v39, vcc
	s_waitcnt vmcnt(0)
	v_mul_f64 v[42:43], v[2:3], v[42:43]
	global_store_dwordx2 v[40:41], v[42:43], off
	global_load_dwordx2 v[40:41], v[38:39], off
	s_waitcnt vmcnt(0)
	v_mul_f64 v[40:41], v[2:3], v[40:41]
	global_store_dwordx2 v[38:39], v[40:41], off
	v_lshlrev_b64 v[38:39], 3, v[0:1]
	v_add_u32_e32 v0, s4, v0
	v_add_co_u32_e32 v38, vcc, s2, v38
	v_addc_co_u32_e32 v39, vcc, v53, v39, vcc
	global_load_dwordx2 v[40:41], v[38:39], off
	s_waitcnt vmcnt(0)
	v_mul_f64 v[40:41], v[2:3], v[40:41]
	global_store_dwordx2 v[38:39], v[40:41], off
	v_lshlrev_b64 v[38:39], 3, v[0:1]
	v_add_u32_e32 v0, s4, v0
	v_add_co_u32_e32 v38, vcc, s2, v38
	v_addc_co_u32_e32 v39, vcc, v53, v39, vcc
	global_load_dwordx2 v[40:41], v[38:39], off
	s_waitcnt vmcnt(0)
	v_mul_f64 v[40:41], v[2:3], v[40:41]
	global_store_dwordx2 v[38:39], v[40:41], off
	v_lshlrev_b64 v[38:39], 3, v[0:1]
	v_add_co_u32_e32 v38, vcc, s2, v38
	v_addc_co_u32_e32 v39, vcc, v53, v39, vcc
	global_load_dwordx2 v[40:41], v[38:39], off
	v_add_co_u32_e32 v34, vcc, s0, v34
	v_addc_co_u32_e32 v35, vcc, v52, v35, vcc
	v_add_co_u32_e32 v30, vcc, s2, v30
	v_addc_co_u32_e32 v31, vcc, v53, v31, vcc
	;; [unrolled: 2-line block ×3, first 2 shown]
	s_waitcnt vmcnt(0)
	v_mul_f64 v[40:41], v[2:3], v[40:41]
	global_store_dwordx2 v[38:39], v[40:41], off
	global_load_dwordx2 v[38:39], v[34:35], off
	s_waitcnt vmcnt(0)
	v_mul_f64 v[38:39], v[18:19], v[38:39]
	global_store_dwordx2 v[34:35], v[38:39], off
	global_load_dwordx2 v[34:35], v[30:31], off
	;; [unrolled: 4-line block ×3, first 2 shown]
	s_waitcnt vmcnt(0)
	v_mul_f64 v[30:31], v[10:11], v[30:31]
	global_store_dwordx2 v[26:27], v[30:31], off
	v_mad_u64_u32 v[26:27], s[8:9], s4, 6, v[0:1]
	v_mov_b32_e32 v27, v1
	v_lshlrev_b64 v[30:31], 3, v[26:27]
	v_add_u32_e32 v0, s6, v26
	v_add_co_u32_e32 v30, vcc, s2, v30
	v_addc_co_u32_e32 v31, vcc, v53, v31, vcc
	global_load_dwordx2 v[34:35], v[30:31], off
	v_lshlrev_b64 v[26:27], 3, v[0:1]
	v_add_u32_e32 v0, s1, v0
	v_add_co_u32_e32 v26, vcc, s2, v26
	v_addc_co_u32_e32 v27, vcc, v53, v27, vcc
	s_waitcnt vmcnt(0)
	v_mul_f64 v[34:35], v[24:25], v[34:35]
	global_store_dwordx2 v[30:31], v[34:35], off
	global_load_dwordx2 v[30:31], v[26:27], off
	s_waitcnt vmcnt(0)
	v_mul_f64 v[30:31], v[24:25], v[30:31]
	global_store_dwordx2 v[26:27], v[30:31], off
	v_lshlrev_b64 v[26:27], 3, v[0:1]
	v_add_u32_e32 v0, s1, v0
	v_add_co_u32_e32 v30, vcc, s0, v26
	v_addc_co_u32_e32 v31, vcc, v52, v27, vcc
	global_load_dwordx2 v[34:35], v[30:31], off
	v_add_co_u32_e32 v26, vcc, s2, v26
	v_addc_co_u32_e32 v27, vcc, v53, v27, vcc
	s_waitcnt vmcnt(0)
	v_mul_f64 v[34:35], v[18:19], v[34:35]
	global_store_dwordx2 v[30:31], v[34:35], off
	global_load_dwordx2 v[30:31], v[26:27], off
	s_waitcnt vmcnt(0)
	v_mul_f64 v[30:31], v[6:7], v[30:31]
	global_store_dwordx2 v[26:27], v[30:31], off
	v_add_co_u32_e32 v26, vcc, s0, v36
	v_addc_co_u32_e32 v27, vcc, v52, v37, vcc
	global_load_dwordx2 v[30:31], v[26:27], off
	s_waitcnt vmcnt(0)
	v_mul_f64 v[30:31], v[2:3], v[30:31]
	global_store_dwordx2 v[26:27], v[30:31], off
	v_lshlrev_b64 v[26:27], 3, v[0:1]
	v_add_u32_e32 v0, s4, v0
	v_add_co_u32_e32 v26, vcc, s0, v26
	v_addc_co_u32_e32 v27, vcc, v52, v27, vcc
	global_load_dwordx2 v[30:31], v[26:27], off
	s_waitcnt vmcnt(0)
	v_mul_f64 v[30:31], v[2:3], v[30:31]
	global_store_dwordx2 v[26:27], v[30:31], off
	v_lshlrev_b64 v[26:27], 3, v[0:1]
	v_add_u32_e32 v0, s5, v0
	v_add_co_u32_e32 v26, vcc, s2, v26
	v_addc_co_u32_e32 v27, vcc, v53, v27, vcc
	global_load_dwordx2 v[30:31], v[26:27], off
	s_waitcnt vmcnt(0)
	v_mul_f64 v[30:31], v[2:3], v[30:31]
	global_store_dwordx2 v[26:27], v[30:31], off
	v_add_co_u32_e32 v26, vcc, s0, v32
	v_addc_co_u32_e32 v27, vcc, v52, v33, vcc
	global_load_dwordx2 v[30:31], v[26:27], off
	s_waitcnt vmcnt(0)
	v_mul_f64 v[30:31], v[14:15], v[30:31]
	global_store_dwordx2 v[26:27], v[30:31], off
	v_add_co_u32_e32 v26, vcc, s0, v28
	v_addc_co_u32_e32 v27, vcc, v52, v29, vcc
	global_load_dwordx2 v[28:29], v[26:27], off
	s_waitcnt vmcnt(0)
	v_mul_f64 v[28:29], v[10:11], v[28:29]
	global_store_dwordx2 v[26:27], v[28:29], off
	v_lshlrev_b64 v[26:27], 3, v[0:1]
	v_add_u32_e32 v0, s1, v0
	v_add_co_u32_e32 v26, vcc, s2, v26
	v_addc_co_u32_e32 v27, vcc, v53, v27, vcc
	global_load_dwordx2 v[28:29], v[26:27], off
	s_waitcnt vmcnt(0)
	v_mul_f64 v[28:29], v[4:5], v[28:29]
	global_store_dwordx2 v[26:27], v[28:29], off
	v_lshlrev_b64 v[26:27], 3, v[0:1]
	v_add_u32_e32 v0, s4, v0
	v_add_co_u32_e32 v26, vcc, s0, v26
	v_addc_co_u32_e32 v27, vcc, v52, v27, vcc
	global_load_dwordx2 v[28:29], v[26:27], off
	s_waitcnt vmcnt(0)
	v_mul_f64 v[28:29], v[24:25], v[28:29]
	global_store_dwordx2 v[26:27], v[28:29], off
	;; [unrolled: 8-line block ×3, first 2 shown]
	v_lshlrev_b64 v[26:27], 3, v[0:1]
	v_add_u32_e32 v0, s1, v0
	v_add_co_u32_e32 v28, vcc, s0, v26
	v_addc_co_u32_e32 v29, vcc, v52, v27, vcc
	global_load_dwordx2 v[30:31], v[28:29], off
	v_add_co_u32_e32 v26, vcc, s2, v26
	v_addc_co_u32_e32 v27, vcc, v53, v27, vcc
	v_add_co_u32_e32 v22, vcc, s0, v22
	v_addc_co_u32_e32 v23, vcc, v52, v23, vcc
	s_waitcnt vmcnt(0)
	v_mul_f64 v[30:31], v[24:25], v[30:31]
	global_store_dwordx2 v[28:29], v[30:31], off
	global_load_dwordx2 v[28:29], v[26:27], off
	s_waitcnt vmcnt(0)
	v_mul_f64 v[28:29], v[10:11], v[28:29]
	global_store_dwordx2 v[26:27], v[28:29], off
	global_load_dwordx2 v[26:27], v[22:23], off
	s_waitcnt vmcnt(0)
	v_mul_f64 v[26:27], v[24:25], v[26:27]
	global_store_dwordx2 v[22:23], v[26:27], off
	v_lshlrev_b64 v[22:23], 3, v[0:1]
	v_add_u32_e32 v0, s4, v0
	v_add_co_u32_e32 v22, vcc, s0, v22
	v_addc_co_u32_e32 v23, vcc, v52, v23, vcc
	global_load_dwordx2 v[26:27], v[22:23], off
	s_waitcnt vmcnt(0)
	v_mul_f64 v[26:27], v[24:25], v[26:27]
	global_store_dwordx2 v[22:23], v[26:27], off
	v_lshlrev_b64 v[22:23], 3, v[0:1]
	v_add_u32_e32 v0, s5, v0
	v_add_co_u32_e32 v22, vcc, s0, v22
	v_addc_co_u32_e32 v23, vcc, v52, v23, vcc
	global_load_dwordx2 v[26:27], v[22:23], off
	s_waitcnt vmcnt(0)
	v_mul_f64 v[24:25], v[24:25], v[26:27]
	global_store_dwordx2 v[22:23], v[24:25], off
	v_lshlrev_b64 v[22:23], 3, v[0:1]
	v_add_u32_e32 v0, s1, v0
	v_add_co_u32_e32 v22, vcc, s0, v22
	v_addc_co_u32_e32 v23, vcc, v52, v23, vcc
	global_load_dwordx2 v[24:25], v[22:23], off
	v_add_co_u32_e32 v20, vcc, s0, v20
	v_addc_co_u32_e32 v21, vcc, v52, v21, vcc
	s_waitcnt vmcnt(0)
	v_mul_f64 v[24:25], v[18:19], v[24:25]
	global_store_dwordx2 v[22:23], v[24:25], off
	global_load_dwordx2 v[22:23], v[20:21], off
	s_waitcnt vmcnt(0)
	v_mul_f64 v[22:23], v[14:15], v[22:23]
	global_store_dwordx2 v[20:21], v[22:23], off
	v_lshlrev_b64 v[20:21], 3, v[0:1]
	v_add_u32_e32 v0, s4, v0
	v_add_co_u32_e32 v20, vcc, s0, v20
	v_addc_co_u32_e32 v21, vcc, v52, v21, vcc
	global_load_dwordx2 v[22:23], v[20:21], off
	s_waitcnt vmcnt(0)
	v_mul_f64 v[22:23], v[10:11], v[22:23]
	global_store_dwordx2 v[20:21], v[22:23], off
	v_lshlrev_b64 v[20:21], 3, v[0:1]
	v_add_u32_e32 v0, s6, v0
	v_add_co_u32_e32 v20, vcc, s2, v20
	v_addc_co_u32_e32 v21, vcc, v53, v21, vcc
	global_load_dwordx2 v[22:23], v[20:21], off
	s_waitcnt vmcnt(0)
	v_mul_f64 v[22:23], v[10:11], v[22:23]
	global_store_dwordx2 v[20:21], v[22:23], off
	v_lshlrev_b64 v[20:21], 3, v[0:1]
	v_add_u32_e32 v0, s4, v0
	v_add_co_u32_e32 v20, vcc, s0, v20
	v_addc_co_u32_e32 v21, vcc, v52, v21, vcc
	global_load_dwordx2 v[22:23], v[20:21], off
	s_waitcnt vmcnt(0)
	v_mul_f64 v[18:19], v[18:19], v[22:23]
	global_store_dwordx2 v[20:21], v[18:19], off
	v_lshlrev_b64 v[18:19], 3, v[0:1]
	v_add_u32_e32 v0, s1, v0
	v_add_co_u32_e32 v20, vcc, s0, v18
	v_addc_co_u32_e32 v21, vcc, v52, v19, vcc
	global_load_dwordx2 v[22:23], v[20:21], off
	v_add_co_u32_e32 v18, vcc, s2, v18
	v_addc_co_u32_e32 v19, vcc, v53, v19, vcc
	s_waitcnt vmcnt(0)
	v_mul_f64 v[22:23], v[14:15], v[22:23]
	global_store_dwordx2 v[20:21], v[22:23], off
	global_load_dwordx2 v[20:21], v[18:19], off
	s_waitcnt vmcnt(0)
	v_mul_f64 v[20:21], v[6:7], v[20:21]
	global_store_dwordx2 v[18:19], v[20:21], off
	v_lshlrev_b64 v[18:19], 3, v[0:1]
	v_add_u32_e32 v0, s4, v0
	v_add_co_u32_e32 v18, vcc, s2, v18
	v_addc_co_u32_e32 v19, vcc, v53, v19, vcc
	;; [unrolled: 38-line block ×3, first 2 shown]
	global_load_dwordx2 v[20:21], v[18:19], off
	s_waitcnt vmcnt(0)
	v_mul_f64 v[20:21], v[12:13], v[20:21]
	global_store_dwordx2 v[18:19], v[20:21], off
	v_lshlrev_b64 v[18:19], 3, v[0:1]
	v_add_u32_e32 v0, s4, v0
	v_add_co_u32_e32 v20, vcc, s0, v18
	v_addc_co_u32_e32 v21, vcc, v52, v19, vcc
	global_load_dwordx2 v[22:23], v[20:21], off
	v_add_co_u32_e32 v18, vcc, s2, v18
	v_addc_co_u32_e32 v19, vcc, v53, v19, vcc
	s_waitcnt vmcnt(0)
	v_mul_f64 v[22:23], v[12:13], v[22:23]
	global_store_dwordx2 v[20:21], v[22:23], off
	global_load_dwordx2 v[20:21], v[18:19], off
	s_waitcnt vmcnt(0)
	v_mul_f64 v[20:21], v[14:15], v[20:21]
	global_store_dwordx2 v[18:19], v[20:21], off
	v_lshlrev_b64 v[18:19], 3, v[0:1]
	v_add_u32_e32 v0, s4, v0
	v_add_co_u32_e32 v18, vcc, s0, v18
	v_addc_co_u32_e32 v19, vcc, v52, v19, vcc
	global_load_dwordx2 v[20:21], v[18:19], off
	s_waitcnt vmcnt(0)
	v_mul_f64 v[20:21], v[12:13], v[20:21]
	global_store_dwordx2 v[18:19], v[20:21], off
	v_lshlrev_b64 v[18:19], 3, v[0:1]
	v_add_u32_e32 v0, s4, v0
	v_add_co_u32_e32 v20, vcc, s0, v18
	v_addc_co_u32_e32 v21, vcc, v52, v19, vcc
	global_load_dwordx2 v[22:23], v[20:21], off
	v_add_co_u32_e32 v18, vcc, s2, v18
	v_addc_co_u32_e32 v19, vcc, v53, v19, vcc
	s_waitcnt vmcnt(0)
	v_mul_f64 v[22:23], v[12:13], v[22:23]
	global_store_dwordx2 v[20:21], v[22:23], off
	global_load_dwordx2 v[20:21], v[18:19], off
	s_waitcnt vmcnt(0)
	v_mul_f64 v[20:21], v[14:15], v[20:21]
	global_store_dwordx2 v[18:19], v[20:21], off
	v_lshlrev_b64 v[18:19], 3, v[0:1]
	v_add_u32_e32 v0, s5, v0
	v_add_co_u32_e32 v18, vcc, s2, v18
	v_addc_co_u32_e32 v19, vcc, v53, v19, vcc
	global_load_dwordx2 v[20:21], v[18:19], off
	s_waitcnt vmcnt(0)
	v_mul_f64 v[20:21], v[16:17], v[20:21]
	global_store_dwordx2 v[18:19], v[20:21], off
	v_lshlrev_b64 v[18:19], 3, v[0:1]
	v_add_u32_e32 v0, s1, v0
	v_add_co_u32_e32 v18, vcc, s2, v18
	v_addc_co_u32_e32 v19, vcc, v53, v19, vcc
	;; [unrolled: 8-line block ×5, first 2 shown]
	global_load_dwordx2 v[22:23], v[20:21], off
	v_add_co_u32_e32 v18, vcc, s2, v18
	v_addc_co_u32_e32 v19, vcc, v53, v19, vcc
	s_waitcnt vmcnt(0)
	v_mul_f64 v[22:23], v[6:7], v[22:23]
	global_store_dwordx2 v[20:21], v[22:23], off
	global_load_dwordx2 v[20:21], v[18:19], off
	s_waitcnt vmcnt(0)
	v_mul_f64 v[20:21], v[12:13], v[20:21]
	global_store_dwordx2 v[18:19], v[20:21], off
	v_lshlrev_b64 v[18:19], 3, v[0:1]
	v_add_u32_e32 v0, s4, v0
	v_add_co_u32_e32 v18, vcc, s0, v18
	v_addc_co_u32_e32 v19, vcc, v52, v19, vcc
	global_load_dwordx2 v[20:21], v[18:19], off
	s_waitcnt vmcnt(0)
	v_mul_f64 v[20:21], v[6:7], v[20:21]
	global_store_dwordx2 v[18:19], v[20:21], off
	v_lshlrev_b64 v[18:19], 3, v[0:1]
	v_add_u32_e32 v0, s4, v0
	v_add_co_u32_e32 v18, vcc, s0, v18
	v_addc_co_u32_e32 v19, vcc, v52, v19, vcc
	;; [unrolled: 8-line block ×5, first 2 shown]
	global_load_dwordx2 v[22:23], v[20:21], off
	v_add_co_u32_e32 v18, vcc, s2, v18
	v_addc_co_u32_e32 v19, vcc, v53, v19, vcc
	s_waitcnt vmcnt(0)
	v_mul_f64 v[22:23], v[6:7], v[22:23]
	global_store_dwordx2 v[20:21], v[22:23], off
	global_load_dwordx2 v[20:21], v[18:19], off
	s_waitcnt vmcnt(0)
	v_mul_f64 v[20:21], v[16:17], v[20:21]
	global_store_dwordx2 v[18:19], v[20:21], off
	v_lshlrev_b64 v[18:19], 3, v[0:1]
	v_add_u32_e32 v0, s4, v0
	v_add_co_u32_e32 v20, vcc, s0, v18
	v_addc_co_u32_e32 v21, vcc, v52, v19, vcc
	global_load_dwordx2 v[22:23], v[20:21], off
	v_add_co_u32_e32 v18, vcc, s2, v18
	v_addc_co_u32_e32 v19, vcc, v53, v19, vcc
	s_waitcnt vmcnt(0)
	v_mul_f64 v[22:23], v[6:7], v[22:23]
	global_store_dwordx2 v[20:21], v[22:23], off
	global_load_dwordx2 v[20:21], v[18:19], off
	s_waitcnt vmcnt(0)
	v_mul_f64 v[20:21], v[2:3], v[20:21]
	global_store_dwordx2 v[18:19], v[20:21], off
	v_lshlrev_b64 v[18:19], 3, v[0:1]
	v_add_u32_e32 v0, s4, v0
	v_add_co_u32_e32 v20, vcc, s0, v18
	v_addc_co_u32_e32 v21, vcc, v52, v19, vcc
	;; [unrolled: 14-line block ×3, first 2 shown]
	global_load_dwordx2 v[20:21], v[18:19], off
	s_waitcnt vmcnt(0)
	v_mul_f64 v[20:21], v[6:7], v[20:21]
	global_store_dwordx2 v[18:19], v[20:21], off
	v_lshlrev_b64 v[18:19], 3, v[0:1]
	v_add_u32_e32 v0, s4, v0
	v_add_co_u32_e32 v18, vcc, s0, v18
	v_addc_co_u32_e32 v19, vcc, v52, v19, vcc
	global_load_dwordx2 v[20:21], v[18:19], off
	s_waitcnt vmcnt(0)
	v_mul_f64 v[20:21], v[6:7], v[20:21]
	global_store_dwordx2 v[18:19], v[20:21], off
	v_lshlrev_b64 v[18:19], 3, v[0:1]
	v_add_u32_e32 v0, s4, v0
	v_add_co_u32_e32 v18, vcc, s0, v18
	v_addc_co_u32_e32 v19, vcc, v52, v19, vcc
	global_load_dwordx2 v[20:21], v[18:19], off
	s_waitcnt vmcnt(0)
	v_mul_f64 v[20:21], v[6:7], v[20:21]
	global_store_dwordx2 v[18:19], v[20:21], off
	v_lshlrev_b64 v[18:19], 3, v[0:1]
	v_add_u32_e32 v0, s4, v0
	v_add_co_u32_e32 v18, vcc, s0, v18
	v_addc_co_u32_e32 v19, vcc, v52, v19, vcc
	global_load_dwordx2 v[20:21], v[18:19], off
	s_waitcnt vmcnt(0)
	v_mul_f64 v[20:21], v[6:7], v[20:21]
	global_store_dwordx2 v[18:19], v[20:21], off
	v_lshlrev_b64 v[18:19], 3, v[0:1]
	v_add_u32_e32 v0, s4, v0
	v_add_co_u32_e32 v18, vcc, s0, v18
	v_addc_co_u32_e32 v19, vcc, v52, v19, vcc
	global_load_dwordx2 v[20:21], v[18:19], off
	s_waitcnt vmcnt(0)
	v_mul_f64 v[20:21], v[16:17], v[20:21]
	global_store_dwordx2 v[18:19], v[20:21], off
	v_lshlrev_b64 v[18:19], 3, v[0:1]
	v_add_u32_e32 v0, s4, v0
	v_add_co_u32_e32 v18, vcc, s0, v18
	v_addc_co_u32_e32 v19, vcc, v52, v19, vcc
	global_load_dwordx2 v[20:21], v[18:19], off
	s_waitcnt vmcnt(0)
	v_mul_f64 v[20:21], v[16:17], v[20:21]
	global_store_dwordx2 v[18:19], v[20:21], off
	v_lshlrev_b64 v[18:19], 3, v[0:1]
	v_add_u32_e32 v0, s4, v0
	v_add_co_u32_e32 v20, vcc, s0, v18
	v_addc_co_u32_e32 v21, vcc, v52, v19, vcc
	global_load_dwordx2 v[22:23], v[20:21], off
	v_add_co_u32_e32 v18, vcc, s2, v18
	v_addc_co_u32_e32 v19, vcc, v53, v19, vcc
	s_waitcnt vmcnt(0)
	v_mul_f64 v[22:23], v[16:17], v[22:23]
	global_store_dwordx2 v[20:21], v[22:23], off
	global_load_dwordx2 v[20:21], v[18:19], off
	s_waitcnt vmcnt(0)
	v_mul_f64 v[20:21], v[2:3], v[20:21]
	global_store_dwordx2 v[18:19], v[20:21], off
	v_lshlrev_b64 v[18:19], 3, v[0:1]
	v_add_u32_e32 v0, s4, v0
	v_add_co_u32_e32 v18, vcc, s0, v18
	v_addc_co_u32_e32 v19, vcc, v52, v19, vcc
	global_load_dwordx2 v[20:21], v[18:19], off
	s_waitcnt vmcnt(0)
	v_mul_f64 v[20:21], v[16:17], v[20:21]
	global_store_dwordx2 v[18:19], v[20:21], off
	v_lshlrev_b64 v[18:19], 3, v[0:1]
	v_add_u32_e32 v0, s4, v0
	v_add_co_u32_e32 v18, vcc, s0, v18
	v_addc_co_u32_e32 v19, vcc, v52, v19, vcc
	;; [unrolled: 8-line block ×14, first 2 shown]
	global_load_dwordx2 v[20:21], v[18:19], off
	v_add_co_u32_e32 v16, vcc, s2, v16
	v_addc_co_u32_e32 v17, vcc, v53, v17, vcc
	s_waitcnt vmcnt(0)
	v_mul_f64 v[20:21], v[2:3], v[20:21]
	global_store_dwordx2 v[18:19], v[20:21], off
	global_load_dwordx2 v[18:19], v[16:17], off
	s_waitcnt vmcnt(0)
	v_mul_f64 v[18:19], v[4:5], v[18:19]
	global_store_dwordx2 v[16:17], v[18:19], off
	v_lshlrev_b64 v[16:17], 3, v[0:1]
	v_add_u32_e32 v0, s4, v0
	v_add_co_u32_e32 v16, vcc, s0, v16
	v_addc_co_u32_e32 v17, vcc, v52, v17, vcc
	global_load_dwordx2 v[18:19], v[16:17], off
	s_waitcnt vmcnt(0)
	v_mul_f64 v[14:15], v[14:15], v[18:19]
	global_store_dwordx2 v[16:17], v[14:15], off
	v_lshlrev_b64 v[14:15], 3, v[0:1]
	v_add_u32_e32 v0, s4, v0
	v_add_co_u32_e32 v16, vcc, s0, v14
	v_addc_co_u32_e32 v17, vcc, v52, v15, vcc
	global_load_dwordx2 v[18:19], v[16:17], off
	v_add_co_u32_e32 v14, vcc, s2, v14
	v_addc_co_u32_e32 v15, vcc, v53, v15, vcc
	s_waitcnt vmcnt(0)
	v_mul_f64 v[18:19], v[10:11], v[18:19]
	global_store_dwordx2 v[16:17], v[18:19], off
	global_load_dwordx2 v[16:17], v[14:15], off
	s_waitcnt vmcnt(0)
	v_mul_f64 v[16:17], v[12:13], v[16:17]
	global_store_dwordx2 v[14:15], v[16:17], off
	v_lshlrev_b64 v[14:15], 3, v[0:1]
	v_add_u32_e32 v0, s4, v0
	v_add_co_u32_e32 v14, vcc, s0, v14
	v_addc_co_u32_e32 v15, vcc, v52, v15, vcc
	global_load_dwordx2 v[16:17], v[14:15], off
	s_waitcnt vmcnt(0)
	v_mul_f64 v[16:17], v[10:11], v[16:17]
	global_store_dwordx2 v[14:15], v[16:17], off
	v_lshlrev_b64 v[14:15], 3, v[0:1]
	v_add_u32_e32 v0, s4, v0
	v_add_co_u32_e32 v14, vcc, s2, v14
	v_addc_co_u32_e32 v15, vcc, v53, v15, vcc
	;; [unrolled: 8-line block ×16, first 2 shown]
	global_load_dwordx2 v[18:19], v[16:17], off
	s_waitcnt vmcnt(0)
	v_mul_f64 v[10:11], v[10:11], v[18:19]
	global_store_dwordx2 v[16:17], v[10:11], off
	v_add_co_u32_e32 v10, vcc, s2, v14
	v_addc_co_u32_e32 v11, vcc, v53, v15, vcc
	global_load_dwordx2 v[14:15], v[10:11], off
	s_waitcnt vmcnt(0)
	v_mul_f64 v[14:15], v[4:5], v[14:15]
	global_store_dwordx2 v[10:11], v[14:15], off
	v_lshlrev_b64 v[10:11], 3, v[0:1]
	v_add_u32_e32 v0, s1, v0
	v_add_co_u32_e32 v10, vcc, s2, v10
	v_addc_co_u32_e32 v11, vcc, v53, v11, vcc
	global_load_dwordx2 v[14:15], v[10:11], off
	s_waitcnt vmcnt(0)
	v_mul_f64 v[14:15], v[4:5], v[14:15]
	global_store_dwordx2 v[10:11], v[14:15], off
	v_lshlrev_b64 v[10:11], 3, v[0:1]
	v_add_u32_e32 v0, s1, v0
	v_add_co_u32_e32 v10, vcc, s2, v10
	v_addc_co_u32_e32 v11, vcc, v53, v11, vcc
	global_load_dwordx2 v[14:15], v[10:11], off
	s_waitcnt vmcnt(0)
	v_mul_f64 v[12:13], v[12:13], v[14:15]
	global_store_dwordx2 v[10:11], v[12:13], off
	v_lshlrev_b64 v[10:11], 3, v[0:1]
	v_add_u32_e32 v0, s4, v0
	v_add_co_u32_e32 v10, vcc, s2, v10
	v_addc_co_u32_e32 v11, vcc, v53, v11, vcc
	global_load_dwordx2 v[12:13], v[10:11], off
	s_waitcnt vmcnt(0)
	v_mul_f64 v[6:7], v[6:7], v[12:13]
	global_store_dwordx2 v[10:11], v[6:7], off
	v_lshlrev_b64 v[6:7], 3, v[0:1]
	v_add_u32_e32 v0, s4, v0
	v_add_co_u32_e32 v6, vcc, s0, v6
	v_addc_co_u32_e32 v7, vcc, v52, v7, vcc
	global_load_dwordx2 v[10:11], v[6:7], off
	s_waitcnt vmcnt(0)
	v_mul_f64 v[2:3], v[2:3], v[10:11]
	global_store_dwordx2 v[6:7], v[2:3], off
	v_lshlrev_b64 v[2:3], 3, v[0:1]
	v_add_co_u32_e32 v2, vcc, s2, v2
	v_addc_co_u32_e32 v3, vcc, v53, v3, vcc
	global_load_dwordx2 v[6:7], v[2:3], off
	s_waitcnt vmcnt(0)
	v_mul_f64 v[6:7], v[8:9], v[6:7]
	global_store_dwordx2 v[2:3], v[6:7], off
	v_mad_u64_u32 v[2:3], s[6:7], s4, 9, v[0:1]
	v_mov_b32_e32 v3, v1
	v_lshlrev_b64 v[6:7], 3, v[2:3]
	v_add_u32_e32 v0, s4, v2
	v_add_co_u32_e32 v10, vcc, s0, v6
	v_addc_co_u32_e32 v11, vcc, v52, v7, vcc
	global_load_dwordx2 v[12:13], v[10:11], off
	v_add_co_u32_e32 v6, vcc, s2, v6
	v_addc_co_u32_e32 v7, vcc, v53, v7, vcc
	v_lshlrev_b64 v[2:3], 3, v[0:1]
	v_add_u32_e32 v0, s4, v0
	v_add_co_u32_e32 v2, vcc, s0, v2
	v_addc_co_u32_e32 v3, vcc, v52, v3, vcc
	s_waitcnt vmcnt(0)
	v_mul_f64 v[12:13], v[8:9], v[12:13]
	global_store_dwordx2 v[10:11], v[12:13], off
	global_load_dwordx2 v[10:11], v[6:7], off
	s_waitcnt vmcnt(0)
	v_mul_f64 v[10:11], v[4:5], v[10:11]
	global_store_dwordx2 v[6:7], v[10:11], off
	global_load_dwordx2 v[6:7], v[2:3], off
	s_waitcnt vmcnt(0)
	v_mul_f64 v[6:7], v[8:9], v[6:7]
	global_store_dwordx2 v[2:3], v[6:7], off
	v_lshlrev_b64 v[2:3], 3, v[0:1]
	v_add_u32_e32 v0, s4, v0
	v_add_co_u32_e32 v6, vcc, s0, v2
	v_addc_co_u32_e32 v7, vcc, v52, v3, vcc
	global_load_dwordx2 v[10:11], v[6:7], off
	v_add_co_u32_e32 v2, vcc, s2, v2
	v_addc_co_u32_e32 v3, vcc, v53, v3, vcc
	s_waitcnt vmcnt(0)
	v_mul_f64 v[10:11], v[8:9], v[10:11]
	global_store_dwordx2 v[6:7], v[10:11], off
	global_load_dwordx2 v[6:7], v[2:3], off
	s_waitcnt vmcnt(0)
	v_mul_f64 v[6:7], v[4:5], v[6:7]
	global_store_dwordx2 v[2:3], v[6:7], off
	v_lshlrev_b64 v[2:3], 3, v[0:1]
	v_add_u32_e32 v0, s4, v0
	v_add_co_u32_e32 v2, vcc, s0, v2
	v_addc_co_u32_e32 v3, vcc, v52, v3, vcc
	global_load_dwordx2 v[6:7], v[2:3], off
	s_waitcnt vmcnt(0)
	v_mul_f64 v[6:7], v[8:9], v[6:7]
	global_store_dwordx2 v[2:3], v[6:7], off
	v_lshlrev_b64 v[2:3], 3, v[0:1]
	v_add_u32_e32 v0, s4, v0
	v_add_co_u32_e32 v2, vcc, s0, v2
	v_addc_co_u32_e32 v3, vcc, v52, v3, vcc
	;; [unrolled: 8-line block ×3, first 2 shown]
	global_load_dwordx2 v[10:11], v[6:7], off
	v_add_co_u32_e32 v2, vcc, s2, v2
	v_addc_co_u32_e32 v3, vcc, v53, v3, vcc
	v_lshlrev_b64 v[0:1], 3, v[0:1]
	v_add_co_u32_e32 v0, vcc, s0, v0
	v_addc_co_u32_e32 v1, vcc, v52, v1, vcc
	s_waitcnt vmcnt(0)
	v_mul_f64 v[10:11], v[8:9], v[10:11]
	global_store_dwordx2 v[6:7], v[10:11], off
	global_load_dwordx2 v[6:7], v[2:3], off
	s_waitcnt vmcnt(0)
	v_mul_f64 v[4:5], v[4:5], v[6:7]
	global_store_dwordx2 v[2:3], v[4:5], off
	global_load_dwordx2 v[2:3], v[0:1], off
	s_waitcnt vmcnt(0)
	v_mul_f64 v[2:3], v[8:9], v[2:3]
	global_store_dwordx2 v[0:1], v[2:3], off
	s_endpgm
	.section	.rodata,"a",@progbits
	.p2align	6, 0x0
	.amdhsa_kernel _Z12qssa2_kernelIdEvPT_S1_PKS0_
		.amdhsa_group_segment_fixed_size 0
		.amdhsa_private_segment_fixed_size 0
		.amdhsa_kernarg_size 280
		.amdhsa_user_sgpr_count 6
		.amdhsa_user_sgpr_private_segment_buffer 1
		.amdhsa_user_sgpr_dispatch_ptr 0
		.amdhsa_user_sgpr_queue_ptr 0
		.amdhsa_user_sgpr_kernarg_segment_ptr 1
		.amdhsa_user_sgpr_dispatch_id 0
		.amdhsa_user_sgpr_flat_scratch_init 0
		.amdhsa_user_sgpr_private_segment_size 0
		.amdhsa_uses_dynamic_stack 0
		.amdhsa_system_sgpr_private_segment_wavefront_offset 0
		.amdhsa_system_sgpr_workgroup_id_x 1
		.amdhsa_system_sgpr_workgroup_id_y 0
		.amdhsa_system_sgpr_workgroup_id_z 0
		.amdhsa_system_sgpr_workgroup_info 0
		.amdhsa_system_vgpr_workitem_id 0
		.amdhsa_next_free_vgpr 60
		.amdhsa_next_free_sgpr 12
		.amdhsa_reserve_vcc 1
		.amdhsa_reserve_flat_scratch 0
		.amdhsa_float_round_mode_32 0
		.amdhsa_float_round_mode_16_64 0
		.amdhsa_float_denorm_mode_32 3
		.amdhsa_float_denorm_mode_16_64 3
		.amdhsa_dx10_clamp 1
		.amdhsa_ieee_mode 1
		.amdhsa_fp16_overflow 0
		.amdhsa_exception_fp_ieee_invalid_op 0
		.amdhsa_exception_fp_denorm_src 0
		.amdhsa_exception_fp_ieee_div_zero 0
		.amdhsa_exception_fp_ieee_overflow 0
		.amdhsa_exception_fp_ieee_underflow 0
		.amdhsa_exception_fp_ieee_inexact 0
		.amdhsa_exception_int_div_zero 0
	.end_amdhsa_kernel
	.section	.text._Z12qssa2_kernelIdEvPT_S1_PKS0_,"axG",@progbits,_Z12qssa2_kernelIdEvPT_S1_PKS0_,comdat
.Lfunc_end45:
	.size	_Z12qssa2_kernelIdEvPT_S1_PKS0_, .Lfunc_end45-_Z12qssa2_kernelIdEvPT_S1_PKS0_
                                        ; -- End function
	.set _Z12qssa2_kernelIdEvPT_S1_PKS0_.num_vgpr, 60
	.set _Z12qssa2_kernelIdEvPT_S1_PKS0_.num_agpr, 0
	.set _Z12qssa2_kernelIdEvPT_S1_PKS0_.numbered_sgpr, 12
	.set _Z12qssa2_kernelIdEvPT_S1_PKS0_.num_named_barrier, 0
	.set _Z12qssa2_kernelIdEvPT_S1_PKS0_.private_seg_size, 0
	.set _Z12qssa2_kernelIdEvPT_S1_PKS0_.uses_vcc, 1
	.set _Z12qssa2_kernelIdEvPT_S1_PKS0_.uses_flat_scratch, 0
	.set _Z12qssa2_kernelIdEvPT_S1_PKS0_.has_dyn_sized_stack, 0
	.set _Z12qssa2_kernelIdEvPT_S1_PKS0_.has_recursion, 0
	.set _Z12qssa2_kernelIdEvPT_S1_PKS0_.has_indirect_call, 0
	.section	.AMDGPU.csdata,"",@progbits
; Kernel info:
; codeLenInByte = 8684
; TotalNumSgprs: 16
; NumVgprs: 60
; ScratchSize: 0
; MemoryBound: 1
; FloatMode: 240
; IeeeMode: 1
; LDSByteSize: 0 bytes/workgroup (compile time only)
; SGPRBlocks: 1
; VGPRBlocks: 14
; NumSGPRsForWavesPerEU: 16
; NumVGPRsForWavesPerEU: 60
; Occupancy: 4
; WaveLimiterHint : 1
; COMPUTE_PGM_RSRC2:SCRATCH_EN: 0
; COMPUTE_PGM_RSRC2:USER_SGPR: 6
; COMPUTE_PGM_RSRC2:TRAP_HANDLER: 0
; COMPUTE_PGM_RSRC2:TGID_X_EN: 1
; COMPUTE_PGM_RSRC2:TGID_Y_EN: 0
; COMPUTE_PGM_RSRC2:TGID_Z_EN: 0
; COMPUTE_PGM_RSRC2:TIDIG_COMP_CNT: 0
	.section	.text._Z13rdwdot_kernelIdEvPKT_S2_PS0_S0_S2_,"axG",@progbits,_Z13rdwdot_kernelIdEvPKT_S2_PS0_S0_S2_,comdat
	.protected	_Z13rdwdot_kernelIdEvPKT_S2_PS0_S0_S2_ ; -- Begin function _Z13rdwdot_kernelIdEvPKT_S2_PS0_S0_S2_
	.globl	_Z13rdwdot_kernelIdEvPKT_S2_PS0_S0_S2_
	.p2align	8
	.type	_Z13rdwdot_kernelIdEvPKT_S2_PS0_S0_S2_,@function
_Z13rdwdot_kernelIdEvPKT_S2_PS0_S0_S2_: ; @_Z13rdwdot_kernelIdEvPKT_S2_PS0_S0_S2_
; %bb.0:
	s_load_dwordx8 s[8:15], s[4:5], 0x0
	s_load_dwordx2 s[0:1], s[4:5], 0x20
	s_load_dword s2, s[4:5], 0x28
	s_load_dword s3, s[4:5], 0x34
	v_mov_b32_e32 v3, 0
	s_waitcnt lgkmcnt(0)
	v_mov_b32_e32 v8, s9
	v_mov_b32_e32 v9, s11
	s_load_dwordx2 s[0:1], s[0:1], 0x8
	s_and_b32 s4, s3, 0xffff
	s_mul_i32 s2, s2, s4
	s_mul_i32 s6, s6, s4
	s_lshl_b32 s3, s2, 2
	v_add_u32_e32 v0, s6, v0
	v_add_u32_e32 v2, s3, v0
	v_lshlrev_b64 v[4:5], 3, v[2:3]
	v_add_u32_e32 v2, s2, v2
	v_add_co_u32_e32 v6, vcc, s8, v4
	v_addc_co_u32_e32 v7, vcc, v8, v5, vcc
	v_add_co_u32_e32 v4, vcc, s10, v4
	v_addc_co_u32_e32 v5, vcc, v9, v5, vcc
	global_load_dwordx2 v[6:7], v[6:7], off
	s_mul_i32 s4, s2, 6
	global_load_dwordx2 v[4:5], v[4:5], off
	s_mul_i32 s5, s2, 7
	s_mul_i32 s6, s2, 5
	s_lshl_b32 s7, s2, 1
	s_mul_i32 s9, s2, 3
	s_lshl_b32 s11, s2, 3
	s_waitcnt vmcnt(0)
	v_add_f64 v[4:5], v[6:7], -v[4:5]
	v_lshlrev_b64 v[6:7], 3, v[2:3]
	v_add_u32_e32 v2, s2, v2
	v_add_co_u32_e32 v10, vcc, s8, v6
	v_addc_co_u32_e32 v11, vcc, v8, v7, vcc
	v_add_co_u32_e32 v6, vcc, s10, v6
	v_addc_co_u32_e32 v7, vcc, v9, v7, vcc
	global_load_dwordx2 v[10:11], v[10:11], off
	s_nop 0
	global_load_dwordx2 v[6:7], v[6:7], off
	s_waitcnt vmcnt(0)
	v_add_f64 v[6:7], v[10:11], -v[6:7]
	v_add_f64 v[4:5], v[4:5], v[6:7]
	v_lshlrev_b64 v[6:7], 3, v[2:3]
	v_add_u32_e32 v2, s2, v2
	v_add_co_u32_e32 v10, vcc, s8, v6
	v_addc_co_u32_e32 v11, vcc, v8, v7, vcc
	v_add_co_u32_e32 v6, vcc, s10, v6
	v_addc_co_u32_e32 v7, vcc, v9, v7, vcc
	global_load_dwordx2 v[10:11], v[10:11], off
	s_nop 0
	global_load_dwordx2 v[6:7], v[6:7], off
	s_waitcnt vmcnt(0)
	v_add_f64 v[6:7], v[10:11], -v[6:7]
	v_add_f64 v[4:5], v[4:5], v[6:7]
	v_lshlrev_b64 v[6:7], 3, v[2:3]
	v_add_u32_e32 v2, s3, v2
	v_add_co_u32_e32 v10, vcc, s8, v6
	v_addc_co_u32_e32 v11, vcc, v8, v7, vcc
	v_add_co_u32_e32 v6, vcc, s10, v6
	v_addc_co_u32_e32 v7, vcc, v9, v7, vcc
	global_load_dwordx2 v[10:11], v[10:11], off
	s_nop 0
	global_load_dwordx2 v[6:7], v[6:7], off
	s_waitcnt vmcnt(0)
	v_add_f64 v[6:7], v[10:11], -v[6:7]
	v_add_f64 v[4:5], v[4:5], v[6:7]
	v_lshlrev_b64 v[6:7], 3, v[2:3]
	v_add_u32_e32 v2, s2, v2
	v_add_co_u32_e32 v10, vcc, s8, v6
	v_addc_co_u32_e32 v11, vcc, v8, v7, vcc
	v_add_co_u32_e32 v6, vcc, s10, v6
	v_addc_co_u32_e32 v7, vcc, v9, v7, vcc
	global_load_dwordx2 v[10:11], v[10:11], off
	s_nop 0
	global_load_dwordx2 v[6:7], v[6:7], off
	s_waitcnt vmcnt(0)
	v_add_f64 v[6:7], v[10:11], -v[6:7]
	v_lshlrev_b64 v[10:11], 3, v[2:3]
	v_add_u32_e32 v2, s2, v2
	v_add_co_u32_e32 v12, vcc, s8, v10
	v_addc_co_u32_e32 v13, vcc, v8, v11, vcc
	v_add_co_u32_e32 v10, vcc, s10, v10
	v_addc_co_u32_e32 v11, vcc, v9, v11, vcc
	global_load_dwordx2 v[12:13], v[12:13], off
	s_nop 0
	global_load_dwordx2 v[10:11], v[10:11], off
	s_waitcnt vmcnt(0)
	v_add_f64 v[10:11], v[12:13], -v[10:11]
	v_add_f64 v[6:7], v[6:7], v[10:11]
	v_lshlrev_b64 v[10:11], 3, v[2:3]
	v_add_u32_e32 v2, s2, v2
	v_add_co_u32_e32 v12, vcc, s8, v10
	v_addc_co_u32_e32 v13, vcc, v8, v11, vcc
	v_add_co_u32_e32 v10, vcc, s10, v10
	v_addc_co_u32_e32 v11, vcc, v9, v11, vcc
	global_load_dwordx2 v[12:13], v[12:13], off
	v_lshlrev_b64 v[1:2], 3, v[2:3]
	global_load_dwordx2 v[10:11], v[10:11], off
	s_waitcnt vmcnt(0)
	v_add_f64 v[10:11], v[12:13], -v[10:11]
	v_add_f64 v[6:7], v[6:7], v[10:11]
	v_add_co_u32_e32 v10, vcc, s8, v1
	v_addc_co_u32_e32 v11, vcc, v8, v2, vcc
	v_add_co_u32_e32 v1, vcc, s10, v1
	v_addc_co_u32_e32 v2, vcc, v9, v2, vcc
	global_load_dwordx2 v[10:11], v[10:11], off
	s_nop 0
	global_load_dwordx2 v[1:2], v[1:2], off
	s_waitcnt vmcnt(0)
	v_add_f64 v[1:2], v[10:11], -v[1:2]
	v_add_f64 v[6:7], v[6:7], v[1:2]
	v_mov_b32_e32 v1, v3
	v_lshlrev_b64 v[1:2], 3, v[0:1]
	v_add_co_u32_e32 v10, vcc, s8, v1
	v_addc_co_u32_e32 v11, vcc, v8, v2, vcc
	v_add_co_u32_e32 v1, vcc, s10, v1
	v_addc_co_u32_e32 v2, vcc, v9, v2, vcc
	global_load_dwordx2 v[10:11], v[10:11], off
	s_nop 0
	global_load_dwordx2 v[1:2], v[1:2], off
	s_waitcnt vmcnt(0)
	v_add_f64 v[10:11], v[10:11], -v[1:2]
	v_add_u32_e32 v2, s2, v0
	v_lshlrev_b64 v[0:1], 3, v[2:3]
	v_add_u32_e32 v2, s2, v2
	v_add_co_u32_e32 v12, vcc, s8, v0
	v_addc_co_u32_e32 v13, vcc, v8, v1, vcc
	v_add_co_u32_e32 v14, vcc, s10, v0
	v_addc_co_u32_e32 v15, vcc, v9, v1, vcc
	global_load_dwordx2 v[12:13], v[12:13], off
	s_nop 0
	global_load_dwordx2 v[14:15], v[14:15], off
	s_waitcnt vmcnt(0)
	v_add_f64 v[12:13], v[12:13], -v[14:15]
	v_add_f64 v[10:11], v[12:13], -v[10:11]
	v_lshlrev_b64 v[12:13], 3, v[2:3]
	v_add_u32_e32 v2, s4, v2
	v_add_co_u32_e32 v14, vcc, s8, v12
	v_addc_co_u32_e32 v15, vcc, v8, v13, vcc
	v_add_co_u32_e32 v12, vcc, s10, v12
	v_addc_co_u32_e32 v13, vcc, v9, v13, vcc
	global_load_dwordx2 v[14:15], v[14:15], off
	s_nop 0
	global_load_dwordx2 v[12:13], v[12:13], off
	s_waitcnt vmcnt(0)
	v_add_f64 v[12:13], v[14:15], -v[12:13]
	v_add_f64 v[10:11], v[10:11], v[12:13]
	v_add_f64 v[10:11], v[10:11], -v[4:5]
	v_add_f64 v[4:5], v[10:11], -v[4:5]
	v_lshlrev_b64 v[10:11], 3, v[2:3]
	v_add_u32_e32 v2, s2, v2
	v_add_co_u32_e32 v12, vcc, s8, v10
	v_addc_co_u32_e32 v13, vcc, v8, v11, vcc
	v_add_co_u32_e32 v10, vcc, s10, v10
	v_addc_co_u32_e32 v11, vcc, v9, v11, vcc
	global_load_dwordx2 v[12:13], v[12:13], off
	s_nop 0
	global_load_dwordx2 v[10:11], v[10:11], off
	s_waitcnt vmcnt(0)
	v_add_f64 v[10:11], v[12:13], -v[10:11]
	v_add_f64 v[4:5], v[4:5], -v[10:11]
	v_lshlrev_b64 v[10:11], 3, v[2:3]
	v_add_u32_e32 v2, s5, v2
	v_add_co_u32_e32 v12, vcc, s8, v10
	v_addc_co_u32_e32 v13, vcc, v8, v11, vcc
	v_add_co_u32_e32 v10, vcc, s10, v10
	v_addc_co_u32_e32 v11, vcc, v9, v11, vcc
	global_load_dwordx2 v[12:13], v[12:13], off
	s_nop 0
	global_load_dwordx2 v[10:11], v[10:11], off
	s_waitcnt vmcnt(0)
	v_add_f64 v[10:11], v[12:13], -v[10:11]
	v_add_f64 v[4:5], v[4:5], -v[10:11]
	;; [unrolled: 1-line block ×3, first 2 shown]
	v_lshlrev_b64 v[6:7], 3, v[2:3]
	v_add_u32_e32 v2, s2, v2
	v_add_co_u32_e32 v10, vcc, s8, v6
	v_addc_co_u32_e32 v11, vcc, v8, v7, vcc
	v_add_co_u32_e32 v6, vcc, s10, v6
	v_addc_co_u32_e32 v7, vcc, v9, v7, vcc
	global_load_dwordx2 v[10:11], v[10:11], off
	s_nop 0
	global_load_dwordx2 v[6:7], v[6:7], off
	s_waitcnt vmcnt(0)
	v_add_f64 v[6:7], v[10:11], -v[6:7]
	v_add_f64 v[4:5], v[4:5], -v[6:7]
	v_lshlrev_b64 v[6:7], 3, v[2:3]
	v_add_u32_e32 v2, s2, v2
	v_add_co_u32_e32 v10, vcc, s8, v6
	v_addc_co_u32_e32 v11, vcc, v8, v7, vcc
	v_add_co_u32_e32 v6, vcc, s10, v6
	v_addc_co_u32_e32 v7, vcc, v9, v7, vcc
	global_load_dwordx2 v[10:11], v[10:11], off
	s_nop 0
	global_load_dwordx2 v[6:7], v[6:7], off
	s_waitcnt vmcnt(0)
	v_add_f64 v[6:7], v[10:11], -v[6:7]
	v_add_f64 v[4:5], v[4:5], -v[6:7]
	;; [unrolled: 12-line block ×5, first 2 shown]
	v_lshlrev_b64 v[6:7], 3, v[2:3]
	v_add_u32_e32 v2, s3, v2
	v_add_co_u32_e32 v10, vcc, s8, v6
	v_addc_co_u32_e32 v11, vcc, v8, v7, vcc
	v_add_co_u32_e32 v6, vcc, s10, v6
	v_addc_co_u32_e32 v7, vcc, v9, v7, vcc
	global_load_dwordx2 v[10:11], v[10:11], off
	s_nop 0
	global_load_dwordx2 v[6:7], v[6:7], off
	s_waitcnt vmcnt(0)
	v_add_f64 v[6:7], v[10:11], -v[6:7]
	v_add_f64 v[4:5], v[4:5], v[6:7]
	v_lshlrev_b64 v[6:7], 3, v[2:3]
	v_add_u32_e32 v2, s2, v2
	v_add_co_u32_e32 v10, vcc, s8, v6
	v_addc_co_u32_e32 v11, vcc, v8, v7, vcc
	v_add_co_u32_e32 v6, vcc, s10, v6
	v_addc_co_u32_e32 v7, vcc, v9, v7, vcc
	global_load_dwordx2 v[10:11], v[10:11], off
	s_nop 0
	global_load_dwordx2 v[6:7], v[6:7], off
	s_waitcnt vmcnt(0)
	v_add_f64 v[6:7], v[10:11], -v[6:7]
	v_add_f64 v[4:5], v[4:5], v[6:7]
	;; [unrolled: 12-line block ×5, first 2 shown]
	v_lshlrev_b64 v[6:7], 3, v[2:3]
	v_add_u32_e32 v2, s2, v2
	v_add_co_u32_e32 v10, vcc, s8, v6
	v_addc_co_u32_e32 v11, vcc, v8, v7, vcc
	v_add_co_u32_e32 v6, vcc, s10, v6
	v_addc_co_u32_e32 v7, vcc, v9, v7, vcc
	global_load_dwordx2 v[10:11], v[10:11], off
	s_nop 0
	global_load_dwordx2 v[6:7], v[6:7], off
	s_waitcnt vmcnt(0)
	v_add_f64 v[6:7], v[10:11], -v[6:7]
	v_add_f64 v[4:5], v[4:5], -v[6:7]
	v_lshlrev_b64 v[6:7], 3, v[2:3]
	v_add_u32_e32 v2, s7, v2
	v_add_co_u32_e32 v10, vcc, s8, v6
	v_addc_co_u32_e32 v11, vcc, v8, v7, vcc
	v_add_co_u32_e32 v6, vcc, s10, v6
	v_addc_co_u32_e32 v7, vcc, v9, v7, vcc
	global_load_dwordx2 v[10:11], v[10:11], off
	s_nop 0
	global_load_dwordx2 v[6:7], v[6:7], off
	s_waitcnt vmcnt(0)
	v_add_f64 v[6:7], v[10:11], -v[6:7]
	v_add_f64 v[4:5], v[4:5], -v[6:7]
	v_lshlrev_b64 v[6:7], 3, v[2:3]
	v_add_u32_e32 v2, s7, v2
	v_add_co_u32_e32 v10, vcc, s8, v6
	v_addc_co_u32_e32 v11, vcc, v8, v7, vcc
	v_add_co_u32_e32 v6, vcc, s10, v6
	v_addc_co_u32_e32 v7, vcc, v9, v7, vcc
	global_load_dwordx2 v[10:11], v[10:11], off
	s_nop 0
	global_load_dwordx2 v[6:7], v[6:7], off
	s_waitcnt vmcnt(0)
	v_add_f64 v[6:7], v[10:11], -v[6:7]
	v_add_f64 v[4:5], v[4:5], v[6:7]
	v_lshlrev_b64 v[6:7], 3, v[2:3]
	v_add_u32_e32 v2, s7, v2
	v_add_co_u32_e32 v10, vcc, s8, v6
	v_addc_co_u32_e32 v11, vcc, v8, v7, vcc
	v_add_co_u32_e32 v6, vcc, s10, v6
	v_addc_co_u32_e32 v7, vcc, v9, v7, vcc
	global_load_dwordx2 v[10:11], v[10:11], off
	s_nop 0
	global_load_dwordx2 v[6:7], v[6:7], off
	s_waitcnt vmcnt(0)
	v_add_f64 v[6:7], v[10:11], -v[6:7]
	v_add_f64 v[4:5], v[4:5], v[6:7]
	v_lshlrev_b64 v[6:7], 3, v[2:3]
	v_add_u32_e32 v2, s2, v2
	v_add_co_u32_e32 v10, vcc, s8, v6
	v_addc_co_u32_e32 v11, vcc, v8, v7, vcc
	v_add_co_u32_e32 v6, vcc, s10, v6
	v_addc_co_u32_e32 v7, vcc, v9, v7, vcc
	global_load_dwordx2 v[10:11], v[10:11], off
	s_nop 0
	global_load_dwordx2 v[6:7], v[6:7], off
	s_waitcnt vmcnt(0)
	v_add_f64 v[6:7], v[10:11], -v[6:7]
	v_add_f64 v[4:5], v[4:5], -v[6:7]
	v_lshlrev_b64 v[6:7], 3, v[2:3]
	v_add_u32_e32 v2, s2, v2
	v_add_co_u32_e32 v10, vcc, s8, v6
	v_addc_co_u32_e32 v11, vcc, v8, v7, vcc
	v_add_co_u32_e32 v6, vcc, s10, v6
	v_addc_co_u32_e32 v7, vcc, v9, v7, vcc
	global_load_dwordx2 v[10:11], v[10:11], off
	s_nop 0
	global_load_dwordx2 v[6:7], v[6:7], off
	s_waitcnt vmcnt(0)
	v_add_f64 v[6:7], v[10:11], -v[6:7]
	v_add_f64 v[4:5], v[4:5], v[6:7]
	v_lshlrev_b64 v[6:7], 3, v[2:3]
	v_add_u32_e32 v2, s7, v2
	v_add_co_u32_e32 v10, vcc, s8, v6
	v_addc_co_u32_e32 v11, vcc, v8, v7, vcc
	v_add_co_u32_e32 v6, vcc, s10, v6
	v_addc_co_u32_e32 v7, vcc, v9, v7, vcc
	global_load_dwordx2 v[10:11], v[10:11], off
	s_nop 0
	global_load_dwordx2 v[6:7], v[6:7], off
	s_waitcnt vmcnt(0)
	v_add_f64 v[6:7], v[10:11], -v[6:7]
	v_add_f64 v[4:5], v[4:5], v[6:7]
	;; [unrolled: 12-line block ×3, first 2 shown]
	v_add_f64 v[4:5], v[6:7], v[4:5]
	v_lshlrev_b64 v[6:7], 3, v[2:3]
	v_add_u32_e32 v2, s3, v2
	v_add_co_u32_e32 v10, vcc, s8, v6
	v_addc_co_u32_e32 v11, vcc, v8, v7, vcc
	v_add_co_u32_e32 v6, vcc, s10, v6
	v_addc_co_u32_e32 v7, vcc, v9, v7, vcc
	global_load_dwordx2 v[10:11], v[10:11], off
	s_nop 0
	global_load_dwordx2 v[6:7], v[6:7], off
	s_waitcnt vmcnt(0)
	v_add_f64 v[6:7], v[10:11], -v[6:7]
	v_add_f64 v[4:5], v[4:5], v[6:7]
	v_lshlrev_b64 v[6:7], 3, v[2:3]
	v_add_u32_e32 v2, s9, v2
	v_add_co_u32_e32 v10, vcc, s8, v6
	v_addc_co_u32_e32 v11, vcc, v8, v7, vcc
	v_add_co_u32_e32 v6, vcc, s10, v6
	v_addc_co_u32_e32 v7, vcc, v9, v7, vcc
	global_load_dwordx2 v[10:11], v[10:11], off
	s_nop 0
	global_load_dwordx2 v[6:7], v[6:7], off
	s_waitcnt vmcnt(0)
	v_add_f64 v[6:7], v[10:11], -v[6:7]
	;; [unrolled: 12-line block ×3, first 2 shown]
	v_add_f64 v[4:5], v[4:5], -v[6:7]
	v_lshlrev_b64 v[6:7], 3, v[2:3]
	v_add_u32_e32 v2, s2, v2
	v_add_co_u32_e32 v10, vcc, s8, v6
	v_addc_co_u32_e32 v11, vcc, v8, v7, vcc
	v_add_co_u32_e32 v6, vcc, s10, v6
	v_addc_co_u32_e32 v7, vcc, v9, v7, vcc
	global_load_dwordx2 v[10:11], v[10:11], off
	s_nop 0
	global_load_dwordx2 v[6:7], v[6:7], off
	s_waitcnt vmcnt(0)
	v_add_f64 v[6:7], v[10:11], -v[6:7]
	v_add_f64 v[4:5], v[4:5], v[6:7]
	v_lshlrev_b64 v[6:7], 3, v[2:3]
	v_add_u32_e32 v2, s2, v2
	v_add_co_u32_e32 v10, vcc, s8, v6
	v_addc_co_u32_e32 v11, vcc, v8, v7, vcc
	v_add_co_u32_e32 v6, vcc, s10, v6
	v_addc_co_u32_e32 v7, vcc, v9, v7, vcc
	global_load_dwordx2 v[10:11], v[10:11], off
	s_nop 0
	global_load_dwordx2 v[6:7], v[6:7], off
	s_waitcnt vmcnt(0)
	v_add_f64 v[6:7], v[10:11], -v[6:7]
	v_add_f64 v[4:5], v[4:5], v[6:7]
	v_lshlrev_b64 v[6:7], 3, v[2:3]
	v_add_u32_e32 v2, s2, v2
	v_add_co_u32_e32 v10, vcc, s8, v6
	v_addc_co_u32_e32 v11, vcc, v8, v7, vcc
	v_add_co_u32_e32 v6, vcc, s10, v6
	v_addc_co_u32_e32 v7, vcc, v9, v7, vcc
	global_load_dwordx2 v[10:11], v[10:11], off
	s_nop 0
	global_load_dwordx2 v[6:7], v[6:7], off
	s_waitcnt vmcnt(0)
	v_add_f64 v[6:7], v[10:11], -v[6:7]
	v_add_f64 v[4:5], v[4:5], v[6:7]
	v_lshlrev_b64 v[6:7], 3, v[2:3]
	v_add_u32_e32 v2, s4, v2
	v_add_co_u32_e32 v10, vcc, s8, v6
	v_addc_co_u32_e32 v11, vcc, v8, v7, vcc
	v_add_co_u32_e32 v6, vcc, s10, v6
	v_addc_co_u32_e32 v7, vcc, v9, v7, vcc
	global_load_dwordx2 v[10:11], v[10:11], off
	s_nop 0
	global_load_dwordx2 v[6:7], v[6:7], off
	s_waitcnt vmcnt(0)
	v_add_f64 v[6:7], v[10:11], -v[6:7]
	v_add_f64 v[4:5], v[4:5], v[6:7]
	v_lshlrev_b64 v[6:7], 3, v[2:3]
	v_add_u32_e32 v2, s2, v2
	v_add_co_u32_e32 v10, vcc, s8, v6
	v_addc_co_u32_e32 v11, vcc, v8, v7, vcc
	v_add_co_u32_e32 v6, vcc, s10, v6
	v_addc_co_u32_e32 v7, vcc, v9, v7, vcc
	global_load_dwordx2 v[10:11], v[10:11], off
	s_nop 0
	global_load_dwordx2 v[6:7], v[6:7], off
	s_waitcnt vmcnt(0)
	v_add_f64 v[6:7], v[10:11], -v[6:7]
	v_add_f64 v[4:5], v[4:5], -v[6:7]
	v_lshlrev_b64 v[6:7], 3, v[2:3]
	v_add_u32_e32 v2, s6, v2
	v_add_co_u32_e32 v10, vcc, s8, v6
	v_addc_co_u32_e32 v11, vcc, v8, v7, vcc
	v_add_co_u32_e32 v6, vcc, s10, v6
	v_addc_co_u32_e32 v7, vcc, v9, v7, vcc
	global_load_dwordx2 v[10:11], v[10:11], off
	s_nop 0
	global_load_dwordx2 v[6:7], v[6:7], off
	s_waitcnt vmcnt(0)
	v_add_f64 v[6:7], v[10:11], -v[6:7]
	v_add_f64 v[4:5], v[4:5], -v[6:7]
	v_lshlrev_b64 v[6:7], 3, v[2:3]
	v_add_u32_e32 v2, s2, v2
	v_add_co_u32_e32 v10, vcc, s8, v6
	v_addc_co_u32_e32 v11, vcc, v8, v7, vcc
	v_add_co_u32_e32 v6, vcc, s10, v6
	v_addc_co_u32_e32 v7, vcc, v9, v7, vcc
	global_load_dwordx2 v[10:11], v[10:11], off
	s_nop 0
	global_load_dwordx2 v[6:7], v[6:7], off
	s_waitcnt vmcnt(0)
	v_add_f64 v[6:7], v[10:11], -v[6:7]
	v_add_f64 v[4:5], v[4:5], v[6:7]
	v_lshlrev_b64 v[6:7], 3, v[2:3]
	v_add_u32_e32 v2, s2, v2
	v_add_co_u32_e32 v10, vcc, s8, v6
	v_addc_co_u32_e32 v11, vcc, v8, v7, vcc
	v_add_co_u32_e32 v6, vcc, s10, v6
	v_addc_co_u32_e32 v7, vcc, v9, v7, vcc
	global_load_dwordx2 v[10:11], v[10:11], off
	s_nop 0
	global_load_dwordx2 v[6:7], v[6:7], off
	s_waitcnt vmcnt(0)
	v_add_f64 v[6:7], v[10:11], -v[6:7]
	v_add_f64 v[4:5], v[4:5], -v[6:7]
	v_lshlrev_b64 v[6:7], 3, v[2:3]
	v_add_u32_e32 v2, s11, v2
	v_add_co_u32_e32 v10, vcc, s8, v6
	v_addc_co_u32_e32 v11, vcc, v8, v7, vcc
	v_add_co_u32_e32 v6, vcc, s10, v6
	v_addc_co_u32_e32 v7, vcc, v9, v7, vcc
	global_load_dwordx2 v[10:11], v[10:11], off
	s_nop 0
	global_load_dwordx2 v[6:7], v[6:7], off
	s_waitcnt vmcnt(0)
	v_add_f64 v[6:7], v[10:11], -v[6:7]
	v_add_f64 v[4:5], v[4:5], v[6:7]
	v_lshlrev_b64 v[6:7], 3, v[2:3]
	v_add_u32_e32 v2, s3, v2
	v_add_co_u32_e32 v10, vcc, s8, v6
	v_addc_co_u32_e32 v11, vcc, v8, v7, vcc
	v_add_co_u32_e32 v6, vcc, s10, v6
	v_addc_co_u32_e32 v7, vcc, v9, v7, vcc
	global_load_dwordx2 v[10:11], v[10:11], off
	s_nop 0
	global_load_dwordx2 v[6:7], v[6:7], off
	s_waitcnt vmcnt(0)
	v_add_f64 v[6:7], v[10:11], -v[6:7]
	v_add_f64 v[4:5], v[4:5], v[6:7]
	;; [unrolled: 12-line block ×5, first 2 shown]
	v_lshlrev_b64 v[6:7], 3, v[2:3]
	v_add_u32_e32 v2, s2, v2
	v_add_co_u32_e32 v10, vcc, s8, v6
	v_addc_co_u32_e32 v11, vcc, v8, v7, vcc
	v_add_co_u32_e32 v6, vcc, s10, v6
	v_addc_co_u32_e32 v7, vcc, v9, v7, vcc
	global_load_dwordx2 v[10:11], v[10:11], off
	s_nop 0
	global_load_dwordx2 v[6:7], v[6:7], off
	s_waitcnt vmcnt(0)
	v_add_f64 v[6:7], v[10:11], -v[6:7]
	v_add_f64 v[4:5], v[4:5], -v[6:7]
	v_lshlrev_b64 v[6:7], 3, v[2:3]
	v_add_u32_e32 v2, s2, v2
	v_add_co_u32_e32 v10, vcc, s8, v6
	v_addc_co_u32_e32 v11, vcc, v8, v7, vcc
	v_add_co_u32_e32 v6, vcc, s10, v6
	v_addc_co_u32_e32 v7, vcc, v9, v7, vcc
	global_load_dwordx2 v[10:11], v[10:11], off
	s_nop 0
	global_load_dwordx2 v[6:7], v[6:7], off
	s_waitcnt vmcnt(0)
	v_add_f64 v[6:7], v[10:11], -v[6:7]
	v_add_f64 v[4:5], v[4:5], -v[6:7]
	v_lshlrev_b64 v[6:7], 3, v[2:3]
	v_add_u32_e32 v2, s3, v2
	v_add_co_u32_e32 v10, vcc, s8, v6
	v_addc_co_u32_e32 v11, vcc, v8, v7, vcc
	v_add_co_u32_e32 v6, vcc, s10, v6
	v_addc_co_u32_e32 v7, vcc, v9, v7, vcc
	global_load_dwordx2 v[10:11], v[10:11], off
	s_nop 0
	global_load_dwordx2 v[6:7], v[6:7], off
	s_waitcnt vmcnt(0)
	v_add_f64 v[6:7], v[10:11], -v[6:7]
	v_add_f64 v[4:5], v[4:5], -v[6:7]
	v_lshlrev_b64 v[6:7], 3, v[2:3]
	v_add_u32_e32 v2, s9, v2
	v_add_co_u32_e32 v10, vcc, s8, v6
	v_addc_co_u32_e32 v11, vcc, v8, v7, vcc
	v_add_co_u32_e32 v6, vcc, s10, v6
	v_addc_co_u32_e32 v7, vcc, v9, v7, vcc
	global_load_dwordx2 v[10:11], v[10:11], off
	s_nop 0
	global_load_dwordx2 v[6:7], v[6:7], off
	s_waitcnt vmcnt(0)
	v_add_f64 v[6:7], v[10:11], -v[6:7]
	v_add_f64 v[4:5], v[4:5], -v[6:7]
	v_lshlrev_b64 v[6:7], 3, v[2:3]
	v_add_u32_e32 v2, s9, v2
	v_add_co_u32_e32 v10, vcc, s8, v6
	v_addc_co_u32_e32 v11, vcc, v8, v7, vcc
	v_add_co_u32_e32 v6, vcc, s10, v6
	v_addc_co_u32_e32 v7, vcc, v9, v7, vcc
	global_load_dwordx2 v[10:11], v[10:11], off
	s_nop 0
	global_load_dwordx2 v[6:7], v[6:7], off
	s_waitcnt vmcnt(0)
	v_add_f64 v[6:7], v[10:11], -v[6:7]
	v_add_f64 v[4:5], v[4:5], v[6:7]
	v_lshlrev_b64 v[6:7], 3, v[2:3]
	v_add_u32_e32 v2, s2, v2
	v_add_co_u32_e32 v10, vcc, s8, v6
	v_addc_co_u32_e32 v11, vcc, v8, v7, vcc
	v_add_co_u32_e32 v6, vcc, s10, v6
	v_addc_co_u32_e32 v7, vcc, v9, v7, vcc
	global_load_dwordx2 v[10:11], v[10:11], off
	s_nop 0
	global_load_dwordx2 v[6:7], v[6:7], off
	s_waitcnt vmcnt(0)
	v_add_f64 v[6:7], v[10:11], -v[6:7]
	v_add_f64 v[4:5], v[4:5], -v[6:7]
	v_lshlrev_b64 v[6:7], 3, v[2:3]
	v_add_u32_e32 v2, s4, v2
	v_add_co_u32_e32 v10, vcc, s8, v6
	v_addc_co_u32_e32 v11, vcc, v8, v7, vcc
	v_add_co_u32_e32 v6, vcc, s10, v6
	v_addc_co_u32_e32 v7, vcc, v9, v7, vcc
	global_load_dwordx2 v[10:11], v[10:11], off
	s_nop 0
	global_load_dwordx2 v[6:7], v[6:7], off
	s_waitcnt vmcnt(0)
	v_add_f64 v[6:7], v[10:11], -v[6:7]
	v_add_f64 v[4:5], v[4:5], v[6:7]
	v_lshlrev_b64 v[6:7], 3, v[2:3]
	v_add_u32_e32 v2, s2, v2
	v_add_co_u32_e32 v10, vcc, s8, v6
	v_addc_co_u32_e32 v11, vcc, v8, v7, vcc
	v_add_co_u32_e32 v6, vcc, s10, v6
	v_addc_co_u32_e32 v7, vcc, v9, v7, vcc
	global_load_dwordx2 v[10:11], v[10:11], off
	s_nop 0
	global_load_dwordx2 v[6:7], v[6:7], off
	s_waitcnt vmcnt(0)
	v_add_f64 v[6:7], v[10:11], -v[6:7]
	v_add_f64 v[4:5], v[4:5], v[6:7]
	;; [unrolled: 12-line block ×5, first 2 shown]
	v_lshlrev_b64 v[6:7], 3, v[2:3]
	v_add_u32_e32 v2, s2, v2
	v_add_co_u32_e32 v10, vcc, s8, v6
	v_addc_co_u32_e32 v11, vcc, v8, v7, vcc
	v_add_co_u32_e32 v6, vcc, s10, v6
	v_addc_co_u32_e32 v7, vcc, v9, v7, vcc
	global_load_dwordx2 v[10:11], v[10:11], off
	s_nop 0
	global_load_dwordx2 v[6:7], v[6:7], off
	s_waitcnt vmcnt(0)
	v_add_f64 v[6:7], v[10:11], -v[6:7]
	v_add_f64 v[4:5], v[4:5], -v[6:7]
	v_lshlrev_b64 v[6:7], 3, v[2:3]
	v_add_u32_e32 v2, s2, v2
	v_add_co_u32_e32 v10, vcc, s8, v6
	v_addc_co_u32_e32 v11, vcc, v8, v7, vcc
	v_add_co_u32_e32 v6, vcc, s10, v6
	v_addc_co_u32_e32 v7, vcc, v9, v7, vcc
	global_load_dwordx2 v[10:11], v[10:11], off
	s_nop 0
	global_load_dwordx2 v[6:7], v[6:7], off
	s_waitcnt vmcnt(0)
	v_add_f64 v[6:7], v[10:11], -v[6:7]
	v_add_f64 v[4:5], v[4:5], -v[6:7]
	;; [unrolled: 12-line block ×6, first 2 shown]
	v_lshlrev_b64 v[6:7], 3, v[2:3]
	v_add_co_u32_e32 v10, vcc, s8, v6
	v_addc_co_u32_e32 v11, vcc, v8, v7, vcc
	v_add_co_u32_e32 v6, vcc, s10, v6
	v_addc_co_u32_e32 v7, vcc, v9, v7, vcc
	global_load_dwordx2 v[10:11], v[10:11], off
	s_nop 0
	global_load_dwordx2 v[6:7], v[6:7], off
	s_waitcnt vmcnt(0)
	v_add_f64 v[6:7], v[10:11], -v[6:7]
	v_add_f64 v[4:5], v[4:5], v[6:7]
	v_mad_u64_u32 v[6:7], s[16:17], s2, 11, v[2:3]
	v_mov_b32_e32 v7, v3
	v_lshlrev_b64 v[10:11], 3, v[6:7]
	v_add_u32_e32 v2, s7, v6
	v_add_co_u32_e32 v12, vcc, s8, v10
	v_addc_co_u32_e32 v13, vcc, v8, v11, vcc
	v_add_co_u32_e32 v10, vcc, s10, v10
	v_addc_co_u32_e32 v11, vcc, v9, v11, vcc
	global_load_dwordx2 v[12:13], v[12:13], off
	v_lshlrev_b64 v[6:7], 3, v[2:3]
	global_load_dwordx2 v[10:11], v[10:11], off
	v_add_u32_e32 v2, s2, v2
	s_waitcnt vmcnt(0)
	v_add_f64 v[10:11], v[12:13], -v[10:11]
	v_add_f64 v[4:5], v[4:5], v[10:11]
	v_add_co_u32_e32 v10, vcc, s8, v6
	v_addc_co_u32_e32 v11, vcc, v8, v7, vcc
	v_add_co_u32_e32 v6, vcc, s10, v6
	v_addc_co_u32_e32 v7, vcc, v9, v7, vcc
	global_load_dwordx2 v[10:11], v[10:11], off
	s_nop 0
	global_load_dwordx2 v[6:7], v[6:7], off
	s_waitcnt vmcnt(0)
	v_add_f64 v[6:7], v[10:11], -v[6:7]
	v_add_f64 v[4:5], v[4:5], -v[6:7]
	v_lshlrev_b64 v[6:7], 3, v[2:3]
	v_add_u32_e32 v2, s2, v2
	v_add_co_u32_e32 v10, vcc, s8, v6
	v_addc_co_u32_e32 v11, vcc, v8, v7, vcc
	v_add_co_u32_e32 v6, vcc, s10, v6
	v_addc_co_u32_e32 v7, vcc, v9, v7, vcc
	global_load_dwordx2 v[10:11], v[10:11], off
	s_nop 0
	global_load_dwordx2 v[6:7], v[6:7], off
	s_waitcnt vmcnt(0)
	v_add_f64 v[6:7], v[10:11], -v[6:7]
	v_add_f64 v[4:5], v[4:5], -v[6:7]
	v_lshlrev_b64 v[6:7], 3, v[2:3]
	v_add_u32_e32 v2, s4, v2
	;; [unrolled: 12-line block ×5, first 2 shown]
	v_add_co_u32_e32 v10, vcc, s8, v6
	v_addc_co_u32_e32 v11, vcc, v8, v7, vcc
	v_add_co_u32_e32 v6, vcc, s10, v6
	v_addc_co_u32_e32 v7, vcc, v9, v7, vcc
	global_load_dwordx2 v[10:11], v[10:11], off
	s_nop 0
	global_load_dwordx2 v[6:7], v[6:7], off
	s_waitcnt vmcnt(0)
	v_add_f64 v[6:7], v[10:11], -v[6:7]
	v_add_f64 v[4:5], v[4:5], v[6:7]
	v_lshlrev_b64 v[6:7], 3, v[2:3]
	v_add_u32_e32 v2, s9, v2
	v_add_co_u32_e32 v10, vcc, s8, v6
	v_addc_co_u32_e32 v11, vcc, v8, v7, vcc
	v_add_co_u32_e32 v6, vcc, s10, v6
	v_addc_co_u32_e32 v7, vcc, v9, v7, vcc
	global_load_dwordx2 v[10:11], v[10:11], off
	s_nop 0
	global_load_dwordx2 v[6:7], v[6:7], off
	s_waitcnt vmcnt(0)
	v_add_f64 v[6:7], v[10:11], -v[6:7]
	v_add_f64 v[4:5], v[4:5], v[6:7]
	v_lshlrev_b64 v[6:7], 3, v[2:3]
	v_add_u32_e32 v2, s2, v2
	v_add_co_u32_e32 v10, vcc, s8, v6
	v_addc_co_u32_e32 v11, vcc, v8, v7, vcc
	v_add_co_u32_e32 v6, vcc, s10, v6
	v_addc_co_u32_e32 v7, vcc, v9, v7, vcc
	global_load_dwordx2 v[10:11], v[10:11], off
	s_nop 0
	global_load_dwordx2 v[6:7], v[6:7], off
	s_waitcnt vmcnt(0)
	v_add_f64 v[6:7], v[10:11], -v[6:7]
	v_add_f64 v[4:5], v[4:5], -v[6:7]
	v_lshlrev_b64 v[6:7], 3, v[2:3]
	v_add_u32_e32 v2, s7, v2
	v_add_co_u32_e32 v10, vcc, s8, v6
	v_addc_co_u32_e32 v11, vcc, v8, v7, vcc
	v_add_co_u32_e32 v6, vcc, s10, v6
	v_addc_co_u32_e32 v7, vcc, v9, v7, vcc
	global_load_dwordx2 v[10:11], v[10:11], off
	s_nop 0
	global_load_dwordx2 v[6:7], v[6:7], off
	s_waitcnt vmcnt(0)
	v_add_f64 v[6:7], v[10:11], -v[6:7]
	v_add_f64 v[4:5], v[4:5], -v[6:7]
	v_lshlrev_b64 v[6:7], 3, v[2:3]
	v_add_u32_e32 v2, s5, v2
	v_add_co_u32_e32 v10, vcc, s8, v6
	v_addc_co_u32_e32 v11, vcc, v8, v7, vcc
	v_add_co_u32_e32 v6, vcc, s10, v6
	v_addc_co_u32_e32 v7, vcc, v9, v7, vcc
	global_load_dwordx2 v[10:11], v[10:11], off
	s_nop 0
	global_load_dwordx2 v[6:7], v[6:7], off
	s_waitcnt vmcnt(0)
	v_add_f64 v[6:7], v[10:11], -v[6:7]
	v_add_f64 v[4:5], v[4:5], v[6:7]
	v_lshlrev_b64 v[6:7], 3, v[2:3]
	v_add_u32_e32 v2, s6, v2
	v_add_co_u32_e32 v10, vcc, s8, v6
	v_addc_co_u32_e32 v11, vcc, v8, v7, vcc
	v_add_co_u32_e32 v6, vcc, s10, v6
	v_addc_co_u32_e32 v7, vcc, v9, v7, vcc
	global_load_dwordx2 v[10:11], v[10:11], off
	s_nop 0
	global_load_dwordx2 v[6:7], v[6:7], off
	s_waitcnt vmcnt(0)
	v_add_f64 v[6:7], v[10:11], -v[6:7]
	v_add_f64 v[4:5], v[4:5], -v[6:7]
	v_lshlrev_b64 v[6:7], 3, v[2:3]
	v_add_u32_e32 v2, s2, v2
	v_add_co_u32_e32 v10, vcc, s8, v6
	v_addc_co_u32_e32 v11, vcc, v8, v7, vcc
	v_add_co_u32_e32 v6, vcc, s10, v6
	v_addc_co_u32_e32 v7, vcc, v9, v7, vcc
	global_load_dwordx2 v[10:11], v[10:11], off
	s_nop 0
	global_load_dwordx2 v[6:7], v[6:7], off
	s_waitcnt vmcnt(0)
	v_add_f64 v[6:7], v[10:11], -v[6:7]
	v_add_f64 v[4:5], v[4:5], -v[6:7]
	;; [unrolled: 12-line block ×6, first 2 shown]
	v_lshlrev_b64 v[6:7], 3, v[2:3]
	v_add_u32_e32 v2, s4, v2
	v_add_co_u32_e32 v10, vcc, s8, v6
	v_addc_co_u32_e32 v11, vcc, v8, v7, vcc
	v_add_co_u32_e32 v6, vcc, s10, v6
	v_addc_co_u32_e32 v7, vcc, v9, v7, vcc
	global_load_dwordx2 v[10:11], v[10:11], off
	s_nop 0
	global_load_dwordx2 v[6:7], v[6:7], off
	s_waitcnt vmcnt(0)
	v_add_f64 v[6:7], v[10:11], -v[6:7]
	v_add_f64 v[4:5], v[4:5], v[6:7]
	v_lshlrev_b64 v[6:7], 3, v[2:3]
	v_add_u32_e32 v2, s2, v2
	v_add_co_u32_e32 v10, vcc, s8, v6
	v_addc_co_u32_e32 v11, vcc, v8, v7, vcc
	v_add_co_u32_e32 v6, vcc, s10, v6
	v_addc_co_u32_e32 v7, vcc, v9, v7, vcc
	global_load_dwordx2 v[10:11], v[10:11], off
	s_nop 0
	global_load_dwordx2 v[6:7], v[6:7], off
	s_waitcnt vmcnt(0)
	v_add_f64 v[6:7], v[10:11], -v[6:7]
	v_add_f64 v[4:5], v[4:5], -v[6:7]
	v_lshlrev_b64 v[6:7], 3, v[2:3]
	v_add_co_u32_e32 v2, vcc, s8, v6
	v_addc_co_u32_e32 v3, vcc, v8, v7, vcc
	v_add_co_u32_e32 v6, vcc, s10, v6
	v_addc_co_u32_e32 v7, vcc, v9, v7, vcc
	global_load_dwordx2 v[2:3], v[2:3], off
	v_add_co_u32_e32 v0, vcc, s12, v0
	global_load_dwordx2 v[6:7], v[6:7], off
	s_waitcnt vmcnt(0)
	v_add_f64 v[2:3], v[2:3], -v[6:7]
	v_add_f64 v[2:3], v[4:5], -v[2:3]
	v_mov_b32_e32 v4, s13
	v_addc_co_u32_e32 v1, vcc, v4, v1, vcc
	v_mul_f64 v[2:3], s[14:15], v[2:3]
	s_waitcnt lgkmcnt(0)
	v_mul_f64 v[2:3], s[0:1], v[2:3]
	global_store_dwordx2 v[0:1], v[2:3], off
	s_endpgm
	.section	.rodata,"a",@progbits
	.p2align	6, 0x0
	.amdhsa_kernel _Z13rdwdot_kernelIdEvPKT_S2_PS0_S0_S2_
		.amdhsa_group_segment_fixed_size 0
		.amdhsa_private_segment_fixed_size 0
		.amdhsa_kernarg_size 296
		.amdhsa_user_sgpr_count 6
		.amdhsa_user_sgpr_private_segment_buffer 1
		.amdhsa_user_sgpr_dispatch_ptr 0
		.amdhsa_user_sgpr_queue_ptr 0
		.amdhsa_user_sgpr_kernarg_segment_ptr 1
		.amdhsa_user_sgpr_dispatch_id 0
		.amdhsa_user_sgpr_flat_scratch_init 0
		.amdhsa_user_sgpr_private_segment_size 0
		.amdhsa_uses_dynamic_stack 0
		.amdhsa_system_sgpr_private_segment_wavefront_offset 0
		.amdhsa_system_sgpr_workgroup_id_x 1
		.amdhsa_system_sgpr_workgroup_id_y 0
		.amdhsa_system_sgpr_workgroup_id_z 0
		.amdhsa_system_sgpr_workgroup_info 0
		.amdhsa_system_vgpr_workitem_id 0
		.amdhsa_next_free_vgpr 16
		.amdhsa_next_free_sgpr 18
		.amdhsa_reserve_vcc 1
		.amdhsa_reserve_flat_scratch 0
		.amdhsa_float_round_mode_32 0
		.amdhsa_float_round_mode_16_64 0
		.amdhsa_float_denorm_mode_32 3
		.amdhsa_float_denorm_mode_16_64 3
		.amdhsa_dx10_clamp 1
		.amdhsa_ieee_mode 1
		.amdhsa_fp16_overflow 0
		.amdhsa_exception_fp_ieee_invalid_op 0
		.amdhsa_exception_fp_denorm_src 0
		.amdhsa_exception_fp_ieee_div_zero 0
		.amdhsa_exception_fp_ieee_overflow 0
		.amdhsa_exception_fp_ieee_underflow 0
		.amdhsa_exception_fp_ieee_inexact 0
		.amdhsa_exception_int_div_zero 0
	.end_amdhsa_kernel
	.section	.text._Z13rdwdot_kernelIdEvPKT_S2_PS0_S0_S2_,"axG",@progbits,_Z13rdwdot_kernelIdEvPKT_S2_PS0_S0_S2_,comdat
.Lfunc_end46:
	.size	_Z13rdwdot_kernelIdEvPKT_S2_PS0_S0_S2_, .Lfunc_end46-_Z13rdwdot_kernelIdEvPKT_S2_PS0_S0_S2_
                                        ; -- End function
	.set _Z13rdwdot_kernelIdEvPKT_S2_PS0_S0_S2_.num_vgpr, 16
	.set _Z13rdwdot_kernelIdEvPKT_S2_PS0_S0_S2_.num_agpr, 0
	.set _Z13rdwdot_kernelIdEvPKT_S2_PS0_S0_S2_.numbered_sgpr, 18
	.set _Z13rdwdot_kernelIdEvPKT_S2_PS0_S0_S2_.num_named_barrier, 0
	.set _Z13rdwdot_kernelIdEvPKT_S2_PS0_S0_S2_.private_seg_size, 0
	.set _Z13rdwdot_kernelIdEvPKT_S2_PS0_S0_S2_.uses_vcc, 1
	.set _Z13rdwdot_kernelIdEvPKT_S2_PS0_S0_S2_.uses_flat_scratch, 0
	.set _Z13rdwdot_kernelIdEvPKT_S2_PS0_S0_S2_.has_dyn_sized_stack, 0
	.set _Z13rdwdot_kernelIdEvPKT_S2_PS0_S0_S2_.has_recursion, 0
	.set _Z13rdwdot_kernelIdEvPKT_S2_PS0_S0_S2_.has_indirect_call, 0
	.section	.AMDGPU.csdata,"",@progbits
; Kernel info:
; codeLenInByte = 5928
; TotalNumSgprs: 22
; NumVgprs: 16
; ScratchSize: 0
; MemoryBound: 0
; FloatMode: 240
; IeeeMode: 1
; LDSByteSize: 0 bytes/workgroup (compile time only)
; SGPRBlocks: 2
; VGPRBlocks: 3
; NumSGPRsForWavesPerEU: 22
; NumVGPRsForWavesPerEU: 16
; Occupancy: 10
; WaveLimiterHint : 0
; COMPUTE_PGM_RSRC2:SCRATCH_EN: 0
; COMPUTE_PGM_RSRC2:USER_SGPR: 6
; COMPUTE_PGM_RSRC2:TRAP_HANDLER: 0
; COMPUTE_PGM_RSRC2:TGID_X_EN: 1
; COMPUTE_PGM_RSRC2:TGID_Y_EN: 0
; COMPUTE_PGM_RSRC2:TGID_Z_EN: 0
; COMPUTE_PGM_RSRC2:TIDIG_COMP_CNT: 0
	.section	.text._Z14rdwdot2_kernelIdEvPKT_S2_PS0_S0_S2_,"axG",@progbits,_Z14rdwdot2_kernelIdEvPKT_S2_PS0_S0_S2_,comdat
	.protected	_Z14rdwdot2_kernelIdEvPKT_S2_PS0_S0_S2_ ; -- Begin function _Z14rdwdot2_kernelIdEvPKT_S2_PS0_S0_S2_
	.globl	_Z14rdwdot2_kernelIdEvPKT_S2_PS0_S0_S2_
	.p2align	8
	.type	_Z14rdwdot2_kernelIdEvPKT_S2_PS0_S0_S2_,@function
_Z14rdwdot2_kernelIdEvPKT_S2_PS0_S0_S2_: ; @_Z14rdwdot2_kernelIdEvPKT_S2_PS0_S0_S2_
; %bb.0:
	s_load_dwordx8 s[8:15], s[4:5], 0x0
	s_load_dwordx2 s[16:17], s[4:5], 0x20
	s_load_dword s0, s[4:5], 0x28
	s_load_dword s1, s[4:5], 0x34
	v_mov_b32_e32 v1, 0
	s_waitcnt lgkmcnt(0)
	v_mov_b32_e32 v18, s9
	v_mov_b32_e32 v19, s11
	s_and_b32 s1, s1, 0xffff
	s_mul_i32 s4, s0, s1
	s_mul_i32 s0, s4, 0x78
	;; [unrolled: 1-line block ×3, first 2 shown]
	s_add_i32 s0, s0, s6
	v_add_u32_e32 v0, s0, v0
	v_lshlrev_b64 v[2:3], 3, v[0:1]
	s_lshl_b32 s5, s4, 1
	v_add_co_u32_e32 v4, vcc, s8, v2
	v_addc_co_u32_e32 v5, vcc, v18, v3, vcc
	v_add_co_u32_e32 v2, vcc, s10, v2
	v_addc_co_u32_e32 v3, vcc, v19, v3, vcc
	global_load_dwordx2 v[4:5], v[4:5], off
	s_nop 0
	global_load_dwordx2 v[2:3], v[2:3], off
	s_waitcnt vmcnt(0)
	v_add_f64 v[2:3], v[4:5], -v[2:3]
	v_mad_u64_u32 v[4:5], s[0:1], s4, 25, v[0:1]
	v_mov_b32_e32 v5, v1
	v_lshlrev_b64 v[5:6], 3, v[4:5]
	v_add_co_u32_e32 v7, vcc, s8, v5
	v_addc_co_u32_e32 v8, vcc, v18, v6, vcc
	v_add_co_u32_e32 v5, vcc, s10, v5
	v_addc_co_u32_e32 v6, vcc, v19, v6, vcc
	global_load_dwordx2 v[7:8], v[7:8], off
	s_nop 0
	global_load_dwordx2 v[5:6], v[5:6], off
	s_waitcnt vmcnt(0)
	v_add_f64 v[5:6], v[7:8], -v[5:6]
	v_add_f64 v[2:3], v[2:3], v[5:6]
	v_mad_u64_u32 v[4:5], s[0:1], s4, 19, v[4:5]
	v_mov_b32_e32 v5, v1
	v_lshlrev_b64 v[5:6], 3, v[4:5]
	v_add_u32_e32 v0, s5, v4
	v_add_co_u32_e32 v7, vcc, s8, v5
	v_addc_co_u32_e32 v8, vcc, v18, v6, vcc
	v_add_co_u32_e32 v5, vcc, s10, v5
	v_addc_co_u32_e32 v6, vcc, v19, v6, vcc
	global_load_dwordx2 v[7:8], v[7:8], off
	s_nop 0
	global_load_dwordx2 v[5:6], v[5:6], off
	s_waitcnt vmcnt(0)
	v_add_f64 v[5:6], v[7:8], -v[5:6]
	v_add_f64 v[2:3], v[2:3], v[5:6]
	v_lshlrev_b64 v[4:5], 3, v[0:1]
	v_add_co_u32_e32 v6, vcc, s8, v4
	v_addc_co_u32_e32 v7, vcc, v18, v5, vcc
	v_add_co_u32_e32 v4, vcc, s10, v4
	v_addc_co_u32_e32 v5, vcc, v19, v5, vcc
	global_load_dwordx2 v[6:7], v[6:7], off
	s_nop 0
	global_load_dwordx2 v[4:5], v[4:5], off
	s_waitcnt vmcnt(0)
	v_add_f64 v[4:5], v[6:7], -v[4:5]
	v_mad_u64_u32 v[6:7], s[0:1], s4, 18, v[0:1]
	v_mov_b32_e32 v7, v1
	s_mul_i32 s0, s4, 3
	v_add_u32_e32 v0, s4, v6
	v_add_f64 v[4:5], v[2:3], v[4:5]
	v_lshlrev_b64 v[2:3], 3, v[6:7]
	v_add_co_u32_e32 v7, vcc, s8, v2
	v_addc_co_u32_e32 v8, vcc, v18, v3, vcc
	v_add_co_u32_e32 v2, vcc, s10, v2
	v_addc_co_u32_e32 v3, vcc, v19, v3, vcc
	global_load_dwordx2 v[7:8], v[7:8], off
	s_nop 0
	global_load_dwordx2 v[2:3], v[2:3], off
	s_waitcnt vmcnt(0)
	v_add_f64 v[2:3], v[7:8], -v[2:3]
	v_lshlrev_b64 v[6:7], 3, v[0:1]
	v_add_u32_e32 v0, s4, v0
	v_add_co_u32_e32 v8, vcc, s8, v6
	v_addc_co_u32_e32 v9, vcc, v18, v7, vcc
	v_add_co_u32_e32 v6, vcc, s10, v6
	v_addc_co_u32_e32 v7, vcc, v19, v7, vcc
	global_load_dwordx2 v[8:9], v[8:9], off
	v_add_f64 v[4:5], v[4:5], -v[2:3]
	global_load_dwordx2 v[6:7], v[6:7], off
	s_waitcnt vmcnt(0)
	v_add_f64 v[6:7], v[8:9], -v[6:7]
	v_add_f64 v[4:5], v[4:5], -v[6:7]
	v_lshlrev_b64 v[6:7], 3, v[0:1]
	v_add_u32_e32 v0, s4, v0
	v_add_co_u32_e32 v8, vcc, s8, v6
	v_addc_co_u32_e32 v9, vcc, v18, v7, vcc
	v_add_co_u32_e32 v6, vcc, s10, v6
	v_addc_co_u32_e32 v7, vcc, v19, v7, vcc
	global_load_dwordx2 v[8:9], v[8:9], off
	s_nop 0
	global_load_dwordx2 v[6:7], v[6:7], off
	s_waitcnt vmcnt(0)
	v_add_f64 v[6:7], v[8:9], -v[6:7]
	v_lshlrev_b64 v[8:9], 3, v[0:1]
	v_add_u32_e32 v0, s4, v0
	v_add_co_u32_e32 v10, vcc, s8, v8
	v_addc_co_u32_e32 v11, vcc, v18, v9, vcc
	v_add_co_u32_e32 v8, vcc, s10, v8
	v_addc_co_u32_e32 v9, vcc, v19, v9, vcc
	global_load_dwordx2 v[10:11], v[10:11], off
	v_add_f64 v[4:5], v[4:5], -v[6:7]
	global_load_dwordx2 v[8:9], v[8:9], off
	s_waitcnt vmcnt(0)
	v_add_f64 v[8:9], v[10:11], -v[8:9]
	v_add_f64 v[4:5], v[4:5], -v[8:9]
	v_lshlrev_b64 v[8:9], 3, v[0:1]
	v_add_u32_e32 v0, s0, v0
	v_add_co_u32_e32 v10, vcc, s8, v8
	v_addc_co_u32_e32 v11, vcc, v18, v9, vcc
	v_add_co_u32_e32 v8, vcc, s10, v8
	v_addc_co_u32_e32 v9, vcc, v19, v9, vcc
	global_load_dwordx2 v[10:11], v[10:11], off
	s_nop 0
	global_load_dwordx2 v[8:9], v[8:9], off
	s_waitcnt vmcnt(0)
	v_add_f64 v[14:15], v[10:11], -v[8:9]
	v_lshlrev_b64 v[8:9], 3, v[0:1]
	v_add_u32_e32 v0, s0, v0
	v_add_co_u32_e32 v10, vcc, s8, v8
	v_addc_co_u32_e32 v11, vcc, v18, v9, vcc
	v_add_co_u32_e32 v8, vcc, s10, v8
	v_addc_co_u32_e32 v9, vcc, v19, v9, vcc
	global_load_dwordx2 v[10:11], v[10:11], off
	v_add_f64 v[4:5], v[4:5], -v[14:15]
	global_load_dwordx2 v[8:9], v[8:9], off
	s_load_dwordx4 s[0:3], s[16:17], 0x98
	s_waitcnt vmcnt(0)
	v_add_f64 v[10:11], v[10:11], -v[8:9]
	v_add_f64 v[8:9], v[4:5], v[10:11]
	v_lshlrev_b64 v[4:5], 3, v[0:1]
	v_add_u32_e32 v0, s4, v0
	v_add_co_u32_e32 v12, vcc, s8, v4
	v_addc_co_u32_e32 v13, vcc, v18, v5, vcc
	v_add_co_u32_e32 v4, vcc, s10, v4
	v_addc_co_u32_e32 v5, vcc, v19, v5, vcc
	global_load_dwordx2 v[12:13], v[12:13], off
	s_nop 0
	global_load_dwordx2 v[4:5], v[4:5], off
	s_waitcnt vmcnt(0)
	v_add_f64 v[4:5], v[12:13], -v[4:5]
	v_add_f64 v[12:13], v[8:9], v[4:5]
	v_lshlrev_b64 v[8:9], 3, v[0:1]
	v_add_u32_e32 v0, s4, v0
	v_add_co_u32_e32 v16, vcc, s8, v8
	v_addc_co_u32_e32 v17, vcc, v18, v9, vcc
	v_add_co_u32_e32 v8, vcc, s10, v8
	v_addc_co_u32_e32 v9, vcc, v19, v9, vcc
	global_load_dwordx2 v[16:17], v[16:17], off
	s_nop 0
	global_load_dwordx2 v[8:9], v[8:9], off
	;; [unrolled: 12-line block ×3, first 2 shown]
	s_waitcnt vmcnt(0)
	v_add_f64 v[12:13], v[20:21], -v[12:13]
	v_add_f64 v[20:21], v[16:17], v[12:13]
	v_lshlrev_b64 v[16:17], 3, v[0:1]
	v_lshl_add_u32 v0, s4, 3, v0
	v_add_co_u32_e32 v22, vcc, s8, v16
	v_addc_co_u32_e32 v23, vcc, v18, v17, vcc
	v_add_co_u32_e32 v16, vcc, s10, v16
	v_addc_co_u32_e32 v17, vcc, v19, v17, vcc
	global_load_dwordx2 v[22:23], v[22:23], off
	s_nop 0
	global_load_dwordx2 v[16:17], v[16:17], off
	s_waitcnt vmcnt(0)
	v_add_f64 v[16:17], v[22:23], -v[16:17]
	v_lshlrev_b64 v[22:23], 3, v[0:1]
	v_add_co_u32_e32 v24, vcc, s8, v22
	v_addc_co_u32_e32 v25, vcc, v18, v23, vcc
	v_add_co_u32_e32 v22, vcc, s10, v22
	v_addc_co_u32_e32 v23, vcc, v19, v23, vcc
	global_load_dwordx2 v[24:25], v[24:25], off
	v_add_f64 v[20:21], v[20:21], v[16:17]
	global_load_dwordx2 v[22:23], v[22:23], off
	s_waitcnt vmcnt(0)
	v_add_f64 v[22:23], v[24:25], -v[22:23]
	v_add_f64 v[20:21], v[20:21], v[22:23]
	v_mul_f64 v[20:21], s[14:15], v[20:21]
	s_waitcnt lgkmcnt(0)
	v_mul_f64 v[21:22], s[0:1], v[20:21]
	s_mul_i32 s0, s4, 0xffffff46
	v_add_u32_e32 v0, s0, v0
	v_lshlrev_b64 v[23:24], 3, v[0:1]
	v_mov_b32_e32 v20, s13
	v_add_co_u32_e32 v23, vcc, s12, v23
	s_mul_i32 s0, s4, 0x7d
	v_addc_co_u32_e32 v24, vcc, v20, v24, vcc
	v_add_u32_e32 v0, s0, v0
	global_store_dwordx2 v[23:24], v[21:22], off
	v_lshlrev_b64 v[21:22], 3, v[0:1]
	v_add_co_u32_e32 v23, vcc, s8, v21
	v_addc_co_u32_e32 v24, vcc, v18, v22, vcc
	v_add_co_u32_e32 v21, vcc, s10, v21
	v_addc_co_u32_e32 v22, vcc, v19, v22, vcc
	global_load_dwordx2 v[23:24], v[23:24], off
	s_nop 0
	global_load_dwordx2 v[21:22], v[21:22], off
	s_waitcnt vmcnt(0)
	v_add_f64 v[21:22], v[23:24], -v[21:22]
	v_add_f64 v[2:3], v[2:3], v[21:22]
	v_add_f64 v[2:3], v[6:7], v[2:3]
	v_mad_u64_u32 v[6:7], s[0:1], s4, 45, v[0:1]
	v_mov_b32_e32 v7, v1
	v_add_u32_e32 v0, s4, v6
	v_add_f64 v[2:3], v[14:15], v[2:3]
	v_lshlrev_b64 v[14:15], 3, v[6:7]
	v_lshlrev_b64 v[6:7], 3, v[0:1]
	v_add_co_u32_e32 v21, vcc, s8, v14
	v_addc_co_u32_e32 v22, vcc, v18, v15, vcc
	v_add_co_u32_e32 v14, vcc, s10, v14
	v_addc_co_u32_e32 v15, vcc, v19, v15, vcc
	global_load_dwordx2 v[21:22], v[21:22], off
	v_add_u32_e32 v0, s5, v0
	global_load_dwordx2 v[14:15], v[14:15], off
	s_waitcnt vmcnt(0)
	v_add_f64 v[14:15], v[21:22], -v[14:15]
	v_add_f64 v[2:3], v[2:3], -v[14:15]
	v_add_co_u32_e32 v14, vcc, s8, v6
	v_addc_co_u32_e32 v15, vcc, v18, v7, vcc
	v_add_co_u32_e32 v6, vcc, s10, v6
	v_addc_co_u32_e32 v7, vcc, v19, v7, vcc
	global_load_dwordx2 v[14:15], v[14:15], off
	s_nop 0
	global_load_dwordx2 v[6:7], v[6:7], off
	s_waitcnt vmcnt(0)
	v_add_f64 v[6:7], v[14:15], -v[6:7]
	v_add_f64 v[2:3], v[2:3], -v[6:7]
	v_lshlrev_b64 v[6:7], 3, v[0:1]
	v_add_u32_e32 v0, s4, v0
	v_add_f64 v[2:3], v[2:3], -v[10:11]
	v_add_co_u32_e32 v10, vcc, s8, v6
	v_addc_co_u32_e32 v11, vcc, v18, v7, vcc
	v_add_co_u32_e32 v6, vcc, s10, v6
	v_addc_co_u32_e32 v7, vcc, v19, v7, vcc
	global_load_dwordx2 v[10:11], v[10:11], off
	s_nop 0
	global_load_dwordx2 v[6:7], v[6:7], off
	s_waitcnt vmcnt(0)
	v_add_f64 v[6:7], v[10:11], -v[6:7]
	v_add_f64 v[2:3], v[2:3], -v[6:7]
	v_lshlrev_b64 v[6:7], 3, v[0:1]
	v_add_co_u32_e32 v10, vcc, s8, v6
	v_addc_co_u32_e32 v11, vcc, v18, v7, vcc
	v_add_co_u32_e32 v6, vcc, s10, v6
	v_addc_co_u32_e32 v7, vcc, v19, v7, vcc
	global_load_dwordx2 v[10:11], v[10:11], off
	s_nop 0
	global_load_dwordx2 v[6:7], v[6:7], off
	s_waitcnt vmcnt(0)
	v_add_f64 v[6:7], v[10:11], -v[6:7]
	v_add_f64 v[2:3], v[2:3], -v[6:7]
	;; [unrolled: 1-line block ×3, first 2 shown]
	v_mad_u64_u32 v[4:5], s[0:1], s4, 6, v[0:1]
	v_mov_b32_e32 v5, v1
	s_mul_i32 s0, s4, 0xffffff48
	v_lshlrev_b64 v[5:6], 3, v[4:5]
	v_add_u32_e32 v0, s5, v4
	v_add_co_u32_e32 v7, vcc, s8, v5
	v_add_f64 v[2:3], v[2:3], -v[8:9]
	v_addc_co_u32_e32 v8, vcc, v18, v6, vcc
	v_add_co_u32_e32 v5, vcc, s10, v5
	v_addc_co_u32_e32 v6, vcc, v19, v6, vcc
	global_load_dwordx2 v[7:8], v[7:8], off
	v_add_f64 v[2:3], v[2:3], -v[12:13]
	global_load_dwordx2 v[5:6], v[5:6], off
	v_add_f64 v[2:3], v[2:3], -v[16:17]
	s_waitcnt vmcnt(0)
	v_add_f64 v[5:6], v[7:8], -v[5:6]
	v_add_f64 v[2:3], v[5:6], v[2:3]
	v_lshlrev_b64 v[4:5], 3, v[0:1]
	v_add_u32_e32 v0, s4, v0
	v_add_co_u32_e32 v6, vcc, s8, v4
	v_addc_co_u32_e32 v7, vcc, v18, v5, vcc
	v_add_co_u32_e32 v4, vcc, s10, v4
	v_addc_co_u32_e32 v5, vcc, v19, v5, vcc
	global_load_dwordx2 v[6:7], v[6:7], off
	s_nop 0
	global_load_dwordx2 v[4:5], v[4:5], off
	s_waitcnt vmcnt(0)
	v_add_f64 v[4:5], v[6:7], -v[4:5]
	v_add_f64 v[2:3], v[4:5], v[2:3]
	v_lshlrev_b64 v[4:5], 3, v[0:1]
	v_add_u32_e32 v0, s5, v0
	v_add_co_u32_e32 v6, vcc, s8, v4
	v_addc_co_u32_e32 v7, vcc, v18, v5, vcc
	v_add_co_u32_e32 v4, vcc, s10, v4
	v_addc_co_u32_e32 v5, vcc, v19, v5, vcc
	global_load_dwordx2 v[6:7], v[6:7], off
	s_nop 0
	global_load_dwordx2 v[4:5], v[4:5], off
	s_waitcnt vmcnt(0)
	v_add_f64 v[4:5], v[6:7], -v[4:5]
	v_lshlrev_b64 v[6:7], 3, v[0:1]
	v_add_u32_e32 v0, s0, v0
	v_add_f64 v[2:3], v[4:5], v[2:3]
	v_add_co_u32_e32 v4, vcc, s8, v6
	v_addc_co_u32_e32 v5, vcc, v18, v7, vcc
	v_add_co_u32_e32 v6, vcc, s10, v6
	v_addc_co_u32_e32 v7, vcc, v19, v7, vcc
	global_load_dwordx2 v[4:5], v[4:5], off
	s_nop 0
	global_load_dwordx2 v[6:7], v[6:7], off
	s_waitcnt vmcnt(0)
	v_add_f64 v[4:5], v[4:5], -v[6:7]
	v_add_f64 v[2:3], v[2:3], v[4:5]
	v_lshlrev_b64 v[4:5], 3, v[0:1]
	v_add_u32_e32 v0, s4, v0
	v_add_co_u32_e32 v4, vcc, s12, v4
	v_addc_co_u32_e32 v5, vcc, v20, v5, vcc
	v_mul_f64 v[2:3], s[14:15], v[2:3]
	v_mul_f64 v[2:3], s[2:3], v[2:3]
	global_store_dwordx2 v[4:5], v[2:3], off
	v_lshlrev_b64 v[2:3], 3, v[0:1]
	v_mov_b32_e32 v0, v1
	v_add_co_u32_e32 v2, vcc, s12, v2
	v_addc_co_u32_e32 v3, vcc, v20, v3, vcc
	global_store_dwordx2 v[2:3], v[0:1], off
	s_endpgm
	.section	.rodata,"a",@progbits
	.p2align	6, 0x0
	.amdhsa_kernel _Z14rdwdot2_kernelIdEvPKT_S2_PS0_S0_S2_
		.amdhsa_group_segment_fixed_size 0
		.amdhsa_private_segment_fixed_size 0
		.amdhsa_kernarg_size 296
		.amdhsa_user_sgpr_count 6
		.amdhsa_user_sgpr_private_segment_buffer 1
		.amdhsa_user_sgpr_dispatch_ptr 0
		.amdhsa_user_sgpr_queue_ptr 0
		.amdhsa_user_sgpr_kernarg_segment_ptr 1
		.amdhsa_user_sgpr_dispatch_id 0
		.amdhsa_user_sgpr_flat_scratch_init 0
		.amdhsa_user_sgpr_private_segment_size 0
		.amdhsa_uses_dynamic_stack 0
		.amdhsa_system_sgpr_private_segment_wavefront_offset 0
		.amdhsa_system_sgpr_workgroup_id_x 1
		.amdhsa_system_sgpr_workgroup_id_y 0
		.amdhsa_system_sgpr_workgroup_id_z 0
		.amdhsa_system_sgpr_workgroup_info 0
		.amdhsa_system_vgpr_workitem_id 0
		.amdhsa_next_free_vgpr 26
		.amdhsa_next_free_sgpr 18
		.amdhsa_reserve_vcc 1
		.amdhsa_reserve_flat_scratch 0
		.amdhsa_float_round_mode_32 0
		.amdhsa_float_round_mode_16_64 0
		.amdhsa_float_denorm_mode_32 3
		.amdhsa_float_denorm_mode_16_64 3
		.amdhsa_dx10_clamp 1
		.amdhsa_ieee_mode 1
		.amdhsa_fp16_overflow 0
		.amdhsa_exception_fp_ieee_invalid_op 0
		.amdhsa_exception_fp_denorm_src 0
		.amdhsa_exception_fp_ieee_div_zero 0
		.amdhsa_exception_fp_ieee_overflow 0
		.amdhsa_exception_fp_ieee_underflow 0
		.amdhsa_exception_fp_ieee_inexact 0
		.amdhsa_exception_int_div_zero 0
	.end_amdhsa_kernel
	.section	.text._Z14rdwdot2_kernelIdEvPKT_S2_PS0_S0_S2_,"axG",@progbits,_Z14rdwdot2_kernelIdEvPKT_S2_PS0_S0_S2_,comdat
.Lfunc_end47:
	.size	_Z14rdwdot2_kernelIdEvPKT_S2_PS0_S0_S2_, .Lfunc_end47-_Z14rdwdot2_kernelIdEvPKT_S2_PS0_S0_S2_
                                        ; -- End function
	.set _Z14rdwdot2_kernelIdEvPKT_S2_PS0_S0_S2_.num_vgpr, 26
	.set _Z14rdwdot2_kernelIdEvPKT_S2_PS0_S0_S2_.num_agpr, 0
	.set _Z14rdwdot2_kernelIdEvPKT_S2_PS0_S0_S2_.numbered_sgpr, 18
	.set _Z14rdwdot2_kernelIdEvPKT_S2_PS0_S0_S2_.num_named_barrier, 0
	.set _Z14rdwdot2_kernelIdEvPKT_S2_PS0_S0_S2_.private_seg_size, 0
	.set _Z14rdwdot2_kernelIdEvPKT_S2_PS0_S0_S2_.uses_vcc, 1
	.set _Z14rdwdot2_kernelIdEvPKT_S2_PS0_S0_S2_.uses_flat_scratch, 0
	.set _Z14rdwdot2_kernelIdEvPKT_S2_PS0_S0_S2_.has_dyn_sized_stack, 0
	.set _Z14rdwdot2_kernelIdEvPKT_S2_PS0_S0_S2_.has_recursion, 0
	.set _Z14rdwdot2_kernelIdEvPKT_S2_PS0_S0_S2_.has_indirect_call, 0
	.section	.AMDGPU.csdata,"",@progbits
; Kernel info:
; codeLenInByte = 1948
; TotalNumSgprs: 22
; NumVgprs: 26
; ScratchSize: 0
; MemoryBound: 0
; FloatMode: 240
; IeeeMode: 1
; LDSByteSize: 0 bytes/workgroup (compile time only)
; SGPRBlocks: 2
; VGPRBlocks: 6
; NumSGPRsForWavesPerEU: 22
; NumVGPRsForWavesPerEU: 26
; Occupancy: 9
; WaveLimiterHint : 0
; COMPUTE_PGM_RSRC2:SCRATCH_EN: 0
; COMPUTE_PGM_RSRC2:USER_SGPR: 6
; COMPUTE_PGM_RSRC2:TRAP_HANDLER: 0
; COMPUTE_PGM_RSRC2:TGID_X_EN: 1
; COMPUTE_PGM_RSRC2:TGID_Y_EN: 0
; COMPUTE_PGM_RSRC2:TGID_Z_EN: 0
; COMPUTE_PGM_RSRC2:TIDIG_COMP_CNT: 0
	.section	.text._Z14rdwdot3_kernelIdEvPKT_S2_PS0_S0_S2_,"axG",@progbits,_Z14rdwdot3_kernelIdEvPKT_S2_PS0_S0_S2_,comdat
	.protected	_Z14rdwdot3_kernelIdEvPKT_S2_PS0_S0_S2_ ; -- Begin function _Z14rdwdot3_kernelIdEvPKT_S2_PS0_S0_S2_
	.globl	_Z14rdwdot3_kernelIdEvPKT_S2_PS0_S0_S2_
	.p2align	8
	.type	_Z14rdwdot3_kernelIdEvPKT_S2_PS0_S0_S2_,@function
_Z14rdwdot3_kernelIdEvPKT_S2_PS0_S0_S2_: ; @_Z14rdwdot3_kernelIdEvPKT_S2_PS0_S0_S2_
; %bb.0:
	s_load_dwordx8 s[8:15], s[4:5], 0x0
	s_load_dwordx2 s[22:23], s[4:5], 0x20
	s_load_dword s24, s[4:5], 0x28
	s_load_dword s0, s[4:5], 0x34
	v_mov_b32_e32 v1, 0
	s_waitcnt lgkmcnt(0)
	v_mov_b32_e32 v31, s9
	v_mov_b32_e32 v32, s11
	;; [unrolled: 1-line block ×3, first 2 shown]
	s_and_b32 s0, s0, 0xffff
	s_mul_i32 s24, s24, s0
	s_mul_i32 s1, s24, 0x71
	;; [unrolled: 1-line block ×3, first 2 shown]
	s_add_i32 s1, s1, s6
	v_add_u32_e32 v0, s1, v0
	v_lshlrev_b64 v[2:3], 3, v[0:1]
	s_lshl_b32 s0, s24, 3
	v_add_co_u32_e32 v4, vcc, s8, v2
	v_addc_co_u32_e32 v5, vcc, v31, v3, vcc
	v_add_co_u32_e32 v2, vcc, s10, v2
	v_addc_co_u32_e32 v3, vcc, v32, v3, vcc
	global_load_dwordx2 v[4:5], v[4:5], off
	v_add_u32_e32 v0, s0, v0
	global_load_dwordx2 v[2:3], v[2:3], off
	s_mul_i32 s1, s24, 0xffffffa5
	s_mul_i32 s26, s24, 6
	s_lshl_b32 s28, s24, 2
	s_mul_i32 s25, s24, 12
	s_lshl_b32 s9, s24, 1
	s_mul_i32 s29, s24, 3
	s_mul_i32 s27, s24, 39
	;; [unrolled: 1-line block ×3, first 2 shown]
	s_waitcnt vmcnt(0)
	v_add_f64 v[2:3], v[4:5], -v[2:3]
	v_lshlrev_b64 v[4:5], 3, v[0:1]
	v_add_u32_e32 v0, s1, v0
	v_add_co_u32_e32 v6, vcc, s8, v4
	v_addc_co_u32_e32 v7, vcc, v31, v5, vcc
	v_add_co_u32_e32 v4, vcc, s10, v4
	v_addc_co_u32_e32 v5, vcc, v32, v5, vcc
	global_load_dwordx2 v[6:7], v[6:7], off
	s_nop 0
	global_load_dwordx2 v[4:5], v[4:5], off
	s_waitcnt vmcnt(0)
	v_add_f64 v[4:5], v[6:7], -v[4:5]
	v_add_f64 v[2:3], v[2:3], -v[4:5]
	v_lshlrev_b64 v[4:5], 3, v[0:1]
	v_add_u32_e32 v0, s26, v0
	v_add_co_u32_e32 v6, vcc, s8, v4
	v_addc_co_u32_e32 v7, vcc, v31, v5, vcc
	v_add_co_u32_e32 v4, vcc, s10, v4
	v_addc_co_u32_e32 v5, vcc, v32, v5, vcc
	global_load_dwordx2 v[6:7], v[6:7], off
	s_nop 0
	global_load_dwordx2 v[4:5], v[4:5], off
	s_waitcnt vmcnt(0)
	v_add_f64 v[4:5], v[6:7], -v[4:5]
	v_lshlrev_b64 v[6:7], 3, v[0:1]
	v_add_u32_e32 v0, s28, v0
	v_add_co_u32_e32 v8, vcc, s8, v6
	v_addc_co_u32_e32 v9, vcc, v31, v7, vcc
	v_add_co_u32_e32 v6, vcc, s10, v6
	v_addc_co_u32_e32 v7, vcc, v32, v7, vcc
	global_load_dwordx2 v[8:9], v[8:9], off
	s_nop 0
	global_load_dwordx2 v[6:7], v[6:7], off
	s_waitcnt vmcnt(0)
	v_add_f64 v[6:7], v[8:9], -v[6:7]
	v_add_f64 v[4:5], v[4:5], v[6:7]
	v_lshlrev_b64 v[6:7], 3, v[0:1]
	v_add_u32_e32 v0, s25, v0
	v_add_co_u32_e32 v8, vcc, s8, v6
	v_addc_co_u32_e32 v9, vcc, v31, v7, vcc
	v_add_co_u32_e32 v6, vcc, s10, v6
	v_addc_co_u32_e32 v7, vcc, v32, v7, vcc
	global_load_dwordx2 v[8:9], v[8:9], off
	s_nop 0
	global_load_dwordx2 v[6:7], v[6:7], off
	s_waitcnt vmcnt(0)
	v_add_f64 v[6:7], v[8:9], -v[6:7]
	v_add_f64 v[4:5], v[4:5], v[6:7]
	;; [unrolled: 12-line block ×3, first 2 shown]
	v_lshlrev_b64 v[6:7], 3, v[0:1]
	v_add_u32_e32 v0, s0, v0
	v_add_co_u32_e32 v8, vcc, s8, v6
	v_addc_co_u32_e32 v9, vcc, v31, v7, vcc
	v_add_co_u32_e32 v6, vcc, s10, v6
	v_addc_co_u32_e32 v7, vcc, v32, v7, vcc
	global_load_dwordx2 v[8:9], v[8:9], off
	s_mul_i32 s0, s24, 7
	global_load_dwordx2 v[6:7], v[6:7], off
	s_waitcnt vmcnt(0)
	v_add_f64 v[6:7], v[8:9], -v[6:7]
	v_add_f64 v[4:5], v[4:5], v[6:7]
	v_lshlrev_b64 v[6:7], 3, v[0:1]
	v_add_u32_e32 v0, s0, v0
	v_add_co_u32_e32 v8, vcc, s8, v6
	v_addc_co_u32_e32 v9, vcc, v31, v7, vcc
	v_add_co_u32_e32 v6, vcc, s10, v6
	v_addc_co_u32_e32 v7, vcc, v32, v7, vcc
	global_load_dwordx2 v[8:9], v[8:9], off
	s_nop 0
	global_load_dwordx2 v[6:7], v[6:7], off
	s_waitcnt vmcnt(0)
	v_add_f64 v[6:7], v[8:9], -v[6:7]
	v_add_f64 v[4:5], v[4:5], v[6:7]
	v_lshlrev_b64 v[6:7], 3, v[0:1]
	v_add_u32_e32 v0, s24, v0
	v_add_co_u32_e32 v8, vcc, s8, v6
	v_addc_co_u32_e32 v9, vcc, v31, v7, vcc
	v_add_co_u32_e32 v6, vcc, s10, v6
	v_addc_co_u32_e32 v7, vcc, v32, v7, vcc
	global_load_dwordx2 v[8:9], v[8:9], off
	s_nop 0
	;; [unrolled: 12-line block ×3, first 2 shown]
	global_load_dwordx2 v[6:7], v[6:7], off
	s_waitcnt vmcnt(0)
	v_add_f64 v[6:7], v[8:9], -v[6:7]
	v_add_f64 v[4:5], v[4:5], -v[6:7]
	v_lshlrev_b64 v[6:7], 3, v[0:1]
	v_add_u32_e32 v0, s24, v0
	v_add_co_u32_e32 v8, vcc, s8, v6
	v_addc_co_u32_e32 v9, vcc, v31, v7, vcc
	v_add_co_u32_e32 v6, vcc, s10, v6
	v_addc_co_u32_e32 v7, vcc, v32, v7, vcc
	global_load_dwordx2 v[8:9], v[8:9], off
	s_nop 0
	global_load_dwordx2 v[6:7], v[6:7], off
	s_waitcnt vmcnt(0)
	v_add_f64 v[6:7], v[8:9], -v[6:7]
	v_add_f64 v[4:5], v[4:5], -v[6:7]
	v_lshlrev_b64 v[6:7], 3, v[0:1]
	v_add_u32_e32 v0, s24, v0
	v_add_co_u32_e32 v8, vcc, s8, v6
	v_addc_co_u32_e32 v9, vcc, v31, v7, vcc
	v_add_co_u32_e32 v6, vcc, s10, v6
	v_addc_co_u32_e32 v7, vcc, v32, v7, vcc
	global_load_dwordx2 v[8:9], v[8:9], off
	s_nop 0
	;; [unrolled: 12-line block ×5, first 2 shown]
	global_load_dwordx2 v[6:7], v[6:7], off
	s_waitcnt vmcnt(0)
	v_add_f64 v[6:7], v[8:9], -v[6:7]
	v_add_f64 v[4:5], v[4:5], -v[6:7]
	v_lshlrev_b64 v[6:7], 3, v[0:1]
	v_add_u32_e32 v0, s9, v0
	v_add_co_u32_e32 v12, vcc, s8, v6
	v_addc_co_u32_e32 v13, vcc, v31, v7, vcc
	v_add_co_u32_e32 v14, vcc, s10, v6
	v_addc_co_u32_e32 v15, vcc, v32, v7, vcc
	global_load_dwordx2 v[8:9], v[12:13], off
	global_load_dwordx2 v[6:7], v[14:15], off
	s_waitcnt vmcnt(0)
	v_add_f64 v[6:7], v[8:9], -v[6:7]
	v_add_f64 v[4:5], v[4:5], -v[6:7]
	v_lshlrev_b64 v[6:7], 3, v[0:1]
	v_add_u32_e32 v0, s28, v0
	v_add_co_u32_e32 v8, vcc, s8, v6
	v_addc_co_u32_e32 v9, vcc, v31, v7, vcc
	v_add_co_u32_e32 v6, vcc, s10, v6
	v_addc_co_u32_e32 v7, vcc, v32, v7, vcc
	global_load_dwordx2 v[8:9], v[8:9], off
	s_nop 0
	global_load_dwordx2 v[6:7], v[6:7], off
	s_waitcnt vmcnt(0)
	v_add_f64 v[6:7], v[8:9], -v[6:7]
	v_add_f64 v[4:5], v[4:5], v[6:7]
	v_lshlrev_b64 v[6:7], 3, v[0:1]
	v_add_u32_e32 v0, s0, v0
	v_add_co_u32_e32 v8, vcc, s8, v6
	v_addc_co_u32_e32 v9, vcc, v31, v7, vcc
	v_add_co_u32_e32 v6, vcc, s10, v6
	v_addc_co_u32_e32 v7, vcc, v32, v7, vcc
	global_load_dwordx2 v[8:9], v[8:9], off
	s_nop 0
	global_load_dwordx2 v[6:7], v[6:7], off
	s_waitcnt vmcnt(0)
	v_add_f64 v[6:7], v[8:9], -v[6:7]
	v_add_f64 v[4:5], v[4:5], v[6:7]
	v_lshlrev_b64 v[6:7], 3, v[0:1]
	v_add_u32_e32 v0, s26, v0
	v_add_co_u32_e32 v8, vcc, s8, v6
	v_addc_co_u32_e32 v9, vcc, v31, v7, vcc
	v_add_co_u32_e32 v6, vcc, s10, v6
	v_addc_co_u32_e32 v7, vcc, v32, v7, vcc
	global_load_dwordx2 v[8:9], v[8:9], off
	s_nop 0
	global_load_dwordx2 v[6:7], v[6:7], off
	s_waitcnt vmcnt(0)
	v_add_f64 v[6:7], v[8:9], -v[6:7]
	v_add_f64 v[4:5], v[4:5], -v[6:7]
	v_lshlrev_b64 v[6:7], 3, v[0:1]
	v_add_u32_e32 v0, s29, v0
	v_add_co_u32_e32 v8, vcc, s8, v6
	v_addc_co_u32_e32 v9, vcc, v31, v7, vcc
	v_add_co_u32_e32 v6, vcc, s10, v6
	v_addc_co_u32_e32 v7, vcc, v32, v7, vcc
	global_load_dwordx2 v[8:9], v[8:9], off
	s_nop 0
	global_load_dwordx2 v[6:7], v[6:7], off
	s_waitcnt vmcnt(0)
	v_add_f64 v[6:7], v[8:9], -v[6:7]
	v_add_f64 v[4:5], v[4:5], v[6:7]
	v_lshlrev_b64 v[6:7], 3, v[0:1]
	v_add_u32_e32 v0, s24, v0
	v_add_co_u32_e32 v8, vcc, s8, v6
	v_addc_co_u32_e32 v9, vcc, v31, v7, vcc
	v_add_co_u32_e32 v6, vcc, s10, v6
	v_addc_co_u32_e32 v7, vcc, v32, v7, vcc
	global_load_dwordx2 v[8:9], v[8:9], off
	s_nop 0
	global_load_dwordx2 v[6:7], v[6:7], off
	s_waitcnt vmcnt(0)
	v_add_f64 v[6:7], v[8:9], -v[6:7]
	v_add_f64 v[4:5], v[4:5], v[6:7]
	;; [unrolled: 12-line block ×4, first 2 shown]
	v_lshlrev_b64 v[6:7], 3, v[0:1]
	v_add_co_u32_e32 v8, vcc, s8, v6
	v_addc_co_u32_e32 v9, vcc, v31, v7, vcc
	v_add_co_u32_e32 v6, vcc, s10, v6
	v_addc_co_u32_e32 v7, vcc, v32, v7, vcc
	global_load_dwordx2 v[8:9], v[8:9], off
	s_nop 0
	global_load_dwordx2 v[6:7], v[6:7], off
	s_waitcnt vmcnt(0)
	v_add_f64 v[6:7], v[8:9], -v[6:7]
	v_add_f64 v[4:5], v[4:5], v[6:7]
	v_mad_u64_u32 v[6:7], s[0:1], s24, 14, v[0:1]
	v_mov_b32_e32 v7, v1
	v_lshlrev_b64 v[7:8], 3, v[6:7]
	v_add_u32_e32 v0, s26, v6
	v_add_co_u32_e32 v9, vcc, s8, v7
	v_addc_co_u32_e32 v10, vcc, v31, v8, vcc
	v_add_co_u32_e32 v7, vcc, s10, v7
	v_addc_co_u32_e32 v8, vcc, v32, v8, vcc
	global_load_dwordx2 v[9:10], v[9:10], off
	s_nop 0
	global_load_dwordx2 v[7:8], v[7:8], off
	s_waitcnt vmcnt(0)
	v_add_f64 v[7:8], v[9:10], -v[7:8]
	v_add_f64 v[7:8], v[4:5], v[7:8]
	v_lshlrev_b64 v[4:5], 3, v[0:1]
	v_add_u32_e32 v0, s25, v0
	v_add_co_u32_e32 v9, vcc, s8, v4
	v_addc_co_u32_e32 v10, vcc, v31, v5, vcc
	v_add_co_u32_e32 v4, vcc, s10, v4
	v_addc_co_u32_e32 v5, vcc, v32, v5, vcc
	global_load_dwordx2 v[9:10], v[9:10], off
	s_nop 0
	global_load_dwordx2 v[4:5], v[4:5], off
	s_waitcnt vmcnt(0)
	v_add_f64 v[4:5], v[9:10], -v[4:5]
	v_add_f64 v[6:7], v[7:8], v[4:5]
	;; [unrolled: 12-line block ×3, first 2 shown]
	v_lshlrev_b64 v[8:9], 3, v[0:1]
	v_add_co_u32_e32 v10, vcc, s8, v8
	v_addc_co_u32_e32 v11, vcc, v31, v9, vcc
	v_add_co_u32_e32 v8, vcc, s10, v8
	v_addc_co_u32_e32 v9, vcc, v32, v9, vcc
	global_load_dwordx2 v[10:11], v[10:11], off
	s_nop 0
	global_load_dwordx2 v[8:9], v[8:9], off
	s_waitcnt vmcnt(0)
	v_add_f64 v[8:9], v[10:11], -v[8:9]
	v_add_f64 v[6:7], v[6:7], v[8:9]
	v_mad_u64_u32 v[8:9], s[0:1], s24, 11, v[0:1]
	v_mov_b32_e32 v9, v1
	v_lshlrev_b64 v[9:10], 3, v[8:9]
	v_add_co_u32_e32 v16, vcc, s8, v9
	v_addc_co_u32_e32 v17, vcc, v31, v10, vcc
	v_add_co_u32_e32 v9, vcc, s10, v9
	v_addc_co_u32_e32 v10, vcc, v32, v10, vcc
	global_load_dwordx2 v[16:17], v[16:17], off
	s_nop 0
	global_load_dwordx2 v[9:10], v[9:10], off
	s_waitcnt vmcnt(0)
	v_add_f64 v[9:10], v[16:17], -v[9:10]
	v_add_f64 v[6:7], v[6:7], v[9:10]
	v_mad_u64_u32 v[8:9], s[0:1], s24, 13, v[8:9]
	v_mov_b32_e32 v9, v1
	v_lshlrev_b64 v[9:10], 3, v[8:9]
	v_add_u32_e32 v0, s29, v8
	v_add_co_u32_e32 v16, vcc, s8, v9
	v_addc_co_u32_e32 v17, vcc, v31, v10, vcc
	v_add_co_u32_e32 v9, vcc, s10, v9
	v_addc_co_u32_e32 v10, vcc, v32, v10, vcc
	global_load_dwordx2 v[16:17], v[16:17], off
	s_nop 0
	global_load_dwordx2 v[9:10], v[9:10], off
	s_waitcnt vmcnt(0)
	v_add_f64 v[9:10], v[16:17], -v[9:10]
	v_add_f64 v[6:7], v[6:7], v[9:10]
	v_lshlrev_b64 v[8:9], 3, v[0:1]
	v_add_co_u32_e32 v10, vcc, s8, v8
	v_addc_co_u32_e32 v11, vcc, v31, v9, vcc
	v_add_co_u32_e32 v8, vcc, s10, v8
	v_addc_co_u32_e32 v9, vcc, v32, v9, vcc
	global_load_dwordx2 v[10:11], v[10:11], off
	s_nop 0
	global_load_dwordx2 v[8:9], v[8:9], off
	s_load_dwordx8 s[0:7], s[22:23], 0x60
	s_load_dwordx4 s[16:19], s[22:23], 0x80
	s_load_dwordx2 s[20:21], s[22:23], 0x90
	s_waitcnt vmcnt(0)
	v_add_f64 v[8:9], v[10:11], -v[8:9]
	v_add_f64 v[6:7], v[6:7], v[8:9]
	v_mul_f64 v[6:7], s[14:15], v[6:7]
	s_waitcnt lgkmcnt(0)
	v_mul_f64 v[6:7], s[0:1], v[6:7]
	s_mul_i32 s0, s24, 0xffffff41
	v_add_u32_e32 v0, s0, v0
	v_lshlrev_b64 v[8:9], 3, v[0:1]
	v_add_co_u32_e32 v8, vcc, s12, v8
	v_addc_co_u32_e32 v9, vcc, v30, v9, vcc
	global_store_dwordx2 v[8:9], v[6:7], off
	v_mad_u64_u32 v[6:7], s[0:1], s24, 44, v[0:1]
	v_mov_b32_e32 v7, v1
	v_lshlrev_b64 v[7:8], 3, v[6:7]
	v_add_u32_e32 v0, s24, v6
	v_add_co_u32_e32 v9, vcc, s8, v7
	v_addc_co_u32_e32 v10, vcc, v31, v8, vcc
	v_add_co_u32_e32 v7, vcc, s10, v7
	v_addc_co_u32_e32 v8, vcc, v32, v8, vcc
	global_load_dwordx2 v[9:10], v[9:10], off
	s_nop 0
	global_load_dwordx2 v[7:8], v[7:8], off
	s_waitcnt vmcnt(0)
	v_add_f64 v[7:8], v[9:10], -v[7:8]
	v_lshlrev_b64 v[9:10], 3, v[0:1]
	v_add_co_u32_e32 v16, vcc, s8, v9
	v_addc_co_u32_e32 v17, vcc, v31, v10, vcc
	v_add_co_u32_e32 v9, vcc, s10, v9
	v_addc_co_u32_e32 v10, vcc, v32, v10, vcc
	global_load_dwordx2 v[16:17], v[16:17], off
	s_nop 0
	global_load_dwordx2 v[9:10], v[9:10], off
	s_waitcnt vmcnt(0)
	v_add_f64 v[9:10], v[16:17], -v[9:10]
	v_add_f64 v[6:7], v[7:8], v[9:10]
	v_mad_u64_u32 v[8:9], s[0:1], s24, 53, v[0:1]
	v_mov_b32_e32 v9, v1
	s_mul_i32 s0, s24, 0xffffff7e
	v_lshlrev_b64 v[16:17], 3, v[8:9]
	v_add_u32_e32 v0, s9, v8
	v_add_co_u32_e32 v10, vcc, s8, v16
	v_addc_co_u32_e32 v11, vcc, v31, v17, vcc
	v_add_co_u32_e32 v20, vcc, s10, v16
	v_addc_co_u32_e32 v21, vcc, v32, v17, vcc
	global_load_dwordx2 v[18:19], v[10:11], off
	global_load_dwordx2 v[16:17], v[20:21], off
	v_lshlrev_b64 v[8:9], 3, v[0:1]
	v_add_u32_e32 v0, s9, v0
	s_mul_i32 s1, s24, 0x4d
	s_waitcnt vmcnt(0)
	v_add_f64 v[16:17], v[18:19], -v[16:17]
	v_add_f64 v[16:17], v[6:7], v[16:17]
	v_add_co_u32_e32 v6, vcc, s8, v8
	v_addc_co_u32_e32 v7, vcc, v31, v9, vcc
	v_add_co_u32_e32 v8, vcc, s10, v8
	v_addc_co_u32_e32 v9, vcc, v32, v9, vcc
	global_load_dwordx2 v[18:19], v[6:7], off
	global_load_dwordx2 v[22:23], v[8:9], off
	s_waitcnt vmcnt(0)
	v_add_f64 v[18:19], v[18:19], -v[22:23]
	v_add_f64 v[16:17], v[16:17], v[18:19]
	v_add_f64 v[2:3], v[16:17], -v[2:3]
	v_lshlrev_b64 v[16:17], 3, v[0:1]
	v_add_u32_e32 v0, s24, v0
	v_add_co_u32_e32 v18, vcc, s8, v16
	v_addc_co_u32_e32 v19, vcc, v31, v17, vcc
	v_add_co_u32_e32 v16, vcc, s10, v16
	v_addc_co_u32_e32 v17, vcc, v32, v17, vcc
	global_load_dwordx2 v[18:19], v[18:19], off
	s_nop 0
	global_load_dwordx2 v[16:17], v[16:17], off
	s_waitcnt vmcnt(0)
	v_add_f64 v[16:17], v[18:19], -v[16:17]
	v_add_f64 v[2:3], v[2:3], v[16:17]
	v_lshlrev_b64 v[16:17], 3, v[0:1]
	v_add_u32_e32 v0, s24, v0
	v_add_co_u32_e32 v22, vcc, s8, v16
	v_addc_co_u32_e32 v23, vcc, v31, v17, vcc
	v_add_co_u32_e32 v24, vcc, s10, v16
	v_addc_co_u32_e32 v25, vcc, v32, v17, vcc
	global_load_dwordx2 v[18:19], v[22:23], off
	global_load_dwordx2 v[16:17], v[24:25], off
	s_waitcnt vmcnt(0)
	v_add_f64 v[16:17], v[18:19], -v[16:17]
	v_add_f64 v[2:3], v[2:3], -v[16:17]
	v_lshlrev_b64 v[16:17], 3, v[0:1]
	v_add_u32_e32 v0, s24, v0
	v_add_co_u32_e32 v18, vcc, s8, v16
	v_addc_co_u32_e32 v19, vcc, v31, v17, vcc
	v_add_co_u32_e32 v16, vcc, s10, v16
	v_addc_co_u32_e32 v17, vcc, v32, v17, vcc
	global_load_dwordx2 v[18:19], v[18:19], off
	s_nop 0
	global_load_dwordx2 v[16:17], v[16:17], off
	s_waitcnt vmcnt(0)
	v_add_f64 v[16:17], v[18:19], -v[16:17]
	v_lshlrev_b64 v[18:19], 3, v[0:1]
	v_add_u32_e32 v0, s24, v0
	v_add_f64 v[2:3], v[2:3], -v[16:17]
	v_add_co_u32_e32 v16, vcc, s8, v18
	v_addc_co_u32_e32 v17, vcc, v31, v19, vcc
	v_add_co_u32_e32 v18, vcc, s10, v18
	v_addc_co_u32_e32 v19, vcc, v32, v19, vcc
	global_load_dwordx2 v[26:27], v[16:17], off
	global_load_dwordx2 v[28:29], v[18:19], off
	s_waitcnt vmcnt(0)
	v_add_f64 v[26:27], v[26:27], -v[28:29]
	v_add_f64 v[2:3], v[2:3], -v[26:27]
	v_lshlrev_b64 v[26:27], 3, v[0:1]
	v_add_u32_e32 v0, s24, v0
	v_add_co_u32_e32 v28, vcc, s8, v26
	v_addc_co_u32_e32 v29, vcc, v31, v27, vcc
	v_add_co_u32_e32 v26, vcc, s10, v26
	v_addc_co_u32_e32 v27, vcc, v32, v27, vcc
	global_load_dwordx2 v[28:29], v[28:29], off
	s_nop 0
	global_load_dwordx2 v[26:27], v[26:27], off
	s_waitcnt vmcnt(0)
	v_add_f64 v[26:27], v[28:29], -v[26:27]
	v_add_f64 v[2:3], v[2:3], -v[26:27]
	v_lshlrev_b64 v[26:27], 3, v[0:1]
	v_add_u32_e32 v0, s24, v0
	v_add_co_u32_e32 v28, vcc, s8, v26
	v_addc_co_u32_e32 v29, vcc, v31, v27, vcc
	v_add_co_u32_e32 v26, vcc, s10, v26
	v_addc_co_u32_e32 v27, vcc, v32, v27, vcc
	global_load_dwordx2 v[28:29], v[28:29], off
	s_nop 0
	global_load_dwordx2 v[26:27], v[26:27], off
	s_waitcnt vmcnt(0)
	v_add_f64 v[26:27], v[28:29], -v[26:27]
	v_add_f64 v[2:3], v[2:3], -v[26:27]
	v_lshlrev_b64 v[26:27], 3, v[0:1]
	v_add_u32_e32 v0, s25, v0
	v_add_co_u32_e32 v28, vcc, s8, v26
	v_addc_co_u32_e32 v29, vcc, v31, v27, vcc
	v_add_co_u32_e32 v26, vcc, s10, v26
	v_addc_co_u32_e32 v27, vcc, v32, v27, vcc
	global_load_dwordx2 v[28:29], v[28:29], off
	s_nop 0
	global_load_dwordx2 v[26:27], v[26:27], off
	s_waitcnt vmcnt(0)
	v_add_f64 v[26:27], v[28:29], -v[26:27]
	v_add_f64 v[2:3], v[2:3], -v[26:27]
	v_lshlrev_b64 v[26:27], 3, v[0:1]
	v_add_u32_e32 v0, s28, v0
	v_add_co_u32_e32 v28, vcc, s8, v26
	v_addc_co_u32_e32 v29, vcc, v31, v27, vcc
	v_add_co_u32_e32 v26, vcc, s10, v26
	v_addc_co_u32_e32 v27, vcc, v32, v27, vcc
	global_load_dwordx2 v[28:29], v[28:29], off
	s_nop 0
	global_load_dwordx2 v[26:27], v[26:27], off
	s_waitcnt vmcnt(0)
	v_add_f64 v[26:27], v[28:29], -v[26:27]
	v_add_f64 v[2:3], v[2:3], v[26:27]
	v_lshlrev_b64 v[26:27], 3, v[0:1]
	v_add_u32_e32 v0, s24, v0
	v_add_co_u32_e32 v28, vcc, s8, v26
	v_addc_co_u32_e32 v29, vcc, v31, v27, vcc
	v_add_co_u32_e32 v26, vcc, s10, v26
	v_addc_co_u32_e32 v27, vcc, v32, v27, vcc
	global_load_dwordx2 v[28:29], v[28:29], off
	s_nop 0
	global_load_dwordx2 v[26:27], v[26:27], off
	s_waitcnt vmcnt(0)
	v_add_f64 v[26:27], v[28:29], -v[26:27]
	v_add_f64 v[2:3], v[2:3], v[26:27]
	v_lshlrev_b64 v[26:27], 3, v[0:1]
	v_add_u32_e32 v0, s26, v0
	v_add_co_u32_e32 v28, vcc, s8, v26
	v_addc_co_u32_e32 v29, vcc, v31, v27, vcc
	v_add_co_u32_e32 v26, vcc, s10, v26
	v_addc_co_u32_e32 v27, vcc, v32, v27, vcc
	global_load_dwordx2 v[28:29], v[28:29], off
	s_nop 0
	global_load_dwordx2 v[26:27], v[26:27], off
	s_waitcnt vmcnt(0)
	v_add_f64 v[26:27], v[28:29], -v[26:27]
	v_add_f64 v[2:3], v[2:3], v[26:27]
	v_lshlrev_b64 v[26:27], 3, v[0:1]
	v_add_u32_e32 v0, s0, v0
	v_add_co_u32_e32 v28, vcc, s8, v26
	v_addc_co_u32_e32 v29, vcc, v31, v27, vcc
	v_add_co_u32_e32 v26, vcc, s10, v26
	v_addc_co_u32_e32 v27, vcc, v32, v27, vcc
	global_load_dwordx2 v[28:29], v[28:29], off
	s_mul_i32 s0, s24, 10
	global_load_dwordx2 v[26:27], v[26:27], off
	s_waitcnt vmcnt(0)
	v_add_f64 v[26:27], v[28:29], -v[26:27]
	v_add_f64 v[2:3], v[2:3], v[26:27]
	v_lshlrev_b64 v[26:27], 3, v[0:1]
	v_add_u32_e32 v0, s1, v0
	v_add_co_u32_e32 v26, vcc, s12, v26
	v_addc_co_u32_e32 v27, vcc, v30, v27, vcc
	v_mul_f64 v[2:3], s[14:15], v[2:3]
	v_mul_f64 v[2:3], s[2:3], v[2:3]
	global_store_dwordx2 v[26:27], v[2:3], off
	v_lshlrev_b64 v[2:3], 3, v[0:1]
	v_add_u32_e32 v0, s24, v0
	v_add_co_u32_e32 v26, vcc, s8, v2
	v_addc_co_u32_e32 v27, vcc, v31, v3, vcc
	v_add_co_u32_e32 v2, vcc, s10, v2
	v_addc_co_u32_e32 v3, vcc, v32, v3, vcc
	global_load_dwordx2 v[26:27], v[26:27], off
	s_nop 0
	global_load_dwordx2 v[2:3], v[2:3], off
	s_waitcnt vmcnt(0)
	v_add_f64 v[2:3], v[26:27], -v[2:3]
	v_lshlrev_b64 v[26:27], 3, v[0:1]
	v_add_u32_e32 v0, s29, v0
	v_add_co_u32_e32 v28, vcc, s8, v26
	v_addc_co_u32_e32 v29, vcc, v31, v27, vcc
	v_add_co_u32_e32 v26, vcc, s10, v26
	v_addc_co_u32_e32 v27, vcc, v32, v27, vcc
	global_load_dwordx2 v[28:29], v[28:29], off
	s_nop 0
	global_load_dwordx2 v[26:27], v[26:27], off
	s_waitcnt vmcnt(0)
	v_add_f64 v[26:27], v[28:29], -v[26:27]
	v_lshlrev_b64 v[28:29], 3, v[0:1]
	v_add_u32_e32 v0, s0, v0
	v_add_f64 v[2:3], v[2:3], v[26:27]
	v_add_co_u32_e32 v26, vcc, s8, v28
	v_addc_co_u32_e32 v27, vcc, v31, v29, vcc
	v_add_co_u32_e32 v28, vcc, s10, v28
	v_addc_co_u32_e32 v29, vcc, v32, v29, vcc
	global_load_dwordx2 v[33:34], v[26:27], off
	global_load_dwordx2 v[35:36], v[28:29], off
	s_waitcnt vmcnt(0)
	v_add_f64 v[33:34], v[33:34], -v[35:36]
	v_add_f64 v[2:3], v[2:3], v[33:34]
	v_lshlrev_b64 v[33:34], 3, v[0:1]
	v_add_co_u32_e32 v35, vcc, s8, v33
	v_addc_co_u32_e32 v36, vcc, v31, v34, vcc
	v_add_co_u32_e32 v33, vcc, s10, v33
	v_addc_co_u32_e32 v34, vcc, v32, v34, vcc
	global_load_dwordx2 v[35:36], v[35:36], off
	s_nop 0
	global_load_dwordx2 v[33:34], v[33:34], off
	s_waitcnt vmcnt(0)
	v_add_f64 v[33:34], v[35:36], -v[33:34]
	v_add_f64 v[2:3], v[2:3], v[33:34]
	v_mad_u64_u32 v[33:34], s[2:3], s24, 27, v[0:1]
	v_mov_b32_e32 v34, v1
	s_mul_i32 s2, s24, 0xffffff50
	v_lshlrev_b64 v[34:35], 3, v[33:34]
	v_add_u32_e32 v0, s0, v33
	v_add_co_u32_e32 v36, vcc, s8, v34
	v_addc_co_u32_e32 v37, vcc, v31, v35, vcc
	v_add_co_u32_e32 v34, vcc, s10, v34
	v_addc_co_u32_e32 v35, vcc, v32, v35, vcc
	global_load_dwordx2 v[36:37], v[36:37], off
	s_mul_i32 s0, s24, 15
	global_load_dwordx2 v[34:35], v[34:35], off
	s_waitcnt vmcnt(0)
	v_add_f64 v[34:35], v[36:37], -v[34:35]
	v_add_f64 v[2:3], v[2:3], v[34:35]
	v_lshlrev_b64 v[33:34], 3, v[0:1]
	v_add_u32_e32 v0, s24, v0
	v_add_co_u32_e32 v35, vcc, s8, v33
	v_addc_co_u32_e32 v36, vcc, v31, v34, vcc
	v_add_co_u32_e32 v33, vcc, s10, v33
	v_addc_co_u32_e32 v34, vcc, v32, v34, vcc
	global_load_dwordx2 v[35:36], v[35:36], off
	s_nop 0
	global_load_dwordx2 v[33:34], v[33:34], off
	s_waitcnt vmcnt(0)
	v_add_f64 v[33:34], v[35:36], -v[33:34]
	v_add_f64 v[2:3], v[2:3], v[33:34]
	v_lshlrev_b64 v[33:34], 3, v[0:1]
	v_add_u32_e32 v0, s25, v0
	v_add_co_u32_e32 v35, vcc, s8, v33
	v_addc_co_u32_e32 v36, vcc, v31, v34, vcc
	v_add_co_u32_e32 v33, vcc, s10, v33
	v_addc_co_u32_e32 v34, vcc, v32, v34, vcc
	global_load_dwordx2 v[35:36], v[35:36], off
	s_nop 0
	;; [unrolled: 12-line block ×3, first 2 shown]
	global_load_dwordx2 v[33:34], v[33:34], off
	s_waitcnt vmcnt(0)
	v_add_f64 v[33:34], v[35:36], -v[33:34]
	v_add_f64 v[2:3], v[2:3], -v[33:34]
	v_lshlrev_b64 v[33:34], 3, v[0:1]
	v_add_u32_e32 v0, s24, v0
	v_add_co_u32_e32 v35, vcc, s8, v33
	v_addc_co_u32_e32 v36, vcc, v31, v34, vcc
	v_add_co_u32_e32 v33, vcc, s10, v33
	v_addc_co_u32_e32 v34, vcc, v32, v34, vcc
	global_load_dwordx2 v[35:36], v[35:36], off
	s_nop 0
	global_load_dwordx2 v[33:34], v[33:34], off
	s_waitcnt vmcnt(0)
	v_add_f64 v[33:34], v[35:36], -v[33:34]
	v_add_f64 v[2:3], v[2:3], -v[33:34]
	v_lshlrev_b64 v[33:34], 3, v[0:1]
	v_add_u32_e32 v0, s24, v0
	v_add_co_u32_e32 v35, vcc, s8, v33
	v_addc_co_u32_e32 v36, vcc, v31, v34, vcc
	v_add_co_u32_e32 v33, vcc, s10, v33
	v_addc_co_u32_e32 v34, vcc, v32, v34, vcc
	global_load_dwordx2 v[35:36], v[35:36], off
	s_nop 0
	;; [unrolled: 12-line block ×4, first 2 shown]
	global_load_dwordx2 v[33:34], v[33:34], off
	s_waitcnt vmcnt(0)
	v_add_f64 v[33:34], v[35:36], -v[33:34]
	v_add_f64 v[2:3], v[2:3], -v[33:34]
	;; [unrolled: 1-line block ×3, first 2 shown]
	v_lshlrev_b64 v[4:5], 3, v[0:1]
	v_add_u32_e32 v0, s24, v0
	v_add_co_u32_e32 v33, vcc, s8, v4
	v_addc_co_u32_e32 v34, vcc, v31, v5, vcc
	v_add_co_u32_e32 v4, vcc, s10, v4
	v_addc_co_u32_e32 v5, vcc, v32, v5, vcc
	global_load_dwordx2 v[33:34], v[33:34], off
	s_nop 0
	global_load_dwordx2 v[4:5], v[4:5], off
	s_waitcnt vmcnt(0)
	v_add_f64 v[4:5], v[33:34], -v[4:5]
	v_add_f64 v[2:3], v[2:3], -v[4:5]
	v_lshlrev_b64 v[4:5], 3, v[0:1]
	v_add_u32_e32 v0, s24, v0
	v_add_co_u32_e32 v33, vcc, s8, v4
	v_addc_co_u32_e32 v34, vcc, v31, v5, vcc
	v_add_co_u32_e32 v4, vcc, s10, v4
	v_addc_co_u32_e32 v5, vcc, v32, v5, vcc
	global_load_dwordx2 v[33:34], v[33:34], off
	s_nop 0
	global_load_dwordx2 v[4:5], v[4:5], off
	s_waitcnt vmcnt(0)
	v_add_f64 v[4:5], v[33:34], -v[4:5]
	v_add_f64 v[33:34], v[2:3], -v[4:5]
	v_lshlrev_b64 v[4:5], 3, v[0:1]
	v_add_u32_e32 v0, s24, v0
	v_add_co_u32_e32 v2, vcc, s8, v4
	v_addc_co_u32_e32 v3, vcc, v31, v5, vcc
	v_add_co_u32_e32 v4, vcc, s10, v4
	v_addc_co_u32_e32 v5, vcc, v32, v5, vcc
	global_load_dwordx2 v[35:36], v[2:3], off
	global_load_dwordx2 v[37:38], v[4:5], off
	s_waitcnt vmcnt(0)
	v_add_f64 v[35:36], v[35:36], -v[37:38]
	v_add_f64 v[33:34], v[33:34], -v[35:36]
	v_lshlrev_b64 v[35:36], 3, v[0:1]
	v_add_u32_e32 v0, s24, v0
	v_add_co_u32_e32 v37, vcc, s8, v35
	v_addc_co_u32_e32 v38, vcc, v31, v36, vcc
	v_add_co_u32_e32 v35, vcc, s10, v35
	v_addc_co_u32_e32 v36, vcc, v32, v36, vcc
	global_load_dwordx2 v[37:38], v[37:38], off
	s_nop 0
	global_load_dwordx2 v[35:36], v[35:36], off
	s_waitcnt vmcnt(0)
	v_add_f64 v[35:36], v[37:38], -v[35:36]
	v_add_f64 v[33:34], v[33:34], -v[35:36]
	v_lshlrev_b64 v[35:36], 3, v[0:1]
	v_add_u32_e32 v0, s24, v0
	v_add_co_u32_e32 v37, vcc, s8, v35
	v_addc_co_u32_e32 v38, vcc, v31, v36, vcc
	v_add_co_u32_e32 v35, vcc, s10, v35
	v_addc_co_u32_e32 v36, vcc, v32, v36, vcc
	global_load_dwordx2 v[37:38], v[37:38], off
	s_nop 0
	global_load_dwordx2 v[35:36], v[35:36], off
	s_waitcnt vmcnt(0)
	v_add_f64 v[35:36], v[37:38], -v[35:36]
	v_add_f64 v[33:34], v[33:34], -v[35:36]
	v_lshlrev_b64 v[35:36], 3, v[0:1]
	v_add_u32_e32 v0, s24, v0
	v_add_co_u32_e32 v37, vcc, s8, v35
	v_addc_co_u32_e32 v38, vcc, v31, v36, vcc
	v_add_co_u32_e32 v35, vcc, s10, v35
	v_addc_co_u32_e32 v36, vcc, v32, v36, vcc
	global_load_dwordx2 v[37:38], v[37:38], off
	s_nop 0
	global_load_dwordx2 v[35:36], v[35:36], off
	s_waitcnt vmcnt(0)
	v_add_f64 v[35:36], v[37:38], -v[35:36]
	v_add_f64 v[33:34], v[33:34], -v[35:36]
	v_lshlrev_b64 v[35:36], 3, v[0:1]
	v_add_u32_e32 v0, s24, v0
	v_add_co_u32_e32 v37, vcc, s8, v35
	v_addc_co_u32_e32 v38, vcc, v31, v36, vcc
	v_add_co_u32_e32 v35, vcc, s10, v35
	v_addc_co_u32_e32 v36, vcc, v32, v36, vcc
	global_load_dwordx2 v[37:38], v[37:38], off
	s_nop 0
	global_load_dwordx2 v[35:36], v[35:36], off
	s_waitcnt vmcnt(0)
	v_add_f64 v[35:36], v[37:38], -v[35:36]
	v_add_f64 v[33:34], v[33:34], -v[35:36]
	v_lshlrev_b64 v[35:36], 3, v[0:1]
	v_add_u32_e32 v0, s24, v0
	v_add_co_u32_e32 v37, vcc, s8, v35
	v_addc_co_u32_e32 v38, vcc, v31, v36, vcc
	v_add_co_u32_e32 v35, vcc, s10, v35
	v_addc_co_u32_e32 v36, vcc, v32, v36, vcc
	global_load_dwordx2 v[37:38], v[37:38], off
	s_nop 0
	global_load_dwordx2 v[35:36], v[35:36], off
	s_waitcnt vmcnt(0)
	v_add_f64 v[35:36], v[37:38], -v[35:36]
	v_add_f64 v[33:34], v[33:34], -v[35:36]
	v_lshlrev_b64 v[35:36], 3, v[0:1]
	v_add_u32_e32 v0, s9, v0
	v_add_co_u32_e32 v37, vcc, s8, v35
	v_addc_co_u32_e32 v38, vcc, v31, v36, vcc
	v_add_co_u32_e32 v35, vcc, s10, v35
	v_addc_co_u32_e32 v36, vcc, v32, v36, vcc
	global_load_dwordx2 v[37:38], v[37:38], off
	s_nop 0
	global_load_dwordx2 v[35:36], v[35:36], off
	s_waitcnt vmcnt(0)
	v_add_f64 v[35:36], v[37:38], -v[35:36]
	v_add_f64 v[33:34], v[33:34], -v[35:36]
	v_lshlrev_b64 v[35:36], 3, v[0:1]
	v_add_u32_e32 v0, s29, v0
	v_add_co_u32_e32 v37, vcc, s8, v35
	v_addc_co_u32_e32 v38, vcc, v31, v36, vcc
	v_add_co_u32_e32 v35, vcc, s10, v35
	v_addc_co_u32_e32 v36, vcc, v32, v36, vcc
	global_load_dwordx2 v[37:38], v[37:38], off
	s_nop 0
	global_load_dwordx2 v[35:36], v[35:36], off
	s_waitcnt vmcnt(0)
	v_add_f64 v[35:36], v[37:38], -v[35:36]
	v_add_f64 v[33:34], v[33:34], v[35:36]
	v_lshlrev_b64 v[35:36], 3, v[0:1]
	v_add_u32_e32 v0, s9, v0
	v_add_co_u32_e32 v37, vcc, s8, v35
	v_addc_co_u32_e32 v38, vcc, v31, v36, vcc
	v_add_co_u32_e32 v35, vcc, s10, v35
	v_addc_co_u32_e32 v36, vcc, v32, v36, vcc
	global_load_dwordx2 v[37:38], v[37:38], off
	s_nop 0
	global_load_dwordx2 v[35:36], v[35:36], off
	s_waitcnt vmcnt(0)
	v_add_f64 v[35:36], v[37:38], -v[35:36]
	v_add_f64 v[33:34], v[33:34], v[35:36]
	v_lshlrev_b64 v[35:36], 3, v[0:1]
	v_add_u32_e32 v0, s0, v0
	v_add_co_u32_e32 v37, vcc, s8, v35
	v_addc_co_u32_e32 v38, vcc, v31, v36, vcc
	v_add_co_u32_e32 v35, vcc, s10, v35
	v_addc_co_u32_e32 v36, vcc, v32, v36, vcc
	global_load_dwordx2 v[37:38], v[37:38], off
	s_nop 0
	global_load_dwordx2 v[35:36], v[35:36], off
	s_waitcnt vmcnt(0)
	v_add_f64 v[35:36], v[37:38], -v[35:36]
	v_add_f64 v[33:34], v[33:34], v[35:36]
	v_lshlrev_b64 v[35:36], 3, v[0:1]
	v_add_u32_e32 v0, s2, v0
	v_add_co_u32_e32 v37, vcc, s8, v35
	v_addc_co_u32_e32 v38, vcc, v31, v36, vcc
	v_add_co_u32_e32 v35, vcc, s10, v35
	v_addc_co_u32_e32 v36, vcc, v32, v36, vcc
	global_load_dwordx2 v[37:38], v[37:38], off
	s_mul_i32 s2, s24, 0x4e
	global_load_dwordx2 v[35:36], v[35:36], off
	s_waitcnt vmcnt(0)
	v_add_f64 v[35:36], v[37:38], -v[35:36]
	v_add_f64 v[33:34], v[33:34], v[35:36]
	v_lshlrev_b64 v[35:36], 3, v[0:1]
	v_add_u32_e32 v0, s2, v0
	v_add_co_u32_e32 v35, vcc, s12, v35
	v_addc_co_u32_e32 v36, vcc, v30, v36, vcc
	v_mul_f64 v[33:34], s[14:15], v[33:34]
	v_mul_f64 v[33:34], s[4:5], v[33:34]
	global_store_dwordx2 v[35:36], v[33:34], off
	v_lshlrev_b64 v[33:34], 3, v[0:1]
	v_add_u32_e32 v0, s1, v0
	v_add_co_u32_e32 v35, vcc, s8, v33
	v_addc_co_u32_e32 v36, vcc, v31, v34, vcc
	v_add_co_u32_e32 v33, vcc, s10, v33
	v_addc_co_u32_e32 v34, vcc, v32, v34, vcc
	global_load_dwordx2 v[35:36], v[35:36], off
	s_mul_i32 s1, s24, 0xffffff58
	global_load_dwordx2 v[33:34], v[33:34], off
	s_waitcnt vmcnt(0)
	v_add_f64 v[33:34], v[35:36], -v[33:34]
	v_lshlrev_b64 v[35:36], 3, v[0:1]
	v_add_u32_e32 v0, s11, v0
	v_add_co_u32_e32 v37, vcc, s8, v35
	v_addc_co_u32_e32 v38, vcc, v31, v36, vcc
	v_add_co_u32_e32 v35, vcc, s10, v35
	v_addc_co_u32_e32 v36, vcc, v32, v36, vcc
	global_load_dwordx2 v[37:38], v[37:38], off
	s_nop 0
	global_load_dwordx2 v[35:36], v[35:36], off
	s_waitcnt vmcnt(0)
	v_add_f64 v[35:36], v[37:38], -v[35:36]
	v_add_f64 v[33:34], v[33:34], v[35:36]
	v_lshlrev_b64 v[35:36], 3, v[0:1]
	v_add_u32_e32 v0, s29, v0
	v_add_co_u32_e32 v37, vcc, s8, v35
	v_addc_co_u32_e32 v38, vcc, v31, v36, vcc
	v_add_co_u32_e32 v35, vcc, s10, v35
	v_addc_co_u32_e32 v36, vcc, v32, v36, vcc
	global_load_dwordx2 v[37:38], v[37:38], off
	s_nop 0
	global_load_dwordx2 v[35:36], v[35:36], off
	s_waitcnt vmcnt(0)
	v_add_f64 v[35:36], v[37:38], -v[35:36]
	v_add_f64 v[33:34], v[33:34], v[35:36]
	;; [unrolled: 12-line block ×4, first 2 shown]
	v_lshlrev_b64 v[35:36], 3, v[0:1]
	v_add_u32_e32 v0, s24, v0
	v_add_co_u32_e32 v37, vcc, s8, v35
	v_addc_co_u32_e32 v38, vcc, v31, v36, vcc
	v_add_co_u32_e32 v35, vcc, s10, v35
	v_addc_co_u32_e32 v36, vcc, v32, v36, vcc
	global_load_dwordx2 v[37:38], v[37:38], off
	s_nop 0
	global_load_dwordx2 v[35:36], v[35:36], off
	s_waitcnt vmcnt(0)
	v_add_f64 v[35:36], v[37:38], -v[35:36]
	v_add_f64 v[33:34], v[33:34], -v[35:36]
	v_lshlrev_b64 v[35:36], 3, v[0:1]
	v_add_u32_e32 v0, s24, v0
	v_add_co_u32_e32 v37, vcc, s8, v35
	v_addc_co_u32_e32 v38, vcc, v31, v36, vcc
	v_add_co_u32_e32 v35, vcc, s10, v35
	v_addc_co_u32_e32 v36, vcc, v32, v36, vcc
	global_load_dwordx2 v[37:38], v[37:38], off
	s_nop 0
	global_load_dwordx2 v[35:36], v[35:36], off
	s_waitcnt vmcnt(0)
	v_add_f64 v[35:36], v[37:38], -v[35:36]
	v_add_f64 v[33:34], v[33:34], -v[35:36]
	;; [unrolled: 12-line block ×4, first 2 shown]
	v_lshlrev_b64 v[35:36], 3, v[0:1]
	v_add_u32_e32 v0, s1, v0
	v_add_co_u32_e32 v37, vcc, s8, v35
	v_addc_co_u32_e32 v38, vcc, v31, v36, vcc
	v_add_co_u32_e32 v35, vcc, s10, v35
	v_addc_co_u32_e32 v36, vcc, v32, v36, vcc
	global_load_dwordx2 v[37:38], v[37:38], off
	s_mul_i32 s1, s24, 0x45
	global_load_dwordx2 v[35:36], v[35:36], off
	s_waitcnt vmcnt(0)
	v_add_f64 v[35:36], v[37:38], -v[35:36]
	v_add_f64 v[33:34], v[33:34], -v[35:36]
	v_lshlrev_b64 v[35:36], 3, v[0:1]
	v_add_co_u32_e32 v35, vcc, s12, v35
	v_addc_co_u32_e32 v36, vcc, v30, v36, vcc
	v_mul_f64 v[33:34], s[14:15], v[33:34]
	v_mul_f64 v[33:34], s[6:7], v[33:34]
	global_store_dwordx2 v[35:36], v[33:34], off
	v_mad_u64_u32 v[33:34], s[2:3], s24, 23, v[0:1]
	v_mov_b32_e32 v34, v1
	v_lshlrev_b64 v[34:35], 3, v[33:34]
	v_add_u32_e32 v0, s1, v33
	v_add_co_u32_e32 v36, vcc, s8, v34
	v_addc_co_u32_e32 v37, vcc, v31, v35, vcc
	v_add_co_u32_e32 v34, vcc, s10, v34
	v_addc_co_u32_e32 v35, vcc, v32, v35, vcc
	global_load_dwordx2 v[36:37], v[36:37], off
	s_mul_i32 s1, s24, 0xffffff8e
	global_load_dwordx2 v[34:35], v[34:35], off
	s_nop 0
	global_load_dwordx2 v[26:27], v[26:27], off
	s_nop 0
	global_load_dwordx2 v[28:29], v[28:29], off
	s_waitcnt vmcnt(2)
	v_add_f64 v[34:35], v[36:37], -v[34:35]
	s_waitcnt vmcnt(0)
	v_add_f64 v[26:27], v[26:27], -v[28:29]
	v_lshlrev_b64 v[28:29], 3, v[0:1]
	v_add_u32_e32 v0, s24, v0
	v_add_co_u32_e32 v33, vcc, s8, v28
	v_add_f64 v[26:27], v[34:35], -v[26:27]
	v_addc_co_u32_e32 v34, vcc, v31, v29, vcc
	v_add_co_u32_e32 v28, vcc, s10, v28
	v_addc_co_u32_e32 v29, vcc, v32, v29, vcc
	global_load_dwordx2 v[33:34], v[33:34], off
	s_nop 0
	global_load_dwordx2 v[28:29], v[28:29], off
	s_waitcnt vmcnt(0)
	v_add_f64 v[28:29], v[33:34], -v[28:29]
	v_add_f64 v[26:27], v[26:27], -v[28:29]
	v_lshlrev_b64 v[28:29], 3, v[0:1]
	v_add_u32_e32 v0, s24, v0
	v_add_co_u32_e32 v33, vcc, s8, v28
	v_addc_co_u32_e32 v34, vcc, v31, v29, vcc
	v_add_co_u32_e32 v28, vcc, s10, v28
	v_addc_co_u32_e32 v29, vcc, v32, v29, vcc
	global_load_dwordx2 v[33:34], v[33:34], off
	s_nop 0
	global_load_dwordx2 v[28:29], v[28:29], off
	s_waitcnt vmcnt(0)
	v_add_f64 v[28:29], v[33:34], -v[28:29]
	v_add_f64 v[26:27], v[26:27], -v[28:29]
	v_lshlrev_b64 v[28:29], 3, v[0:1]
	v_add_u32_e32 v0, s9, v0
	v_add_co_u32_e32 v33, vcc, s8, v28
	v_addc_co_u32_e32 v34, vcc, v31, v29, vcc
	v_add_co_u32_e32 v28, vcc, s10, v28
	v_addc_co_u32_e32 v29, vcc, v32, v29, vcc
	global_load_dwordx2 v[33:34], v[33:34], off
	s_nop 0
	global_load_dwordx2 v[28:29], v[28:29], off
	s_nop 0
	;; [unrolled: 2-line block ×3, first 2 shown]
	global_load_dwordx2 v[20:21], v[20:21], off
	s_waitcnt vmcnt(2)
	v_add_f64 v[28:29], v[33:34], -v[28:29]
	s_waitcnt vmcnt(0)
	v_add_f64 v[10:11], v[10:11], -v[20:21]
	v_lshlrev_b64 v[20:21], 3, v[0:1]
	v_add_u32_e32 v0, s0, v0
	v_add_f64 v[26:27], v[26:27], -v[28:29]
	v_add_f64 v[10:11], v[26:27], -v[10:11]
	v_add_co_u32_e32 v26, vcc, s8, v20
	v_addc_co_u32_e32 v27, vcc, v31, v21, vcc
	v_add_co_u32_e32 v20, vcc, s10, v20
	v_addc_co_u32_e32 v21, vcc, v32, v21, vcc
	global_load_dwordx2 v[26:27], v[26:27], off
	s_nop 0
	global_load_dwordx2 v[20:21], v[20:21], off
	s_nop 0
	;; [unrolled: 2-line block ×3, first 2 shown]
	global_load_dwordx2 v[8:9], v[8:9], off
	s_waitcnt vmcnt(2)
	v_add_f64 v[20:21], v[26:27], -v[20:21]
	s_waitcnt vmcnt(0)
	v_add_f64 v[6:7], v[6:7], -v[8:9]
	v_add_f64 v[10:11], v[10:11], -v[20:21]
	;; [unrolled: 1-line block ×4, first 2 shown]
	global_load_dwordx2 v[8:9], v[22:23], off
	global_load_dwordx2 v[10:11], v[24:25], off
	s_waitcnt vmcnt(0)
	v_add_f64 v[8:9], v[8:9], -v[10:11]
	v_add_f64 v[6:7], v[6:7], v[8:9]
	v_lshlrev_b64 v[8:9], 3, v[0:1]
	v_add_u32_e32 v0, s9, v0
	v_add_co_u32_e32 v10, vcc, s8, v8
	v_addc_co_u32_e32 v11, vcc, v31, v9, vcc
	v_add_co_u32_e32 v8, vcc, s10, v8
	v_addc_co_u32_e32 v9, vcc, v32, v9, vcc
	global_load_dwordx2 v[10:11], v[10:11], off
	s_nop 0
	global_load_dwordx2 v[8:9], v[8:9], off
	s_waitcnt vmcnt(0)
	v_add_f64 v[10:11], v[10:11], -v[8:9]
	v_lshlrev_b64 v[8:9], 3, v[0:1]
	v_add_u32_e32 v0, s9, v0
	v_add_co_u32_e32 v20, vcc, s8, v8
	v_addc_co_u32_e32 v21, vcc, v31, v9, vcc
	v_add_co_u32_e32 v8, vcc, s10, v8
	v_addc_co_u32_e32 v9, vcc, v32, v9, vcc
	global_load_dwordx2 v[20:21], v[20:21], off
	v_add_f64 v[6:7], v[6:7], v[10:11]
	global_load_dwordx2 v[8:9], v[8:9], off
	s_waitcnt vmcnt(0)
	v_add_f64 v[8:9], v[20:21], -v[8:9]
	v_add_f64 v[20:21], v[6:7], v[8:9]
	v_lshlrev_b64 v[6:7], 3, v[0:1]
	v_add_u32_e32 v0, s1, v0
	v_add_co_u32_e32 v22, vcc, s8, v6
	v_addc_co_u32_e32 v23, vcc, v31, v7, vcc
	v_add_co_u32_e32 v6, vcc, s10, v6
	v_addc_co_u32_e32 v7, vcc, v32, v7, vcc
	global_load_dwordx2 v[22:23], v[22:23], off
	s_mul_i32 s1, s24, 0x44
	global_load_dwordx2 v[6:7], v[6:7], off
	s_waitcnt vmcnt(0)
	v_add_f64 v[6:7], v[22:23], -v[6:7]
	v_lshlrev_b64 v[22:23], 3, v[0:1]
	v_add_u32_e32 v0, s27, v0
	v_add_co_u32_e32 v22, vcc, s12, v22
	v_addc_co_u32_e32 v23, vcc, v30, v23, vcc
	v_add_f64 v[20:21], v[20:21], v[6:7]
	v_mul_f64 v[20:21], s[14:15], v[20:21]
	v_mul_f64 v[20:21], s[16:17], v[20:21]
	global_store_dwordx2 v[22:23], v[20:21], off
	v_lshlrev_b64 v[20:21], 3, v[0:1]
	v_add_u32_e32 v0, s1, v0
	v_add_co_u32_e32 v22, vcc, s8, v20
	v_addc_co_u32_e32 v23, vcc, v31, v21, vcc
	v_add_co_u32_e32 v20, vcc, s10, v20
	v_addc_co_u32_e32 v21, vcc, v32, v21, vcc
	global_load_dwordx2 v[22:23], v[22:23], off
	s_nop 0
	global_load_dwordx2 v[20:21], v[20:21], off
	s_waitcnt vmcnt(0)
	v_add_f64 v[20:21], v[22:23], -v[20:21]
	global_load_dwordx2 v[22:23], v[12:13], off
	global_load_dwordx2 v[24:25], v[14:15], off
	s_waitcnt vmcnt(0)
	v_add_f64 v[12:13], v[22:23], -v[24:25]
	v_add_f64 v[12:13], v[20:21], v[12:13]
	global_load_dwordx2 v[14:15], v[16:17], off
	global_load_dwordx2 v[20:21], v[18:19], off
	s_waitcnt vmcnt(0)
	v_add_f64 v[14:15], v[14:15], -v[20:21]
	v_add_f64 v[12:13], v[12:13], v[14:15]
	v_lshlrev_b64 v[14:15], 3, v[0:1]
	v_add_u32_e32 v0, s9, v0
	v_add_co_u32_e32 v16, vcc, s8, v14
	v_addc_co_u32_e32 v17, vcc, v31, v15, vcc
	v_add_co_u32_e32 v14, vcc, s10, v14
	v_addc_co_u32_e32 v15, vcc, v32, v15, vcc
	global_load_dwordx2 v[16:17], v[16:17], off
	s_nop 0
	global_load_dwordx2 v[14:15], v[14:15], off
	s_waitcnt vmcnt(0)
	v_add_f64 v[14:15], v[16:17], -v[14:15]
	v_add_f64 v[12:13], v[12:13], v[14:15]
	v_lshlrev_b64 v[14:15], 3, v[0:1]
	v_add_u32_e32 v0, s9, v0
	v_add_co_u32_e32 v16, vcc, s8, v14
	v_addc_co_u32_e32 v17, vcc, v31, v15, vcc
	v_add_co_u32_e32 v14, vcc, s10, v14
	v_addc_co_u32_e32 v15, vcc, v32, v15, vcc
	global_load_dwordx2 v[16:17], v[16:17], off
	s_nop 0
	global_load_dwordx2 v[14:15], v[14:15], off
	s_waitcnt vmcnt(0)
	v_add_f64 v[14:15], v[16:17], -v[14:15]
	v_add_f64 v[12:13], v[12:13], -v[14:15]
	v_add_f64 v[10:11], v[12:13], -v[10:11]
	v_lshlrev_b64 v[12:13], 3, v[0:1]
	v_add_u32_e32 v0, s9, v0
	v_add_co_u32_e32 v14, vcc, s8, v12
	v_addc_co_u32_e32 v15, vcc, v31, v13, vcc
	v_add_co_u32_e32 v12, vcc, s10, v12
	v_addc_co_u32_e32 v13, vcc, v32, v13, vcc
	global_load_dwordx2 v[14:15], v[14:15], off
	s_nop 0
	global_load_dwordx2 v[12:13], v[12:13], off
	s_waitcnt vmcnt(0)
	v_add_f64 v[12:13], v[14:15], -v[12:13]
	v_add_f64 v[10:11], v[10:11], -v[12:13]
	v_add_f64 v[8:9], v[10:11], -v[8:9]
	;; [unrolled: 13-line block ×3, first 2 shown]
	v_lshlrev_b64 v[8:9], 3, v[0:1]
	v_add_u32_e32 v0, s0, v0
	v_add_co_u32_e32 v10, vcc, s8, v8
	v_addc_co_u32_e32 v11, vcc, v31, v9, vcc
	v_add_co_u32_e32 v8, vcc, s10, v8
	v_addc_co_u32_e32 v9, vcc, v32, v9, vcc
	global_load_dwordx2 v[10:11], v[10:11], off
	s_nop 0
	global_load_dwordx2 v[8:9], v[8:9], off
	s_waitcnt vmcnt(0)
	v_add_f64 v[8:9], v[10:11], -v[8:9]
	v_add_f64 v[6:7], v[6:7], v[8:9]
	v_lshlrev_b64 v[8:9], 3, v[0:1]
	v_add_u32_e32 v0, s24, v0
	v_add_co_u32_e32 v10, vcc, s8, v8
	v_addc_co_u32_e32 v11, vcc, v31, v9, vcc
	v_add_co_u32_e32 v8, vcc, s10, v8
	v_addc_co_u32_e32 v9, vcc, v32, v9, vcc
	global_load_dwordx2 v[10:11], v[10:11], off
	s_nop 0
	global_load_dwordx2 v[8:9], v[8:9], off
	s_waitcnt vmcnt(0)
	v_add_f64 v[8:9], v[10:11], -v[8:9]
	v_add_f64 v[6:7], v[6:7], v[8:9]
	v_lshlrev_b64 v[8:9], 3, v[0:1]
	v_add_u32_e32 v0, s24, v0
	v_add_co_u32_e32 v10, vcc, s8, v8
	v_addc_co_u32_e32 v11, vcc, v31, v9, vcc
	v_add_co_u32_e32 v8, vcc, s10, v8
	v_addc_co_u32_e32 v9, vcc, v32, v9, vcc
	global_load_dwordx2 v[10:11], v[10:11], off
	s_nop 0
	global_load_dwordx2 v[8:9], v[8:9], off
	s_waitcnt vmcnt(0)
	v_add_f64 v[8:9], v[10:11], -v[8:9]
	v_add_f64 v[6:7], v[6:7], v[8:9]
	v_lshlrev_b64 v[8:9], 3, v[0:1]
	v_add_u32_e32 v0, s24, v0
	v_add_co_u32_e32 v10, vcc, s8, v8
	v_addc_co_u32_e32 v11, vcc, v31, v9, vcc
	v_add_co_u32_e32 v8, vcc, s10, v8
	v_addc_co_u32_e32 v9, vcc, v32, v9, vcc
	global_load_dwordx2 v[10:11], v[10:11], off
	s_nop 0
	global_load_dwordx2 v[8:9], v[8:9], off
	s_waitcnt vmcnt(0)
	v_add_f64 v[8:9], v[10:11], -v[8:9]
	v_add_f64 v[6:7], v[6:7], v[8:9]
	v_lshlrev_b64 v[8:9], 3, v[0:1]
	v_add_co_u32_e32 v10, vcc, s8, v8
	v_addc_co_u32_e32 v11, vcc, v31, v9, vcc
	v_add_co_u32_e32 v8, vcc, s10, v8
	v_addc_co_u32_e32 v9, vcc, v32, v9, vcc
	global_load_dwordx2 v[10:11], v[10:11], off
	s_nop 0
	global_load_dwordx2 v[8:9], v[8:9], off
	s_waitcnt vmcnt(0)
	v_add_f64 v[8:9], v[10:11], -v[8:9]
	v_add_f64 v[6:7], v[6:7], v[8:9]
	v_mad_u64_u32 v[8:9], s[0:1], s24, 40, v[0:1]
	v_mov_b32_e32 v9, v1
	s_mul_i32 s0, s24, 0xffffff51
	v_lshlrev_b64 v[9:10], 3, v[8:9]
	v_add_u32_e32 v0, s0, v8
	v_add_co_u32_e32 v11, vcc, s8, v9
	v_addc_co_u32_e32 v12, vcc, v31, v10, vcc
	v_add_co_u32_e32 v9, vcc, s10, v9
	v_addc_co_u32_e32 v10, vcc, v32, v10, vcc
	global_load_dwordx2 v[11:12], v[11:12], off
	s_mul_i32 s0, s24, 0x47
	global_load_dwordx2 v[9:10], v[9:10], off
	s_waitcnt vmcnt(0)
	v_add_f64 v[9:10], v[11:12], -v[9:10]
	v_add_f64 v[6:7], v[6:7], v[9:10]
	v_lshlrev_b64 v[8:9], 3, v[0:1]
	v_add_u32_e32 v0, s0, v0
	v_add_co_u32_e32 v8, vcc, s12, v8
	v_addc_co_u32_e32 v9, vcc, v30, v9, vcc
	v_mul_f64 v[6:7], s[14:15], v[6:7]
	v_mul_f64 v[6:7], s[18:19], v[6:7]
	global_store_dwordx2 v[8:9], v[6:7], off
	v_lshlrev_b64 v[6:7], 3, v[0:1]
	v_add_co_u32_e32 v8, vcc, s8, v6
	v_addc_co_u32_e32 v9, vcc, v31, v7, vcc
	v_add_co_u32_e32 v6, vcc, s10, v6
	v_addc_co_u32_e32 v7, vcc, v32, v7, vcc
	global_load_dwordx2 v[8:9], v[8:9], off
	s_nop 0
	global_load_dwordx2 v[6:7], v[6:7], off
	s_waitcnt vmcnt(0)
	v_add_f64 v[8:9], v[8:9], -v[6:7]
	v_mad_u64_u32 v[6:7], s[0:1], s24, 59, v[0:1]
	v_mov_b32_e32 v7, v1
	v_lshlrev_b64 v[10:11], 3, v[6:7]
	v_add_co_u32_e32 v12, vcc, s8, v10
	v_addc_co_u32_e32 v13, vcc, v31, v11, vcc
	v_add_co_u32_e32 v10, vcc, s10, v10
	v_addc_co_u32_e32 v11, vcc, v32, v11, vcc
	global_load_dwordx2 v[12:13], v[12:13], off
	s_nop 0
	global_load_dwordx2 v[10:11], v[10:11], off
	s_waitcnt vmcnt(0)
	v_add_f64 v[10:11], v[12:13], -v[10:11]
	v_add_f64 v[7:8], v[8:9], v[10:11]
	global_load_dwordx2 v[9:10], v[2:3], off
	global_load_dwordx2 v[11:12], v[4:5], off
	v_mad_u64_u32 v[4:5], s[0:1], s24, 25, v[6:7]
	v_mov_b32_e32 v5, v1
	s_mulk_i32 s24, 0xff66
	v_add_u32_e32 v0, s24, v4
	v_lshlrev_b64 v[0:1], 3, v[0:1]
	s_waitcnt vmcnt(0)
	v_add_f64 v[2:3], v[9:10], -v[11:12]
	v_add_f64 v[2:3], v[7:8], v[2:3]
	v_lshlrev_b64 v[7:8], 3, v[4:5]
	v_add_co_u32_e32 v5, vcc, s8, v7
	v_addc_co_u32_e32 v6, vcc, v31, v8, vcc
	v_add_co_u32_e32 v7, vcc, s10, v7
	v_addc_co_u32_e32 v8, vcc, v32, v8, vcc
	global_load_dwordx2 v[5:6], v[5:6], off
	v_add_co_u32_e32 v0, vcc, s12, v0
	global_load_dwordx2 v[7:8], v[7:8], off
	v_addc_co_u32_e32 v1, vcc, v30, v1, vcc
	s_waitcnt vmcnt(0)
	v_add_f64 v[5:6], v[5:6], -v[7:8]
	v_add_f64 v[2:3], v[2:3], v[5:6]
	v_mul_f64 v[2:3], s[14:15], v[2:3]
	v_mul_f64 v[2:3], s[20:21], v[2:3]
	global_store_dwordx2 v[0:1], v[2:3], off
	s_endpgm
	.section	.rodata,"a",@progbits
	.p2align	6, 0x0
	.amdhsa_kernel _Z14rdwdot3_kernelIdEvPKT_S2_PS0_S0_S2_
		.amdhsa_group_segment_fixed_size 0
		.amdhsa_private_segment_fixed_size 0
		.amdhsa_kernarg_size 296
		.amdhsa_user_sgpr_count 6
		.amdhsa_user_sgpr_private_segment_buffer 1
		.amdhsa_user_sgpr_dispatch_ptr 0
		.amdhsa_user_sgpr_queue_ptr 0
		.amdhsa_user_sgpr_kernarg_segment_ptr 1
		.amdhsa_user_sgpr_dispatch_id 0
		.amdhsa_user_sgpr_flat_scratch_init 0
		.amdhsa_user_sgpr_private_segment_size 0
		.amdhsa_uses_dynamic_stack 0
		.amdhsa_system_sgpr_private_segment_wavefront_offset 0
		.amdhsa_system_sgpr_workgroup_id_x 1
		.amdhsa_system_sgpr_workgroup_id_y 0
		.amdhsa_system_sgpr_workgroup_id_z 0
		.amdhsa_system_sgpr_workgroup_info 0
		.amdhsa_system_vgpr_workitem_id 0
		.amdhsa_next_free_vgpr 39
		.amdhsa_next_free_sgpr 30
		.amdhsa_reserve_vcc 1
		.amdhsa_reserve_flat_scratch 0
		.amdhsa_float_round_mode_32 0
		.amdhsa_float_round_mode_16_64 0
		.amdhsa_float_denorm_mode_32 3
		.amdhsa_float_denorm_mode_16_64 3
		.amdhsa_dx10_clamp 1
		.amdhsa_ieee_mode 1
		.amdhsa_fp16_overflow 0
		.amdhsa_exception_fp_ieee_invalid_op 0
		.amdhsa_exception_fp_denorm_src 0
		.amdhsa_exception_fp_ieee_div_zero 0
		.amdhsa_exception_fp_ieee_overflow 0
		.amdhsa_exception_fp_ieee_underflow 0
		.amdhsa_exception_fp_ieee_inexact 0
		.amdhsa_exception_int_div_zero 0
	.end_amdhsa_kernel
	.section	.text._Z14rdwdot3_kernelIdEvPKT_S2_PS0_S0_S2_,"axG",@progbits,_Z14rdwdot3_kernelIdEvPKT_S2_PS0_S0_S2_,comdat
.Lfunc_end48:
	.size	_Z14rdwdot3_kernelIdEvPKT_S2_PS0_S0_S2_, .Lfunc_end48-_Z14rdwdot3_kernelIdEvPKT_S2_PS0_S0_S2_
                                        ; -- End function
	.set _Z14rdwdot3_kernelIdEvPKT_S2_PS0_S0_S2_.num_vgpr, 39
	.set _Z14rdwdot3_kernelIdEvPKT_S2_PS0_S0_S2_.num_agpr, 0
	.set _Z14rdwdot3_kernelIdEvPKT_S2_PS0_S0_S2_.numbered_sgpr, 30
	.set _Z14rdwdot3_kernelIdEvPKT_S2_PS0_S0_S2_.num_named_barrier, 0
	.set _Z14rdwdot3_kernelIdEvPKT_S2_PS0_S0_S2_.private_seg_size, 0
	.set _Z14rdwdot3_kernelIdEvPKT_S2_PS0_S0_S2_.uses_vcc, 1
	.set _Z14rdwdot3_kernelIdEvPKT_S2_PS0_S0_S2_.uses_flat_scratch, 0
	.set _Z14rdwdot3_kernelIdEvPKT_S2_PS0_S0_S2_.has_dyn_sized_stack, 0
	.set _Z14rdwdot3_kernelIdEvPKT_S2_PS0_S0_S2_.has_recursion, 0
	.set _Z14rdwdot3_kernelIdEvPKT_S2_PS0_S0_S2_.has_indirect_call, 0
	.section	.AMDGPU.csdata,"",@progbits
; Kernel info:
; codeLenInByte = 7832
; TotalNumSgprs: 34
; NumVgprs: 39
; ScratchSize: 0
; MemoryBound: 0
; FloatMode: 240
; IeeeMode: 1
; LDSByteSize: 0 bytes/workgroup (compile time only)
; SGPRBlocks: 4
; VGPRBlocks: 9
; NumSGPRsForWavesPerEU: 34
; NumVGPRsForWavesPerEU: 39
; Occupancy: 6
; WaveLimiterHint : 0
; COMPUTE_PGM_RSRC2:SCRATCH_EN: 0
; COMPUTE_PGM_RSRC2:USER_SGPR: 6
; COMPUTE_PGM_RSRC2:TRAP_HANDLER: 0
; COMPUTE_PGM_RSRC2:TGID_X_EN: 1
; COMPUTE_PGM_RSRC2:TGID_Y_EN: 0
; COMPUTE_PGM_RSRC2:TGID_Z_EN: 0
; COMPUTE_PGM_RSRC2:TIDIG_COMP_CNT: 0
	.section	.text._Z14rdwdot6_kernelIdEvPKT_S2_PS0_S0_S2_,"axG",@progbits,_Z14rdwdot6_kernelIdEvPKT_S2_PS0_S0_S2_,comdat
	.protected	_Z14rdwdot6_kernelIdEvPKT_S2_PS0_S0_S2_ ; -- Begin function _Z14rdwdot6_kernelIdEvPKT_S2_PS0_S0_S2_
	.globl	_Z14rdwdot6_kernelIdEvPKT_S2_PS0_S0_S2_
	.p2align	8
	.type	_Z14rdwdot6_kernelIdEvPKT_S2_PS0_S0_S2_,@function
_Z14rdwdot6_kernelIdEvPKT_S2_PS0_S0_S2_: ; @_Z14rdwdot6_kernelIdEvPKT_S2_PS0_S0_S2_
; %bb.0:
	s_load_dwordx8 s[8:15], s[4:5], 0x0
	s_load_dwordx2 s[16:17], s[4:5], 0x20
	s_load_dword s0, s[4:5], 0x28
	s_load_dword s1, s[4:5], 0x34
	v_mov_b32_e32 v1, 0
	s_waitcnt lgkmcnt(0)
	v_mov_b32_e32 v14, s9
	v_mov_b32_e32 v15, s11
	s_and_b32 s1, s1, 0xffff
	s_mul_i32 s4, s0, s1
	s_mul_i32 s0, s4, 28
	;; [unrolled: 1-line block ×3, first 2 shown]
	s_add_i32 s0, s0, s6
	v_add_u32_e32 v0, s0, v0
	v_lshlrev_b64 v[2:3], 3, v[0:1]
	v_add_u32_e32 v0, s4, v0
	v_add_co_u32_e32 v4, vcc, s8, v2
	v_addc_co_u32_e32 v5, vcc, v14, v3, vcc
	v_add_co_u32_e32 v2, vcc, s10, v2
	v_addc_co_u32_e32 v3, vcc, v15, v3, vcc
	global_load_dwordx2 v[4:5], v[4:5], off
	s_mul_i32 s5, s4, 5
	global_load_dwordx2 v[2:3], v[2:3], off
	s_lshl_b32 s0, s4, 1
	s_lshl_b32 s1, s4, 2
	s_waitcnt vmcnt(0)
	v_add_f64 v[2:3], v[4:5], -v[2:3]
	v_lshlrev_b64 v[4:5], 3, v[0:1]
	v_add_u32_e32 v0, s4, v0
	v_add_co_u32_e32 v6, vcc, s8, v4
	v_addc_co_u32_e32 v7, vcc, v14, v5, vcc
	v_add_co_u32_e32 v4, vcc, s10, v4
	v_addc_co_u32_e32 v5, vcc, v15, v5, vcc
	global_load_dwordx2 v[6:7], v[6:7], off
	v_lshlrev_b64 v[8:9], 3, v[0:1]
	global_load_dwordx2 v[4:5], v[4:5], off
	v_add_co_u32_e32 v10, vcc, s8, v8
	v_addc_co_u32_e32 v11, vcc, v14, v9, vcc
	v_add_co_u32_e32 v8, vcc, s10, v8
	v_addc_co_u32_e32 v9, vcc, v15, v9, vcc
	global_load_dwordx2 v[10:11], v[10:11], off
	v_add_u32_e32 v0, s4, v0
	global_load_dwordx2 v[8:9], v[8:9], off
	s_waitcnt vmcnt(2)
	v_add_f64 v[4:5], v[6:7], -v[4:5]
	v_add_f64 v[6:7], -v[2:3], -v[4:5]
	v_add_f64 v[2:3], v[2:3], v[4:5]
	s_waitcnt vmcnt(0)
	v_add_f64 v[8:9], v[10:11], -v[8:9]
	v_add_f64 v[8:9], v[6:7], -v[8:9]
	v_lshlrev_b64 v[6:7], 3, v[0:1]
	v_add_u32_e32 v0, s4, v0
	v_add_co_u32_e32 v10, vcc, s8, v6
	v_addc_co_u32_e32 v11, vcc, v14, v7, vcc
	v_add_co_u32_e32 v6, vcc, s10, v6
	v_addc_co_u32_e32 v7, vcc, v15, v7, vcc
	global_load_dwordx2 v[10:11], v[10:11], off
	s_nop 0
	global_load_dwordx2 v[6:7], v[6:7], off
	s_waitcnt vmcnt(0)
	v_add_f64 v[6:7], v[10:11], -v[6:7]
	v_add_f64 v[10:11], v[8:9], -v[6:7]
	v_lshlrev_b64 v[8:9], 3, v[0:1]
	v_add_u32_e32 v0, s4, v0
	v_add_co_u32_e32 v12, vcc, s8, v8
	v_addc_co_u32_e32 v13, vcc, v14, v9, vcc
	v_add_co_u32_e32 v8, vcc, s10, v8
	v_addc_co_u32_e32 v9, vcc, v15, v9, vcc
	global_load_dwordx2 v[12:13], v[12:13], off
	v_add_f64 v[2:3], v[2:3], v[6:7]
	global_load_dwordx2 v[8:9], v[8:9], off
	s_waitcnt vmcnt(0)
	v_add_f64 v[8:9], v[12:13], -v[8:9]
	v_lshlrev_b64 v[12:13], 3, v[0:1]
	v_add_u32_e32 v0, s5, v0
	v_add_co_u32_e32 v16, vcc, s8, v12
	v_addc_co_u32_e32 v17, vcc, v14, v13, vcc
	v_add_co_u32_e32 v12, vcc, s10, v12
	v_addc_co_u32_e32 v13, vcc, v15, v13, vcc
	global_load_dwordx2 v[16:17], v[16:17], off
	v_add_f64 v[10:11], v[10:11], -v[8:9]
	global_load_dwordx2 v[12:13], v[12:13], off
	v_add_f64 v[2:3], v[2:3], v[8:9]
	s_waitcnt vmcnt(0)
	v_add_f64 v[12:13], v[16:17], -v[12:13]
	v_add_f64 v[10:11], v[10:11], v[12:13]
	v_lshlrev_b64 v[12:13], 3, v[0:1]
	v_add_u32_e32 v0, s4, v0
	v_add_co_u32_e32 v16, vcc, s8, v12
	v_addc_co_u32_e32 v17, vcc, v14, v13, vcc
	v_add_co_u32_e32 v12, vcc, s10, v12
	v_addc_co_u32_e32 v13, vcc, v15, v13, vcc
	global_load_dwordx2 v[16:17], v[16:17], off
	s_nop 0
	global_load_dwordx2 v[12:13], v[12:13], off
	s_waitcnt vmcnt(0)
	v_add_f64 v[12:13], v[16:17], -v[12:13]
	v_add_f64 v[12:13], v[10:11], -v[12:13]
	v_lshlrev_b64 v[10:11], 3, v[0:1]
	v_add_u32_e32 v0, s0, v0
	v_add_co_u32_e32 v16, vcc, s8, v10
	v_addc_co_u32_e32 v17, vcc, v14, v11, vcc
	v_add_co_u32_e32 v10, vcc, s10, v10
	v_addc_co_u32_e32 v11, vcc, v15, v11, vcc
	global_load_dwordx2 v[16:17], v[16:17], off
	s_nop 0
	global_load_dwordx2 v[10:11], v[10:11], off
	s_waitcnt vmcnt(0)
	v_add_f64 v[10:11], v[16:17], -v[10:11]
	v_lshlrev_b64 v[16:17], 3, v[0:1]
	v_add_u32_e32 v0, s4, v0
	v_add_co_u32_e32 v18, vcc, s8, v16
	v_addc_co_u32_e32 v19, vcc, v14, v17, vcc
	v_add_co_u32_e32 v16, vcc, s10, v16
	v_addc_co_u32_e32 v17, vcc, v15, v17, vcc
	global_load_dwordx2 v[18:19], v[18:19], off
	v_add_f64 v[12:13], v[12:13], v[10:11]
	global_load_dwordx2 v[16:17], v[16:17], off
	v_add_f64 v[2:3], v[2:3], -v[10:11]
	s_waitcnt vmcnt(0)
	v_add_f64 v[16:17], v[18:19], -v[16:17]
	v_add_f64 v[12:13], v[12:13], v[16:17]
	v_lshlrev_b64 v[16:17], 3, v[0:1]
	v_add_u32_e32 v0, s0, v0
	v_add_co_u32_e32 v18, vcc, s8, v16
	v_addc_co_u32_e32 v19, vcc, v14, v17, vcc
	v_add_co_u32_e32 v16, vcc, s10, v16
	v_addc_co_u32_e32 v17, vcc, v15, v17, vcc
	global_load_dwordx2 v[18:19], v[18:19], off
	s_nop 0
	global_load_dwordx2 v[16:17], v[16:17], off
	s_waitcnt vmcnt(0)
	v_add_f64 v[16:17], v[18:19], -v[16:17]
	v_add_f64 v[12:13], v[12:13], v[16:17]
	v_lshlrev_b64 v[16:17], 3, v[0:1]
	v_add_u32_e32 v0, s4, v0
	v_add_co_u32_e32 v18, vcc, s8, v16
	v_addc_co_u32_e32 v19, vcc, v14, v17, vcc
	v_add_co_u32_e32 v16, vcc, s10, v16
	v_addc_co_u32_e32 v17, vcc, v15, v17, vcc
	global_load_dwordx2 v[18:19], v[18:19], off
	s_nop 0
	global_load_dwordx2 v[16:17], v[16:17], off
	;; [unrolled: 12-line block ×3, first 2 shown]
	s_waitcnt vmcnt(0)
	v_add_f64 v[16:17], v[18:19], -v[16:17]
	v_add_f64 v[12:13], v[12:13], v[16:17]
	v_lshlrev_b64 v[16:17], 3, v[0:1]
	v_add_co_u32_e32 v18, vcc, s8, v16
	v_addc_co_u32_e32 v19, vcc, v14, v17, vcc
	v_add_co_u32_e32 v16, vcc, s10, v16
	v_addc_co_u32_e32 v17, vcc, v15, v17, vcc
	global_load_dwordx2 v[18:19], v[18:19], off
	s_nop 0
	global_load_dwordx2 v[16:17], v[16:17], off
	s_waitcnt vmcnt(0)
	v_add_f64 v[16:17], v[18:19], -v[16:17]
	v_add_f64 v[12:13], v[12:13], v[16:17]
	v_mad_u64_u32 v[16:17], s[2:3], s4, 9, v[0:1]
	v_mov_b32_e32 v17, v1
	v_lshlrev_b64 v[17:18], 3, v[16:17]
	v_add_u32_e32 v0, s5, v16
	v_add_co_u32_e32 v19, vcc, s8, v17
	v_addc_co_u32_e32 v20, vcc, v14, v18, vcc
	v_add_co_u32_e32 v17, vcc, s10, v17
	v_addc_co_u32_e32 v18, vcc, v15, v18, vcc
	global_load_dwordx2 v[19:20], v[19:20], off
	s_nop 0
	global_load_dwordx2 v[17:18], v[17:18], off
	s_waitcnt vmcnt(0)
	v_add_f64 v[17:18], v[19:20], -v[17:18]
	v_add_f64 v[12:13], v[12:13], -v[17:18]
	v_lshlrev_b64 v[16:17], 3, v[0:1]
	v_add_u32_e32 v0, s1, v0
	v_add_co_u32_e32 v18, vcc, s8, v16
	v_addc_co_u32_e32 v19, vcc, v14, v17, vcc
	v_add_co_u32_e32 v16, vcc, s10, v16
	v_addc_co_u32_e32 v17, vcc, v15, v17, vcc
	global_load_dwordx2 v[18:19], v[18:19], off
	s_nop 0
	global_load_dwordx2 v[16:17], v[16:17], off
	s_waitcnt vmcnt(0)
	v_add_f64 v[16:17], v[18:19], -v[16:17]
	v_add_f64 v[12:13], v[12:13], v[16:17]
	v_lshlrev_b64 v[16:17], 3, v[0:1]
	v_add_u32_e32 v0, s4, v0
	v_add_co_u32_e32 v18, vcc, s8, v16
	v_addc_co_u32_e32 v19, vcc, v14, v17, vcc
	v_add_co_u32_e32 v16, vcc, s10, v16
	v_addc_co_u32_e32 v17, vcc, v15, v17, vcc
	global_load_dwordx2 v[18:19], v[18:19], off
	s_nop 0
	global_load_dwordx2 v[16:17], v[16:17], off
	s_waitcnt vmcnt(0)
	v_add_f64 v[16:17], v[18:19], -v[16:17]
	v_add_f64 v[12:13], v[12:13], v[16:17]
	;; [unrolled: 12-line block ×3, first 2 shown]
	v_lshlrev_b64 v[12:13], 3, v[0:1]
	v_add_co_u32_e32 v18, vcc, s8, v12
	v_addc_co_u32_e32 v19, vcc, v14, v13, vcc
	v_add_co_u32_e32 v12, vcc, s10, v12
	v_addc_co_u32_e32 v13, vcc, v15, v13, vcc
	global_load_dwordx2 v[18:19], v[18:19], off
	s_nop 0
	global_load_dwordx2 v[12:13], v[12:13], off
	s_waitcnt vmcnt(0)
	v_add_f64 v[12:13], v[18:19], -v[12:13]
	v_mad_u64_u32 v[18:19], s[2:3], s4, 18, v[0:1]
	v_mov_b32_e32 v19, v1
	s_mul_i32 s2, s4, 7
	v_lshlrev_b64 v[19:20], 3, v[18:19]
	v_add_u32_e32 v0, s2, v18
	v_add_co_u32_e32 v21, vcc, s8, v19
	v_addc_co_u32_e32 v22, vcc, v14, v20, vcc
	v_add_co_u32_e32 v19, vcc, s10, v19
	v_addc_co_u32_e32 v20, vcc, v15, v20, vcc
	global_load_dwordx2 v[21:22], v[21:22], off
	v_add_f64 v[16:17], v[16:17], v[12:13]
	global_load_dwordx2 v[19:20], v[19:20], off
	s_waitcnt vmcnt(0)
	v_add_f64 v[19:20], v[21:22], -v[19:20]
	v_add_f64 v[16:17], v[16:17], v[19:20]
	v_lshlrev_b64 v[18:19], 3, v[0:1]
	v_add_co_u32_e32 v20, vcc, s8, v18
	v_addc_co_u32_e32 v21, vcc, v14, v19, vcc
	v_add_co_u32_e32 v18, vcc, s10, v18
	v_addc_co_u32_e32 v19, vcc, v15, v19, vcc
	global_load_dwordx2 v[20:21], v[20:21], off
	s_nop 0
	global_load_dwordx2 v[18:19], v[18:19], off
	s_waitcnt vmcnt(0)
	v_add_f64 v[18:19], v[20:21], -v[18:19]
	v_add_f64 v[16:17], v[16:17], v[18:19]
	v_mad_u64_u32 v[18:19], s[6:7], s4, 13, v[0:1]
	v_mov_b32_e32 v19, v1
	v_lshlrev_b64 v[19:20], 3, v[18:19]
	v_add_u32_e32 v0, s4, v18
	v_add_co_u32_e32 v21, vcc, s8, v19
	v_addc_co_u32_e32 v22, vcc, v14, v20, vcc
	v_add_co_u32_e32 v19, vcc, s10, v19
	v_addc_co_u32_e32 v20, vcc, v15, v20, vcc
	global_load_dwordx2 v[21:22], v[21:22], off
	s_nop 0
	global_load_dwordx2 v[19:20], v[19:20], off
	s_waitcnt vmcnt(0)
	v_add_f64 v[19:20], v[21:22], -v[19:20]
	v_add_f64 v[16:17], v[16:17], v[19:20]
	v_lshlrev_b64 v[18:19], 3, v[0:1]
	v_add_u32_e32 v0, s4, v0
	v_add_co_u32_e32 v20, vcc, s8, v18
	v_addc_co_u32_e32 v21, vcc, v14, v19, vcc
	v_add_co_u32_e32 v18, vcc, s10, v18
	v_addc_co_u32_e32 v19, vcc, v15, v19, vcc
	global_load_dwordx2 v[20:21], v[20:21], off
	s_nop 0
	global_load_dwordx2 v[18:19], v[18:19], off
	s_waitcnt vmcnt(0)
	v_add_f64 v[18:19], v[20:21], -v[18:19]
	v_add_f64 v[16:17], v[16:17], v[18:19]
	v_add_f64 v[16:17], v[18:19], v[16:17]
	v_lshlrev_b64 v[18:19], 3, v[0:1]
	v_add_u32_e32 v0, s4, v0
	v_add_co_u32_e32 v20, vcc, s8, v18
	v_addc_co_u32_e32 v21, vcc, v14, v19, vcc
	v_add_co_u32_e32 v18, vcc, s10, v18
	v_addc_co_u32_e32 v19, vcc, v15, v19, vcc
	global_load_dwordx2 v[20:21], v[20:21], off
	s_nop 0
	global_load_dwordx2 v[18:19], v[18:19], off
	s_waitcnt vmcnt(0)
	v_add_f64 v[18:19], v[20:21], -v[18:19]
	v_add_f64 v[16:17], v[16:17], v[18:19]
	v_add_f64 v[16:17], v[18:19], v[16:17]
	v_lshlrev_b64 v[18:19], 3, v[0:1]
	v_add_u32_e32 v0, s4, v0
	v_add_co_u32_e32 v20, vcc, s8, v18
	v_addc_co_u32_e32 v21, vcc, v14, v19, vcc
	v_add_co_u32_e32 v18, vcc, s10, v18
	v_addc_co_u32_e32 v19, vcc, v15, v19, vcc
	global_load_dwordx2 v[20:21], v[20:21], off
	s_nop 0
	global_load_dwordx2 v[18:19], v[18:19], off
	s_waitcnt vmcnt(0)
	v_add_f64 v[18:19], v[20:21], -v[18:19]
	v_add_f64 v[16:17], v[16:17], v[18:19]
	v_lshlrev_b64 v[18:19], 3, v[0:1]
	v_add_u32_e32 v0, s4, v0
	v_add_co_u32_e32 v20, vcc, s8, v18
	v_addc_co_u32_e32 v21, vcc, v14, v19, vcc
	v_add_co_u32_e32 v18, vcc, s10, v18
	v_addc_co_u32_e32 v19, vcc, v15, v19, vcc
	global_load_dwordx2 v[20:21], v[20:21], off
	s_nop 0
	global_load_dwordx2 v[18:19], v[18:19], off
	s_waitcnt vmcnt(0)
	v_add_f64 v[18:19], v[20:21], -v[18:19]
	v_add_f64 v[16:17], v[16:17], v[18:19]
	v_lshlrev_b64 v[18:19], 3, v[0:1]
	v_add_u32_e32 v0, s1, v0
	v_add_co_u32_e32 v20, vcc, s8, v18
	v_addc_co_u32_e32 v21, vcc, v14, v19, vcc
	v_add_co_u32_e32 v18, vcc, s10, v18
	v_addc_co_u32_e32 v19, vcc, v15, v19, vcc
	global_load_dwordx2 v[20:21], v[20:21], off
	s_nop 0
	global_load_dwordx2 v[18:19], v[18:19], off
	s_waitcnt vmcnt(0)
	v_add_f64 v[18:19], v[20:21], -v[18:19]
	v_add_f64 v[16:17], v[16:17], v[18:19]
	v_add_f64 v[16:17], v[18:19], v[16:17]
	v_lshlrev_b64 v[18:19], 3, v[0:1]
	v_add_u32_e32 v0, s0, v0
	v_add_co_u32_e32 v20, vcc, s8, v18
	v_addc_co_u32_e32 v21, vcc, v14, v19, vcc
	v_add_co_u32_e32 v18, vcc, s10, v18
	v_addc_co_u32_e32 v19, vcc, v15, v19, vcc
	global_load_dwordx2 v[20:21], v[20:21], off
	s_nop 0
	global_load_dwordx2 v[18:19], v[18:19], off
	s_waitcnt vmcnt(0)
	v_add_f64 v[18:19], v[20:21], -v[18:19]
	v_add_f64 v[16:17], v[16:17], v[18:19]
	v_lshlrev_b64 v[18:19], 3, v[0:1]
	v_add_u32_e32 v0, s4, v0
	v_add_co_u32_e32 v20, vcc, s8, v18
	v_addc_co_u32_e32 v21, vcc, v14, v19, vcc
	v_add_co_u32_e32 v18, vcc, s10, v18
	v_addc_co_u32_e32 v19, vcc, v15, v19, vcc
	global_load_dwordx2 v[20:21], v[20:21], off
	s_nop 0
	global_load_dwordx2 v[18:19], v[18:19], off
	s_waitcnt vmcnt(0)
	v_add_f64 v[18:19], v[20:21], -v[18:19]
	v_add_f64 v[16:17], v[16:17], v[18:19]
	v_lshlrev_b64 v[18:19], 3, v[0:1]
	v_add_co_u32_e32 v20, vcc, s8, v18
	v_addc_co_u32_e32 v21, vcc, v14, v19, vcc
	v_add_co_u32_e32 v18, vcc, s10, v18
	v_addc_co_u32_e32 v19, vcc, v15, v19, vcc
	global_load_dwordx2 v[20:21], v[20:21], off
	s_nop 0
	global_load_dwordx2 v[18:19], v[18:19], off
	s_waitcnt vmcnt(0)
	v_add_f64 v[18:19], v[20:21], -v[18:19]
	v_add_f64 v[16:17], v[16:17], v[18:19]
	v_mad_u64_u32 v[18:19], s[6:7], s4, 3, v[0:1]
	v_mov_b32_e32 v19, v1
	s_lshl_b32 s6, s4, 3
	v_lshlrev_b64 v[19:20], 3, v[18:19]
	v_add_u32_e32 v0, s5, v18
	v_add_co_u32_e32 v21, vcc, s8, v19
	v_addc_co_u32_e32 v22, vcc, v14, v20, vcc
	v_add_co_u32_e32 v19, vcc, s10, v19
	v_addc_co_u32_e32 v20, vcc, v15, v20, vcc
	global_load_dwordx2 v[21:22], v[21:22], off
	s_nop 0
	global_load_dwordx2 v[19:20], v[19:20], off
	s_waitcnt vmcnt(0)
	v_add_f64 v[19:20], v[21:22], -v[19:20]
	v_add_f64 v[16:17], v[16:17], v[19:20]
	v_lshlrev_b64 v[18:19], 3, v[0:1]
	v_add_u32_e32 v0, s6, v0
	v_add_co_u32_e32 v20, vcc, s8, v18
	v_addc_co_u32_e32 v21, vcc, v14, v19, vcc
	v_add_co_u32_e32 v18, vcc, s10, v18
	v_addc_co_u32_e32 v19, vcc, v15, v19, vcc
	global_load_dwordx2 v[20:21], v[20:21], off
	s_nop 0
	global_load_dwordx2 v[18:19], v[18:19], off
	s_waitcnt vmcnt(0)
	v_add_f64 v[18:19], v[20:21], -v[18:19]
	v_add_f64 v[16:17], v[16:17], v[18:19]
	;; [unrolled: 12-line block ×4, first 2 shown]
	v_lshlrev_b64 v[18:19], 3, v[0:1]
	v_add_u32_e32 v0, s2, v0
	v_add_co_u32_e32 v20, vcc, s8, v18
	v_addc_co_u32_e32 v21, vcc, v14, v19, vcc
	v_add_co_u32_e32 v18, vcc, s10, v18
	v_addc_co_u32_e32 v19, vcc, v15, v19, vcc
	global_load_dwordx2 v[20:21], v[20:21], off
	s_mul_i32 s2, s4, 10
	global_load_dwordx2 v[18:19], v[18:19], off
	s_waitcnt vmcnt(0)
	v_add_f64 v[18:19], v[20:21], -v[18:19]
	v_add_f64 v[16:17], v[16:17], v[18:19]
	v_lshlrev_b64 v[18:19], 3, v[0:1]
	v_add_u32_e32 v0, s2, v0
	v_add_co_u32_e32 v20, vcc, s8, v18
	v_addc_co_u32_e32 v21, vcc, v14, v19, vcc
	v_add_co_u32_e32 v18, vcc, s10, v18
	v_addc_co_u32_e32 v19, vcc, v15, v19, vcc
	global_load_dwordx2 v[20:21], v[20:21], off
	s_nop 0
	global_load_dwordx2 v[18:19], v[18:19], off
	s_waitcnt vmcnt(0)
	v_add_f64 v[18:19], v[20:21], -v[18:19]
	v_add_f64 v[16:17], v[16:17], v[18:19]
	v_lshlrev_b64 v[18:19], 3, v[0:1]
	v_add_co_u32_e32 v20, vcc, s8, v18
	v_addc_co_u32_e32 v21, vcc, v14, v19, vcc
	v_add_co_u32_e32 v18, vcc, s10, v18
	v_addc_co_u32_e32 v19, vcc, v15, v19, vcc
	global_load_dwordx2 v[20:21], v[20:21], off
	s_nop 0
	global_load_dwordx2 v[18:19], v[18:19], off
	s_waitcnt vmcnt(0)
	v_add_f64 v[18:19], v[20:21], -v[18:19]
	v_add_f64 v[16:17], v[16:17], v[18:19]
	v_mad_u64_u32 v[18:19], s[0:1], s4, 15, v[0:1]
	v_mov_b32_e32 v19, v1
	v_lshlrev_b64 v[19:20], 3, v[18:19]
	v_add_u32_e32 v0, s2, v18
	v_add_co_u32_e32 v21, vcc, s8, v19
	v_addc_co_u32_e32 v22, vcc, v14, v20, vcc
	v_add_co_u32_e32 v19, vcc, s10, v19
	v_addc_co_u32_e32 v20, vcc, v15, v20, vcc
	global_load_dwordx2 v[21:22], v[21:22], off
	s_load_dwordx4 s[0:3], s[16:17], 0x50
	global_load_dwordx2 v[19:20], v[19:20], off
	s_waitcnt vmcnt(0)
	v_add_f64 v[19:20], v[21:22], -v[19:20]
	v_add_f64 v[16:17], v[16:17], v[19:20]
	v_lshlrev_b64 v[18:19], 3, v[0:1]
	v_add_co_u32_e32 v20, vcc, s8, v18
	v_addc_co_u32_e32 v21, vcc, v14, v19, vcc
	v_add_co_u32_e32 v18, vcc, s10, v18
	v_addc_co_u32_e32 v19, vcc, v15, v19, vcc
	global_load_dwordx2 v[20:21], v[20:21], off
	s_nop 0
	global_load_dwordx2 v[18:19], v[18:19], off
	s_waitcnt vmcnt(0)
	v_add_f64 v[18:19], v[20:21], -v[18:19]
	v_add_f64 v[16:17], v[16:17], v[18:19]
	v_mul_f64 v[16:17], s[14:15], v[16:17]
	s_waitcnt lgkmcnt(0)
	v_mul_f64 v[17:18], s[0:1], v[16:17]
	s_mul_i32 s0, s4, 0xffffff4e
	v_add_u32_e32 v0, s0, v0
	v_mad_u64_u32 v[4:5], s[0:1], s4, 33, v[0:1]
	v_lshlrev_b64 v[19:20], 3, v[0:1]
	v_mov_b32_e32 v5, v1
	v_add_co_u32_e32 v19, vcc, s12, v19
	v_mov_b32_e32 v16, s13
	v_lshlrev_b64 v[5:6], 3, v[4:5]
	v_addc_co_u32_e32 v20, vcc, v16, v20, vcc
	v_add_co_u32_e32 v7, vcc, s8, v5
	v_addc_co_u32_e32 v8, vcc, v14, v6, vcc
	v_add_co_u32_e32 v5, vcc, s10, v5
	v_addc_co_u32_e32 v6, vcc, v15, v6, vcc
	global_load_dwordx2 v[7:8], v[7:8], off
	v_add_u32_e32 v0, s6, v4
	global_load_dwordx2 v[5:6], v[5:6], off
	s_mul_i32 s0, s4, 0x49
	s_mulk_i32 s4, 0xff8a
	global_store_dwordx2 v[19:20], v[17:18], off
	s_waitcnt vmcnt(1)
	v_add_f64 v[5:6], v[7:8], -v[5:6]
	v_add_f64 v[2:3], v[2:3], v[5:6]
	v_lshlrev_b64 v[4:5], 3, v[0:1]
	v_add_u32_e32 v0, s0, v0
	v_add_co_u32_e32 v6, vcc, s8, v4
	v_addc_co_u32_e32 v7, vcc, v14, v5, vcc
	v_add_co_u32_e32 v4, vcc, s10, v4
	v_addc_co_u32_e32 v5, vcc, v15, v5, vcc
	global_load_dwordx2 v[6:7], v[6:7], off
	s_nop 0
	global_load_dwordx2 v[4:5], v[4:5], off
	s_waitcnt vmcnt(0)
	v_add_f64 v[4:5], v[6:7], -v[4:5]
	v_add_f64 v[2:3], v[2:3], v[4:5]
	v_lshlrev_b64 v[4:5], 3, v[0:1]
	v_add_u32_e32 v0, s5, v0
	v_add_co_u32_e32 v6, vcc, s8, v4
	v_addc_co_u32_e32 v7, vcc, v14, v5, vcc
	v_add_co_u32_e32 v4, vcc, s10, v4
	v_addc_co_u32_e32 v5, vcc, v15, v5, vcc
	global_load_dwordx2 v[6:7], v[6:7], off
	v_add_f64 v[2:3], v[2:3], -v[12:13]
	global_load_dwordx2 v[4:5], v[4:5], off
	s_waitcnt vmcnt(0)
	v_add_f64 v[4:5], v[6:7], -v[4:5]
	v_lshlrev_b64 v[6:7], 3, v[0:1]
	v_add_u32_e32 v0, s4, v0
	v_lshlrev_b64 v[0:1], 3, v[0:1]
	v_add_f64 v[2:3], v[2:3], v[4:5]
	v_add_co_u32_e32 v4, vcc, s8, v6
	v_addc_co_u32_e32 v5, vcc, v14, v7, vcc
	v_add_co_u32_e32 v6, vcc, s10, v6
	v_addc_co_u32_e32 v7, vcc, v15, v7, vcc
	global_load_dwordx2 v[4:5], v[4:5], off
	v_add_co_u32_e32 v0, vcc, s12, v0
	global_load_dwordx2 v[6:7], v[6:7], off
	v_addc_co_u32_e32 v1, vcc, v16, v1, vcc
	s_waitcnt vmcnt(0)
	v_add_f64 v[4:5], v[4:5], -v[6:7]
	v_add_f64 v[2:3], v[2:3], v[4:5]
	v_mul_f64 v[2:3], s[14:15], v[2:3]
	v_mul_f64 v[2:3], s[2:3], v[2:3]
	global_store_dwordx2 v[0:1], v[2:3], off
	s_endpgm
	.section	.rodata,"a",@progbits
	.p2align	6, 0x0
	.amdhsa_kernel _Z14rdwdot6_kernelIdEvPKT_S2_PS0_S0_S2_
		.amdhsa_group_segment_fixed_size 0
		.amdhsa_private_segment_fixed_size 0
		.amdhsa_kernarg_size 296
		.amdhsa_user_sgpr_count 6
		.amdhsa_user_sgpr_private_segment_buffer 1
		.amdhsa_user_sgpr_dispatch_ptr 0
		.amdhsa_user_sgpr_queue_ptr 0
		.amdhsa_user_sgpr_kernarg_segment_ptr 1
		.amdhsa_user_sgpr_dispatch_id 0
		.amdhsa_user_sgpr_flat_scratch_init 0
		.amdhsa_user_sgpr_private_segment_size 0
		.amdhsa_uses_dynamic_stack 0
		.amdhsa_system_sgpr_private_segment_wavefront_offset 0
		.amdhsa_system_sgpr_workgroup_id_x 1
		.amdhsa_system_sgpr_workgroup_id_y 0
		.amdhsa_system_sgpr_workgroup_id_z 0
		.amdhsa_system_sgpr_workgroup_info 0
		.amdhsa_system_vgpr_workitem_id 0
		.amdhsa_next_free_vgpr 23
		.amdhsa_next_free_sgpr 18
		.amdhsa_reserve_vcc 1
		.amdhsa_reserve_flat_scratch 0
		.amdhsa_float_round_mode_32 0
		.amdhsa_float_round_mode_16_64 0
		.amdhsa_float_denorm_mode_32 3
		.amdhsa_float_denorm_mode_16_64 3
		.amdhsa_dx10_clamp 1
		.amdhsa_ieee_mode 1
		.amdhsa_fp16_overflow 0
		.amdhsa_exception_fp_ieee_invalid_op 0
		.amdhsa_exception_fp_denorm_src 0
		.amdhsa_exception_fp_ieee_div_zero 0
		.amdhsa_exception_fp_ieee_overflow 0
		.amdhsa_exception_fp_ieee_underflow 0
		.amdhsa_exception_fp_ieee_inexact 0
		.amdhsa_exception_int_div_zero 0
	.end_amdhsa_kernel
	.section	.text._Z14rdwdot6_kernelIdEvPKT_S2_PS0_S0_S2_,"axG",@progbits,_Z14rdwdot6_kernelIdEvPKT_S2_PS0_S0_S2_,comdat
.Lfunc_end49:
	.size	_Z14rdwdot6_kernelIdEvPKT_S2_PS0_S0_S2_, .Lfunc_end49-_Z14rdwdot6_kernelIdEvPKT_S2_PS0_S0_S2_
                                        ; -- End function
	.set _Z14rdwdot6_kernelIdEvPKT_S2_PS0_S0_S2_.num_vgpr, 23
	.set _Z14rdwdot6_kernelIdEvPKT_S2_PS0_S0_S2_.num_agpr, 0
	.set _Z14rdwdot6_kernelIdEvPKT_S2_PS0_S0_S2_.numbered_sgpr, 18
	.set _Z14rdwdot6_kernelIdEvPKT_S2_PS0_S0_S2_.num_named_barrier, 0
	.set _Z14rdwdot6_kernelIdEvPKT_S2_PS0_S0_S2_.private_seg_size, 0
	.set _Z14rdwdot6_kernelIdEvPKT_S2_PS0_S0_S2_.uses_vcc, 1
	.set _Z14rdwdot6_kernelIdEvPKT_S2_PS0_S0_S2_.uses_flat_scratch, 0
	.set _Z14rdwdot6_kernelIdEvPKT_S2_PS0_S0_S2_.has_dyn_sized_stack, 0
	.set _Z14rdwdot6_kernelIdEvPKT_S2_PS0_S0_S2_.has_recursion, 0
	.set _Z14rdwdot6_kernelIdEvPKT_S2_PS0_S0_S2_.has_indirect_call, 0
	.section	.AMDGPU.csdata,"",@progbits
; Kernel info:
; codeLenInByte = 3136
; TotalNumSgprs: 22
; NumVgprs: 23
; ScratchSize: 0
; MemoryBound: 0
; FloatMode: 240
; IeeeMode: 1
; LDSByteSize: 0 bytes/workgroup (compile time only)
; SGPRBlocks: 2
; VGPRBlocks: 5
; NumSGPRsForWavesPerEU: 22
; NumVGPRsForWavesPerEU: 23
; Occupancy: 10
; WaveLimiterHint : 0
; COMPUTE_PGM_RSRC2:SCRATCH_EN: 0
; COMPUTE_PGM_RSRC2:USER_SGPR: 6
; COMPUTE_PGM_RSRC2:TRAP_HANDLER: 0
; COMPUTE_PGM_RSRC2:TGID_X_EN: 1
; COMPUTE_PGM_RSRC2:TGID_Y_EN: 0
; COMPUTE_PGM_RSRC2:TGID_Z_EN: 0
; COMPUTE_PGM_RSRC2:TIDIG_COMP_CNT: 0
	.section	.text._Z14rdwdot7_kernelIdEvPKT_S2_PS0_S0_S2_,"axG",@progbits,_Z14rdwdot7_kernelIdEvPKT_S2_PS0_S0_S2_,comdat
	.protected	_Z14rdwdot7_kernelIdEvPKT_S2_PS0_S0_S2_ ; -- Begin function _Z14rdwdot7_kernelIdEvPKT_S2_PS0_S0_S2_
	.globl	_Z14rdwdot7_kernelIdEvPKT_S2_PS0_S0_S2_
	.p2align	8
	.type	_Z14rdwdot7_kernelIdEvPKT_S2_PS0_S0_S2_,@function
_Z14rdwdot7_kernelIdEvPKT_S2_PS0_S0_S2_: ; @_Z14rdwdot7_kernelIdEvPKT_S2_PS0_S0_S2_
; %bb.0:
	s_load_dwordx8 s[8:15], s[4:5], 0x0
	s_load_dwordx2 s[16:17], s[4:5], 0x20
	s_load_dword s0, s[4:5], 0x28
	s_load_dword s1, s[4:5], 0x34
	v_mov_b32_e32 v1, 0
	s_waitcnt lgkmcnt(0)
	v_mov_b32_e32 v32, s9
	v_mov_b32_e32 v33, s11
	s_and_b32 s1, s1, 0xffff
	s_mul_i32 s4, s0, s1
	s_mul_i32 s0, s4, 47
	;; [unrolled: 1-line block ×3, first 2 shown]
	s_add_i32 s0, s0, s6
	v_add_u32_e32 v0, s0, v0
	v_lshlrev_b64 v[2:3], 3, v[0:1]
	v_add_u32_e32 v0, s4, v0
	v_add_co_u32_e32 v4, vcc, s8, v2
	v_addc_co_u32_e32 v5, vcc, v32, v3, vcc
	v_add_co_u32_e32 v2, vcc, s10, v2
	v_addc_co_u32_e32 v3, vcc, v33, v3, vcc
	global_load_dwordx2 v[4:5], v[4:5], off
	s_nop 0
	global_load_dwordx2 v[2:3], v[2:3], off
	s_waitcnt vmcnt(0)
	v_add_f64 v[2:3], v[4:5], -v[2:3]
	v_lshlrev_b64 v[4:5], 3, v[0:1]
	v_add_co_u32_e32 v6, vcc, s8, v4
	v_addc_co_u32_e32 v7, vcc, v32, v5, vcc
	v_add_co_u32_e32 v4, vcc, s10, v4
	v_addc_co_u32_e32 v5, vcc, v33, v5, vcc
	global_load_dwordx2 v[6:7], v[6:7], off
	s_nop 0
	global_load_dwordx2 v[4:5], v[4:5], off
	s_waitcnt vmcnt(0)
	v_add_f64 v[4:5], v[6:7], -v[4:5]
	v_add_f64 v[2:3], v[2:3], v[4:5]
	v_mad_u64_u32 v[4:5], s[0:1], s4, 15, v[0:1]
	v_mov_b32_e32 v5, v1
	v_lshlrev_b64 v[5:6], 3, v[4:5]
	v_add_co_u32_e32 v7, vcc, s8, v5
	v_addc_co_u32_e32 v8, vcc, v32, v6, vcc
	v_add_co_u32_e32 v5, vcc, s10, v5
	v_addc_co_u32_e32 v6, vcc, v33, v6, vcc
	global_load_dwordx2 v[7:8], v[7:8], off
	s_nop 0
	global_load_dwordx2 v[5:6], v[5:6], off
	s_waitcnt vmcnt(0)
	v_add_f64 v[5:6], v[7:8], -v[5:6]
	v_add_f64 v[5:6], v[2:3], v[5:6]
	v_mad_u64_u32 v[7:8], s[0:1], s4, 14, v[4:5]
	v_mov_b32_e32 v8, v1
	s_lshl_b32 s0, s4, 1
	v_lshlrev_b64 v[2:3], 3, v[7:8]
	v_add_u32_e32 v0, s4, v7
	v_add_co_u32_e32 v8, vcc, s8, v2
	v_addc_co_u32_e32 v9, vcc, v32, v3, vcc
	v_add_co_u32_e32 v2, vcc, s10, v2
	v_addc_co_u32_e32 v3, vcc, v33, v3, vcc
	global_load_dwordx2 v[8:9], v[8:9], off
	s_mul_i32 s1, s4, 5
	global_load_dwordx2 v[2:3], v[2:3], off
	s_waitcnt vmcnt(0)
	v_add_f64 v[2:3], v[8:9], -v[2:3]
	v_add_f64 v[4:5], v[5:6], -v[2:3]
	v_lshlrev_b64 v[6:7], 3, v[0:1]
	v_add_u32_e32 v0, s4, v0
	v_add_co_u32_e32 v8, vcc, s8, v6
	v_addc_co_u32_e32 v9, vcc, v32, v7, vcc
	v_add_co_u32_e32 v6, vcc, s10, v6
	v_addc_co_u32_e32 v7, vcc, v33, v7, vcc
	global_load_dwordx2 v[8:9], v[8:9], off
	s_nop 0
	global_load_dwordx2 v[6:7], v[6:7], off
	s_waitcnt vmcnt(0)
	v_add_f64 v[6:7], v[8:9], -v[6:7]
	v_add_f64 v[4:5], v[4:5], -v[6:7]
	v_lshlrev_b64 v[6:7], 3, v[0:1]
	v_add_u32_e32 v0, s4, v0
	v_add_co_u32_e32 v8, vcc, s8, v6
	v_addc_co_u32_e32 v9, vcc, v32, v7, vcc
	v_add_co_u32_e32 v6, vcc, s10, v6
	v_addc_co_u32_e32 v7, vcc, v33, v7, vcc
	global_load_dwordx2 v[8:9], v[8:9], off
	s_nop 0
	;; [unrolled: 12-line block ×6, first 2 shown]
	global_load_dwordx2 v[4:5], v[4:5], off
	s_waitcnt vmcnt(0)
	v_add_f64 v[4:5], v[8:9], -v[4:5]
	v_lshlrev_b64 v[8:9], 3, v[0:1]
	v_add_u32_e32 v0, s4, v0
	v_add_co_u32_e32 v10, vcc, s8, v8
	v_addc_co_u32_e32 v11, vcc, v32, v9, vcc
	v_add_co_u32_e32 v8, vcc, s10, v8
	v_addc_co_u32_e32 v9, vcc, v33, v9, vcc
	global_load_dwordx2 v[10:11], v[10:11], off
	v_add_f64 v[6:7], v[6:7], -v[4:5]
	global_load_dwordx2 v[8:9], v[8:9], off
	v_add_f64 v[2:3], v[2:3], v[4:5]
	s_waitcnt vmcnt(0)
	v_add_f64 v[8:9], v[10:11], -v[8:9]
	v_add_f64 v[8:9], v[6:7], -v[8:9]
	v_lshlrev_b64 v[6:7], 3, v[0:1]
	v_add_u32_e32 v0, s4, v0
	v_add_co_u32_e32 v10, vcc, s8, v6
	v_addc_co_u32_e32 v11, vcc, v32, v7, vcc
	v_add_co_u32_e32 v6, vcc, s10, v6
	v_addc_co_u32_e32 v7, vcc, v33, v7, vcc
	global_load_dwordx2 v[10:11], v[10:11], off
	s_nop 0
	global_load_dwordx2 v[6:7], v[6:7], off
	s_waitcnt vmcnt(0)
	v_add_f64 v[6:7], v[10:11], -v[6:7]
	v_lshlrev_b64 v[10:11], 3, v[0:1]
	v_add_u32_e32 v0, s4, v0
	v_add_co_u32_e32 v12, vcc, s8, v10
	v_addc_co_u32_e32 v13, vcc, v32, v11, vcc
	v_add_co_u32_e32 v10, vcc, s10, v10
	v_addc_co_u32_e32 v11, vcc, v33, v11, vcc
	global_load_dwordx2 v[12:13], v[12:13], off
	v_add_f64 v[8:9], v[8:9], -v[6:7]
	global_load_dwordx2 v[10:11], v[10:11], off
	v_add_f64 v[2:3], v[2:3], v[6:7]
	s_waitcnt vmcnt(0)
	v_add_f64 v[10:11], v[12:13], -v[10:11]
	v_add_f64 v[10:11], v[8:9], -v[10:11]
	v_lshlrev_b64 v[8:9], 3, v[0:1]
	v_add_u32_e32 v0, s4, v0
	v_add_co_u32_e32 v12, vcc, s8, v8
	v_addc_co_u32_e32 v13, vcc, v32, v9, vcc
	v_add_co_u32_e32 v8, vcc, s10, v8
	v_addc_co_u32_e32 v9, vcc, v33, v9, vcc
	global_load_dwordx2 v[12:13], v[12:13], off
	s_nop 0
	;; [unrolled: 24-line block ×4, first 2 shown]
	global_load_dwordx2 v[14:15], v[14:15], off
	s_waitcnt vmcnt(0)
	v_add_f64 v[14:15], v[16:17], -v[14:15]
	v_add_f64 v[12:13], v[12:13], -v[14:15]
	v_lshlrev_b64 v[14:15], 3, v[0:1]
	v_add_u32_e32 v0, s4, v0
	v_add_co_u32_e32 v16, vcc, s8, v14
	v_addc_co_u32_e32 v17, vcc, v32, v15, vcc
	v_add_co_u32_e32 v14, vcc, s10, v14
	v_addc_co_u32_e32 v15, vcc, v33, v15, vcc
	global_load_dwordx2 v[16:17], v[16:17], off
	s_nop 0
	global_load_dwordx2 v[14:15], v[14:15], off
	s_waitcnt vmcnt(0)
	v_add_f64 v[14:15], v[16:17], -v[14:15]
	v_add_f64 v[12:13], v[12:13], -v[14:15]
	v_add_f64 v[12:13], v[12:13], -v[14:15]
	v_lshlrev_b64 v[14:15], 3, v[0:1]
	v_add_u32_e32 v0, s4, v0
	v_add_co_u32_e32 v16, vcc, s8, v14
	v_addc_co_u32_e32 v17, vcc, v32, v15, vcc
	v_add_co_u32_e32 v14, vcc, s10, v14
	v_addc_co_u32_e32 v15, vcc, v33, v15, vcc
	global_load_dwordx2 v[16:17], v[16:17], off
	s_nop 0
	global_load_dwordx2 v[14:15], v[14:15], off
	s_waitcnt vmcnt(0)
	v_add_f64 v[14:15], v[16:17], -v[14:15]
	;; [unrolled: 13-line block ×3, first 2 shown]
	v_add_f64 v[12:13], v[12:13], -v[14:15]
	v_lshlrev_b64 v[14:15], 3, v[0:1]
	v_add_u32_e32 v0, s1, v0
	v_add_co_u32_e32 v16, vcc, s8, v14
	v_addc_co_u32_e32 v17, vcc, v32, v15, vcc
	v_add_co_u32_e32 v14, vcc, s10, v14
	v_addc_co_u32_e32 v15, vcc, v33, v15, vcc
	global_load_dwordx2 v[16:17], v[16:17], off
	s_nop 0
	global_load_dwordx2 v[14:15], v[14:15], off
	s_waitcnt vmcnt(0)
	v_add_f64 v[14:15], v[16:17], -v[14:15]
	v_add_f64 v[12:13], v[12:13], v[14:15]
	v_lshlrev_b64 v[14:15], 3, v[0:1]
	v_add_u32_e32 v0, s4, v0
	v_add_co_u32_e32 v16, vcc, s8, v14
	v_addc_co_u32_e32 v17, vcc, v32, v15, vcc
	v_add_co_u32_e32 v14, vcc, s10, v14
	v_addc_co_u32_e32 v15, vcc, v33, v15, vcc
	global_load_dwordx2 v[16:17], v[16:17], off
	s_nop 0
	global_load_dwordx2 v[14:15], v[14:15], off
	s_waitcnt vmcnt(0)
	v_add_f64 v[16:17], v[16:17], -v[14:15]
	v_lshlrev_b64 v[14:15], 3, v[0:1]
	v_add_u32_e32 v0, s4, v0
	v_add_co_u32_e32 v18, vcc, s8, v14
	v_addc_co_u32_e32 v19, vcc, v32, v15, vcc
	v_add_co_u32_e32 v14, vcc, s10, v14
	v_addc_co_u32_e32 v15, vcc, v33, v15, vcc
	global_load_dwordx2 v[18:19], v[18:19], off
	v_add_f64 v[12:13], v[12:13], v[16:17]
	global_load_dwordx2 v[14:15], v[14:15], off
	v_add_f64 v[2:3], v[2:3], -v[16:17]
	s_waitcnt vmcnt(0)
	v_add_f64 v[20:21], v[18:19], -v[14:15]
	v_lshlrev_b64 v[14:15], 3, v[0:1]
	v_add_u32_e32 v0, s0, v0
	v_add_co_u32_e32 v18, vcc, s8, v14
	v_addc_co_u32_e32 v19, vcc, v32, v15, vcc
	v_add_co_u32_e32 v14, vcc, s10, v14
	v_addc_co_u32_e32 v15, vcc, v33, v15, vcc
	global_load_dwordx2 v[18:19], v[18:19], off
	v_add_f64 v[12:13], v[12:13], v[20:21]
	global_load_dwordx2 v[14:15], v[14:15], off
	v_add_f64 v[2:3], v[2:3], -v[20:21]
	;; [unrolled: 12-line block ×3, first 2 shown]
	s_waitcnt vmcnt(0)
	v_add_f64 v[18:19], v[18:19], -v[14:15]
	v_lshlrev_b64 v[14:15], 3, v[0:1]
	v_add_co_u32_e32 v22, vcc, s8, v14
	v_addc_co_u32_e32 v23, vcc, v32, v15, vcc
	v_add_co_u32_e32 v14, vcc, s10, v14
	v_addc_co_u32_e32 v15, vcc, v33, v15, vcc
	global_load_dwordx2 v[22:23], v[22:23], off
	v_add_f64 v[12:13], v[12:13], v[18:19]
	global_load_dwordx2 v[14:15], v[14:15], off
	v_add_f64 v[12:13], v[18:19], v[12:13]
	s_waitcnt vmcnt(0)
	v_add_f64 v[22:23], v[22:23], -v[14:15]
	v_mad_u64_u32 v[14:15], s[2:3], s4, 12, v[0:1]
	v_mov_b32_e32 v15, v1
	s_mul_i32 s2, s4, 7
	v_lshlrev_b64 v[26:27], 3, v[14:15]
	v_add_u32_e32 v0, s0, v14
	v_add_co_u32_e32 v28, vcc, s8, v26
	v_addc_co_u32_e32 v29, vcc, v32, v27, vcc
	v_add_co_u32_e32 v26, vcc, s10, v26
	v_addc_co_u32_e32 v27, vcc, v33, v27, vcc
	global_load_dwordx2 v[28:29], v[28:29], off
	v_add_f64 v[12:13], v[12:13], v[22:23]
	global_load_dwordx2 v[26:27], v[26:27], off
	v_lshlrev_b64 v[14:15], 3, v[0:1]
	v_add_u32_e32 v0, s2, v0
	s_lshl_b32 s3, s4, 3
	v_add_f64 v[12:13], v[22:23], v[12:13]
	s_waitcnt vmcnt(0)
	v_add_f64 v[26:27], v[28:29], -v[26:27]
	v_add_f64 v[12:13], v[12:13], v[26:27]
	v_add_co_u32_e32 v26, vcc, s8, v14
	v_addc_co_u32_e32 v27, vcc, v32, v15, vcc
	v_add_co_u32_e32 v14, vcc, s10, v14
	v_addc_co_u32_e32 v15, vcc, v33, v15, vcc
	global_load_dwordx2 v[26:27], v[26:27], off
	s_nop 0
	global_load_dwordx2 v[14:15], v[14:15], off
	s_waitcnt vmcnt(0)
	v_add_f64 v[14:15], v[26:27], -v[14:15]
	v_add_f64 v[12:13], v[12:13], -v[14:15]
	v_lshlrev_b64 v[14:15], 3, v[0:1]
	v_add_u32_e32 v0, s3, v0
	v_add_co_u32_e32 v26, vcc, s8, v14
	v_addc_co_u32_e32 v27, vcc, v32, v15, vcc
	v_add_co_u32_e32 v14, vcc, s10, v14
	v_addc_co_u32_e32 v15, vcc, v33, v15, vcc
	global_load_dwordx2 v[26:27], v[26:27], off
	s_nop 0
	global_load_dwordx2 v[14:15], v[14:15], off
	s_waitcnt vmcnt(0)
	v_add_f64 v[14:15], v[26:27], -v[14:15]
	v_add_f64 v[12:13], v[12:13], v[14:15]
	v_lshlrev_b64 v[14:15], 3, v[0:1]
	v_add_u32_e32 v0, s3, v0
	v_add_co_u32_e32 v26, vcc, s8, v14
	v_addc_co_u32_e32 v27, vcc, v32, v15, vcc
	v_add_co_u32_e32 v14, vcc, s10, v14
	v_addc_co_u32_e32 v15, vcc, v33, v15, vcc
	global_load_dwordx2 v[26:27], v[26:27], off
	s_mul_i32 s3, s4, 6
	global_load_dwordx2 v[14:15], v[14:15], off
	s_waitcnt vmcnt(0)
	v_add_f64 v[14:15], v[26:27], -v[14:15]
	v_add_f64 v[12:13], v[12:13], v[14:15]
	v_lshlrev_b64 v[14:15], 3, v[0:1]
	v_add_u32_e32 v0, s4, v0
	v_add_co_u32_e32 v26, vcc, s8, v14
	v_addc_co_u32_e32 v27, vcc, v32, v15, vcc
	v_add_co_u32_e32 v14, vcc, s10, v14
	v_addc_co_u32_e32 v15, vcc, v33, v15, vcc
	global_load_dwordx2 v[26:27], v[26:27], off
	s_nop 0
	global_load_dwordx2 v[14:15], v[14:15], off
	s_waitcnt vmcnt(0)
	v_add_f64 v[26:27], v[26:27], -v[14:15]
	v_lshlrev_b64 v[14:15], 3, v[0:1]
	v_add_u32_e32 v0, s4, v0
	v_add_co_u32_e32 v28, vcc, s8, v14
	v_addc_co_u32_e32 v29, vcc, v32, v15, vcc
	v_add_co_u32_e32 v14, vcc, s10, v14
	v_addc_co_u32_e32 v15, vcc, v33, v15, vcc
	global_load_dwordx2 v[28:29], v[28:29], off
	v_add_f64 v[12:13], v[12:13], -v[26:27]
	global_load_dwordx2 v[14:15], v[14:15], off
	s_waitcnt vmcnt(0)
	v_add_f64 v[14:15], v[28:29], -v[14:15]
	v_add_f64 v[12:13], v[12:13], -v[14:15]
	v_lshlrev_b64 v[14:15], 3, v[0:1]
	v_add_u32_e32 v0, s4, v0
	v_add_co_u32_e32 v28, vcc, s8, v14
	v_addc_co_u32_e32 v29, vcc, v32, v15, vcc
	v_add_co_u32_e32 v14, vcc, s10, v14
	v_addc_co_u32_e32 v15, vcc, v33, v15, vcc
	global_load_dwordx2 v[28:29], v[28:29], off
	s_nop 0
	global_load_dwordx2 v[14:15], v[14:15], off
	s_waitcnt vmcnt(0)
	v_add_f64 v[14:15], v[28:29], -v[14:15]
	v_add_f64 v[12:13], v[12:13], -v[14:15]
	v_lshlrev_b64 v[14:15], 3, v[0:1]
	v_add_u32_e32 v0, s0, v0
	v_add_co_u32_e32 v28, vcc, s8, v14
	v_addc_co_u32_e32 v29, vcc, v32, v15, vcc
	v_add_co_u32_e32 v14, vcc, s10, v14
	v_addc_co_u32_e32 v15, vcc, v33, v15, vcc
	global_load_dwordx2 v[28:29], v[28:29], off
	s_nop 0
	global_load_dwordx2 v[14:15], v[14:15], off
	s_waitcnt vmcnt(0)
	v_add_f64 v[14:15], v[28:29], -v[14:15]
	v_add_f64 v[12:13], v[12:13], v[14:15]
	v_lshlrev_b64 v[14:15], 3, v[0:1]
	v_add_co_u32_e32 v28, vcc, s8, v14
	v_addc_co_u32_e32 v29, vcc, v32, v15, vcc
	v_add_co_u32_e32 v14, vcc, s10, v14
	v_addc_co_u32_e32 v15, vcc, v33, v15, vcc
	global_load_dwordx2 v[28:29], v[28:29], off
	s_nop 0
	global_load_dwordx2 v[14:15], v[14:15], off
	s_waitcnt vmcnt(0)
	v_add_f64 v[14:15], v[28:29], -v[14:15]
	v_add_f64 v[12:13], v[12:13], v[14:15]
	v_mad_u64_u32 v[14:15], s[6:7], s4, 10, v[0:1]
	v_mov_b32_e32 v15, v1
	v_lshlrev_b64 v[28:29], 3, v[14:15]
	v_mad_u64_u32 v[14:15], s[6:7], s4, 9, v[14:15]
	v_add_co_u32_e32 v30, vcc, s8, v28
	v_addc_co_u32_e32 v31, vcc, v32, v29, vcc
	v_add_co_u32_e32 v28, vcc, s10, v28
	v_addc_co_u32_e32 v29, vcc, v33, v29, vcc
	global_load_dwordx2 v[30:31], v[30:31], off
	v_mov_b32_e32 v15, v1
	global_load_dwordx2 v[28:29], v[28:29], off
	v_add_u32_e32 v0, s4, v14
	s_waitcnt vmcnt(0)
	v_add_f64 v[28:29], v[30:31], -v[28:29]
	v_add_f64 v[12:13], v[12:13], v[28:29]
	v_lshlrev_b64 v[28:29], 3, v[14:15]
	v_lshlrev_b64 v[14:15], 3, v[0:1]
	v_add_co_u32_e32 v30, vcc, s8, v28
	v_addc_co_u32_e32 v31, vcc, v32, v29, vcc
	v_add_co_u32_e32 v28, vcc, s10, v28
	v_addc_co_u32_e32 v29, vcc, v33, v29, vcc
	global_load_dwordx2 v[30:31], v[30:31], off
	s_nop 0
	global_load_dwordx2 v[28:29], v[28:29], off
	s_waitcnt vmcnt(0)
	v_add_f64 v[28:29], v[30:31], -v[28:29]
	v_add_co_u32_e32 v30, vcc, s8, v14
	v_addc_co_u32_e32 v31, vcc, v32, v15, vcc
	v_add_co_u32_e32 v14, vcc, s10, v14
	v_addc_co_u32_e32 v15, vcc, v33, v15, vcc
	global_load_dwordx2 v[30:31], v[30:31], off
	v_add_f64 v[12:13], v[12:13], -v[28:29]
	global_load_dwordx2 v[14:15], v[14:15], off
	s_waitcnt vmcnt(0)
	v_add_f64 v[14:15], v[30:31], -v[14:15]
	v_add_f64 v[12:13], v[12:13], -v[14:15]
	v_mad_u64_u32 v[14:15], s[6:7], s4, 3, v[0:1]
	v_mov_b32_e32 v15, v1
	v_lshlrev_b64 v[30:31], 3, v[14:15]
	v_add_u32_e32 v0, s1, v14
	v_add_co_u32_e32 v34, vcc, s8, v30
	v_addc_co_u32_e32 v35, vcc, v32, v31, vcc
	v_add_co_u32_e32 v30, vcc, s10, v30
	v_addc_co_u32_e32 v31, vcc, v33, v31, vcc
	global_load_dwordx2 v[34:35], v[34:35], off
	v_lshlrev_b64 v[14:15], 3, v[0:1]
	global_load_dwordx2 v[30:31], v[30:31], off
	v_add_u32_e32 v0, s3, v0
	s_waitcnt vmcnt(0)
	v_add_f64 v[30:31], v[34:35], -v[30:31]
	v_add_f64 v[12:13], v[12:13], v[30:31]
	v_add_co_u32_e32 v30, vcc, s8, v14
	v_addc_co_u32_e32 v31, vcc, v32, v15, vcc
	v_add_co_u32_e32 v14, vcc, s10, v14
	v_addc_co_u32_e32 v15, vcc, v33, v15, vcc
	global_load_dwordx2 v[30:31], v[30:31], off
	s_nop 0
	global_load_dwordx2 v[14:15], v[14:15], off
	s_waitcnt vmcnt(0)
	v_add_f64 v[14:15], v[30:31], -v[14:15]
	v_add_f64 v[12:13], v[12:13], v[14:15]
	v_lshlrev_b64 v[14:15], 3, v[0:1]
	v_add_u32_e32 v0, s4, v0
	v_add_co_u32_e32 v30, vcc, s8, v14
	v_addc_co_u32_e32 v31, vcc, v32, v15, vcc
	v_add_co_u32_e32 v14, vcc, s10, v14
	v_addc_co_u32_e32 v15, vcc, v33, v15, vcc
	global_load_dwordx2 v[30:31], v[30:31], off
	s_nop 0
	global_load_dwordx2 v[14:15], v[14:15], off
	s_waitcnt vmcnt(0)
	v_add_f64 v[14:15], v[30:31], -v[14:15]
	v_add_f64 v[12:13], v[12:13], v[14:15]
	v_lshlrev_b64 v[14:15], 3, v[0:1]
	v_add_u32_e32 v0, s2, v0
	v_add_co_u32_e32 v30, vcc, s8, v14
	v_addc_co_u32_e32 v31, vcc, v32, v15, vcc
	v_add_co_u32_e32 v14, vcc, s10, v14
	v_addc_co_u32_e32 v15, vcc, v33, v15, vcc
	global_load_dwordx2 v[30:31], v[30:31], off
	s_nop 0
	global_load_dwordx2 v[14:15], v[14:15], off
	s_waitcnt vmcnt(0)
	v_add_f64 v[30:31], v[30:31], -v[14:15]
	v_lshlrev_b64 v[14:15], 3, v[0:1]
	v_add_u32_e32 v0, s0, v0
	v_add_co_u32_e32 v34, vcc, s8, v14
	v_addc_co_u32_e32 v35, vcc, v32, v15, vcc
	v_add_co_u32_e32 v14, vcc, s10, v14
	v_addc_co_u32_e32 v15, vcc, v33, v15, vcc
	global_load_dwordx2 v[34:35], v[34:35], off
	v_add_f64 v[12:13], v[12:13], -v[30:31]
	global_load_dwordx2 v[14:15], v[14:15], off
	s_waitcnt vmcnt(0)
	v_add_f64 v[14:15], v[34:35], -v[14:15]
	v_add_f64 v[12:13], v[12:13], v[14:15]
	v_lshlrev_b64 v[14:15], 3, v[0:1]
	v_add_u32_e32 v0, s1, v0
	v_add_co_u32_e32 v34, vcc, s8, v14
	v_addc_co_u32_e32 v35, vcc, v32, v15, vcc
	v_add_co_u32_e32 v14, vcc, s10, v14
	v_addc_co_u32_e32 v15, vcc, v33, v15, vcc
	global_load_dwordx2 v[34:35], v[34:35], off
	s_nop 0
	global_load_dwordx2 v[14:15], v[14:15], off
	s_waitcnt vmcnt(0)
	v_add_f64 v[14:15], v[34:35], -v[14:15]
	v_add_f64 v[14:15], v[12:13], v[14:15]
	v_lshlrev_b64 v[12:13], 3, v[0:1]
	v_add_u32_e32 v0, s4, v0
	v_add_co_u32_e32 v34, vcc, s8, v12
	v_addc_co_u32_e32 v35, vcc, v32, v13, vcc
	v_add_co_u32_e32 v12, vcc, s10, v12
	v_addc_co_u32_e32 v13, vcc, v33, v13, vcc
	global_load_dwordx2 v[34:35], v[34:35], off
	s_nop 0
	global_load_dwordx2 v[12:13], v[12:13], off
	s_waitcnt vmcnt(0)
	v_add_f64 v[12:13], v[34:35], -v[12:13]
	v_lshlrev_b64 v[34:35], 3, v[0:1]
	v_add_u32_e32 v0, s3, v0
	v_add_co_u32_e32 v36, vcc, s8, v34
	v_addc_co_u32_e32 v37, vcc, v32, v35, vcc
	v_add_co_u32_e32 v34, vcc, s10, v34
	v_addc_co_u32_e32 v35, vcc, v33, v35, vcc
	global_load_dwordx2 v[36:37], v[36:37], off
	v_add_f64 v[14:15], v[14:15], -v[12:13]
	global_load_dwordx2 v[34:35], v[34:35], off
	s_load_dwordx4 s[0:3], s[16:17], 0x40
	s_waitcnt vmcnt(0)
	v_add_f64 v[34:35], v[36:37], -v[34:35]
	v_add_f64 v[34:35], v[14:15], v[34:35]
	v_lshlrev_b64 v[14:15], 3, v[0:1]
	v_add_u32_e32 v0, s4, v0
	v_add_co_u32_e32 v36, vcc, s8, v14
	v_addc_co_u32_e32 v37, vcc, v32, v15, vcc
	v_add_co_u32_e32 v14, vcc, s10, v14
	v_addc_co_u32_e32 v15, vcc, v33, v15, vcc
	global_load_dwordx2 v[36:37], v[36:37], off
	s_nop 0
	global_load_dwordx2 v[14:15], v[14:15], off
	s_waitcnt vmcnt(0)
	v_add_f64 v[14:15], v[36:37], -v[14:15]
	v_lshlrev_b64 v[36:37], 3, v[0:1]
	v_add_co_u32_e32 v38, vcc, s8, v36
	v_addc_co_u32_e32 v39, vcc, v32, v37, vcc
	v_add_co_u32_e32 v36, vcc, s10, v36
	v_addc_co_u32_e32 v37, vcc, v33, v37, vcc
	global_load_dwordx2 v[38:39], v[38:39], off
	v_add_f64 v[34:35], v[34:35], -v[14:15]
	global_load_dwordx2 v[36:37], v[36:37], off
	s_waitcnt vmcnt(0)
	v_add_f64 v[36:37], v[38:39], -v[36:37]
	v_add_f64 v[34:35], v[34:35], v[36:37]
	v_mul_f64 v[34:35], s[14:15], v[34:35]
	s_waitcnt lgkmcnt(0)
	v_mul_f64 v[35:36], s[0:1], v[34:35]
	s_mul_i32 s0, s4, 0xffffff3b
	v_add_u32_e32 v0, s0, v0
	v_lshlrev_b64 v[37:38], 3, v[0:1]
	s_mul_i32 s0, s4, 0x60
	v_add_u32_e32 v0, s0, v0
	v_add_co_u32_e32 v37, vcc, s12, v37
	v_mov_b32_e32 v34, s13
	v_lshlrev_b64 v[4:5], 3, v[0:1]
	v_addc_co_u32_e32 v38, vcc, v34, v38, vcc
	v_add_co_u32_e32 v6, vcc, s8, v4
	v_addc_co_u32_e32 v7, vcc, v32, v5, vcc
	v_add_co_u32_e32 v4, vcc, s10, v4
	v_addc_co_u32_e32 v5, vcc, v33, v5, vcc
	global_load_dwordx2 v[6:7], v[6:7], off
	s_nop 0
	global_load_dwordx2 v[4:5], v[4:5], off
	s_waitcnt vmcnt(0)
	v_add_f64 v[4:5], v[6:7], -v[4:5]
	v_mad_u64_u32 v[6:7], s[0:1], s4, 61, v[0:1]
	v_mov_b32_e32 v7, v1
	global_store_dwordx2 v[37:38], v[35:36], off
	v_add_f64 v[2:3], v[2:3], -v[4:5]
	v_lshlrev_b64 v[4:5], 3, v[6:7]
	v_add_co_u32_e32 v7, vcc, s8, v4
	v_addc_co_u32_e32 v8, vcc, v32, v5, vcc
	v_add_co_u32_e32 v4, vcc, s10, v4
	v_addc_co_u32_e32 v5, vcc, v33, v5, vcc
	global_load_dwordx2 v[7:8], v[7:8], off
	v_add_f64 v[2:3], v[2:3], -v[18:19]
	global_load_dwordx2 v[4:5], v[4:5], off
	v_add_f64 v[2:3], v[2:3], -v[22:23]
	v_add_f64 v[2:3], v[26:27], v[2:3]
	s_waitcnt vmcnt(0)
	v_add_f64 v[4:5], v[7:8], -v[4:5]
	v_add_f64 v[2:3], v[4:5], v[2:3]
	v_add_f64 v[2:3], v[28:29], v[2:3]
	;; [unrolled: 1-line block ×3, first 2 shown]
	v_mad_u64_u32 v[2:3], s[0:1], s4, 20, v[6:7]
	v_mov_b32_e32 v3, v1
	s_mulk_i32 s4, 0xff50
	v_lshlrev_b64 v[8:9], 3, v[2:3]
	v_add_u32_e32 v0, s4, v2
	v_add_co_u32_e32 v6, vcc, s8, v8
	v_addc_co_u32_e32 v7, vcc, v32, v9, vcc
	v_add_co_u32_e32 v8, vcc, s10, v8
	v_addc_co_u32_e32 v9, vcc, v33, v9, vcc
	global_load_dwordx2 v[6:7], v[6:7], off
	v_lshlrev_b64 v[0:1], 3, v[0:1]
	global_load_dwordx2 v[8:9], v[8:9], off
	v_add_co_u32_e32 v0, vcc, s12, v0
	v_addc_co_u32_e32 v1, vcc, v34, v1, vcc
	s_waitcnt vmcnt(0)
	v_add_f64 v[6:7], v[6:7], -v[8:9]
	v_add_f64 v[3:4], v[6:7], v[4:5]
	v_add_f64 v[3:4], v[12:13], v[3:4]
	;; [unrolled: 1-line block ×3, first 2 shown]
	v_mul_f64 v[3:4], s[14:15], v[3:4]
	v_mul_f64 v[3:4], s[2:3], v[3:4]
	global_store_dwordx2 v[0:1], v[3:4], off
	s_endpgm
	.section	.rodata,"a",@progbits
	.p2align	6, 0x0
	.amdhsa_kernel _Z14rdwdot7_kernelIdEvPKT_S2_PS0_S0_S2_
		.amdhsa_group_segment_fixed_size 0
		.amdhsa_private_segment_fixed_size 0
		.amdhsa_kernarg_size 296
		.amdhsa_user_sgpr_count 6
		.amdhsa_user_sgpr_private_segment_buffer 1
		.amdhsa_user_sgpr_dispatch_ptr 0
		.amdhsa_user_sgpr_queue_ptr 0
		.amdhsa_user_sgpr_kernarg_segment_ptr 1
		.amdhsa_user_sgpr_dispatch_id 0
		.amdhsa_user_sgpr_flat_scratch_init 0
		.amdhsa_user_sgpr_private_segment_size 0
		.amdhsa_uses_dynamic_stack 0
		.amdhsa_system_sgpr_private_segment_wavefront_offset 0
		.amdhsa_system_sgpr_workgroup_id_x 1
		.amdhsa_system_sgpr_workgroup_id_y 0
		.amdhsa_system_sgpr_workgroup_id_z 0
		.amdhsa_system_sgpr_workgroup_info 0
		.amdhsa_system_vgpr_workitem_id 0
		.amdhsa_next_free_vgpr 40
		.amdhsa_next_free_sgpr 18
		.amdhsa_reserve_vcc 1
		.amdhsa_reserve_flat_scratch 0
		.amdhsa_float_round_mode_32 0
		.amdhsa_float_round_mode_16_64 0
		.amdhsa_float_denorm_mode_32 3
		.amdhsa_float_denorm_mode_16_64 3
		.amdhsa_dx10_clamp 1
		.amdhsa_ieee_mode 1
		.amdhsa_fp16_overflow 0
		.amdhsa_exception_fp_ieee_invalid_op 0
		.amdhsa_exception_fp_denorm_src 0
		.amdhsa_exception_fp_ieee_div_zero 0
		.amdhsa_exception_fp_ieee_overflow 0
		.amdhsa_exception_fp_ieee_underflow 0
		.amdhsa_exception_fp_ieee_inexact 0
		.amdhsa_exception_int_div_zero 0
	.end_amdhsa_kernel
	.section	.text._Z14rdwdot7_kernelIdEvPKT_S2_PS0_S0_S2_,"axG",@progbits,_Z14rdwdot7_kernelIdEvPKT_S2_PS0_S0_S2_,comdat
.Lfunc_end50:
	.size	_Z14rdwdot7_kernelIdEvPKT_S2_PS0_S0_S2_, .Lfunc_end50-_Z14rdwdot7_kernelIdEvPKT_S2_PS0_S0_S2_
                                        ; -- End function
	.set _Z14rdwdot7_kernelIdEvPKT_S2_PS0_S0_S2_.num_vgpr, 40
	.set _Z14rdwdot7_kernelIdEvPKT_S2_PS0_S0_S2_.num_agpr, 0
	.set _Z14rdwdot7_kernelIdEvPKT_S2_PS0_S0_S2_.numbered_sgpr, 18
	.set _Z14rdwdot7_kernelIdEvPKT_S2_PS0_S0_S2_.num_named_barrier, 0
	.set _Z14rdwdot7_kernelIdEvPKT_S2_PS0_S0_S2_.private_seg_size, 0
	.set _Z14rdwdot7_kernelIdEvPKT_S2_PS0_S0_S2_.uses_vcc, 1
	.set _Z14rdwdot7_kernelIdEvPKT_S2_PS0_S0_S2_.uses_flat_scratch, 0
	.set _Z14rdwdot7_kernelIdEvPKT_S2_PS0_S0_S2_.has_dyn_sized_stack, 0
	.set _Z14rdwdot7_kernelIdEvPKT_S2_PS0_S0_S2_.has_recursion, 0
	.set _Z14rdwdot7_kernelIdEvPKT_S2_PS0_S0_S2_.has_indirect_call, 0
	.section	.AMDGPU.csdata,"",@progbits
; Kernel info:
; codeLenInByte = 3876
; TotalNumSgprs: 22
; NumVgprs: 40
; ScratchSize: 0
; MemoryBound: 0
; FloatMode: 240
; IeeeMode: 1
; LDSByteSize: 0 bytes/workgroup (compile time only)
; SGPRBlocks: 2
; VGPRBlocks: 9
; NumSGPRsForWavesPerEU: 22
; NumVGPRsForWavesPerEU: 40
; Occupancy: 6
; WaveLimiterHint : 0
; COMPUTE_PGM_RSRC2:SCRATCH_EN: 0
; COMPUTE_PGM_RSRC2:USER_SGPR: 6
; COMPUTE_PGM_RSRC2:TRAP_HANDLER: 0
; COMPUTE_PGM_RSRC2:TGID_X_EN: 1
; COMPUTE_PGM_RSRC2:TGID_Y_EN: 0
; COMPUTE_PGM_RSRC2:TGID_Z_EN: 0
; COMPUTE_PGM_RSRC2:TIDIG_COMP_CNT: 0
	.section	.text._Z14rdwdot8_kernelIdEvPKT_S2_PS0_S0_S2_,"axG",@progbits,_Z14rdwdot8_kernelIdEvPKT_S2_PS0_S0_S2_,comdat
	.protected	_Z14rdwdot8_kernelIdEvPKT_S2_PS0_S0_S2_ ; -- Begin function _Z14rdwdot8_kernelIdEvPKT_S2_PS0_S0_S2_
	.globl	_Z14rdwdot8_kernelIdEvPKT_S2_PS0_S0_S2_
	.p2align	8
	.type	_Z14rdwdot8_kernelIdEvPKT_S2_PS0_S0_S2_,@function
_Z14rdwdot8_kernelIdEvPKT_S2_PS0_S0_S2_: ; @_Z14rdwdot8_kernelIdEvPKT_S2_PS0_S0_S2_
; %bb.0:
	s_load_dwordx8 s[8:15], s[4:5], 0x0
	s_load_dwordx2 s[16:17], s[4:5], 0x20
	s_load_dword s0, s[4:5], 0x28
	s_load_dword s1, s[4:5], 0x34
	v_mov_b32_e32 v1, 0
	s_waitcnt lgkmcnt(0)
	v_mov_b32_e32 v22, s9
	v_mov_b32_e32 v23, s11
	s_and_b32 s1, s1, 0xffff
	s_mul_i32 s4, s0, s1
	s_mul_i32 s0, s4, 11
	s_mul_i32 s6, s6, s1
	s_add_i32 s1, s0, s6
	v_add_u32_e32 v0, s1, v0
	v_lshlrev_b64 v[2:3], 3, v[0:1]
	v_add_u32_e32 v0, s4, v0
	v_add_co_u32_e32 v4, vcc, s8, v2
	v_addc_co_u32_e32 v5, vcc, v22, v3, vcc
	v_add_co_u32_e32 v2, vcc, s10, v2
	v_addc_co_u32_e32 v3, vcc, v23, v3, vcc
	global_load_dwordx2 v[4:5], v[4:5], off
	s_mul_i32 s2, s4, 7
	global_load_dwordx2 v[2:3], v[2:3], off
	s_mul_i32 s1, s4, 3
	s_lshl_b32 s5, s4, 3
	s_waitcnt vmcnt(0)
	v_add_f64 v[2:3], v[4:5], -v[2:3]
	v_lshlrev_b64 v[4:5], 3, v[0:1]
	v_add_u32_e32 v0, s4, v0
	v_add_co_u32_e32 v6, vcc, s8, v4
	v_addc_co_u32_e32 v7, vcc, v22, v5, vcc
	v_add_co_u32_e32 v4, vcc, s10, v4
	v_addc_co_u32_e32 v5, vcc, v23, v5, vcc
	global_load_dwordx2 v[6:7], v[6:7], off
	s_nop 0
	global_load_dwordx2 v[4:5], v[4:5], off
	s_waitcnt vmcnt(0)
	v_add_f64 v[4:5], v[6:7], -v[4:5]
	v_add_f64 v[2:3], v[2:3], v[4:5]
	v_lshlrev_b64 v[4:5], 3, v[0:1]
	v_add_u32_e32 v0, s4, v0
	v_add_co_u32_e32 v6, vcc, s8, v4
	v_addc_co_u32_e32 v7, vcc, v22, v5, vcc
	v_add_co_u32_e32 v4, vcc, s10, v4
	v_addc_co_u32_e32 v5, vcc, v23, v5, vcc
	global_load_dwordx2 v[6:7], v[6:7], off
	s_nop 0
	global_load_dwordx2 v[4:5], v[4:5], off
	s_waitcnt vmcnt(0)
	v_add_f64 v[4:5], v[6:7], -v[4:5]
	v_add_f64 v[2:3], v[2:3], v[4:5]
	;; [unrolled: 12-line block ×3, first 2 shown]
	v_lshlrev_b64 v[2:3], 3, v[0:1]
	v_add_u32_e32 v0, s4, v0
	v_add_co_u32_e32 v6, vcc, s8, v2
	v_addc_co_u32_e32 v7, vcc, v22, v3, vcc
	v_add_co_u32_e32 v2, vcc, s10, v2
	v_addc_co_u32_e32 v3, vcc, v23, v3, vcc
	global_load_dwordx2 v[6:7], v[6:7], off
	s_nop 0
	global_load_dwordx2 v[2:3], v[2:3], off
	s_waitcnt vmcnt(0)
	v_add_f64 v[2:3], v[6:7], -v[2:3]
	v_lshlrev_b64 v[6:7], 3, v[0:1]
	v_lshl_add_u32 v0, s4, 2, v0
	v_add_co_u32_e32 v8, vcc, s8, v6
	v_addc_co_u32_e32 v9, vcc, v22, v7, vcc
	v_add_co_u32_e32 v6, vcc, s10, v6
	v_addc_co_u32_e32 v7, vcc, v23, v7, vcc
	global_load_dwordx2 v[8:9], v[8:9], off
	s_nop 0
	global_load_dwordx2 v[6:7], v[6:7], off
	s_waitcnt vmcnt(0)
	v_add_f64 v[6:7], v[8:9], -v[6:7]
	v_add_f64 v[10:11], v[2:3], v[6:7]
	v_lshlrev_b64 v[2:3], 3, v[0:1]
	v_add_u32_e32 v0, s4, v0
	v_add_co_u32_e32 v6, vcc, s8, v2
	v_addc_co_u32_e32 v7, vcc, v22, v3, vcc
	v_add_co_u32_e32 v2, vcc, s10, v2
	v_addc_co_u32_e32 v3, vcc, v23, v3, vcc
	global_load_dwordx2 v[6:7], v[6:7], off
	s_nop 0
	global_load_dwordx2 v[2:3], v[2:3], off
	s_waitcnt vmcnt(0)
	v_add_f64 v[2:3], v[6:7], -v[2:3]
	v_lshlrev_b64 v[6:7], 3, v[0:1]
	v_add_co_u32_e32 v8, vcc, s8, v6
	v_addc_co_u32_e32 v9, vcc, v22, v7, vcc
	v_add_co_u32_e32 v6, vcc, s10, v6
	v_addc_co_u32_e32 v7, vcc, v23, v7, vcc
	global_load_dwordx2 v[8:9], v[8:9], off
	s_nop 0
	global_load_dwordx2 v[6:7], v[6:7], off
	s_waitcnt vmcnt(0)
	v_add_f64 v[6:7], v[8:9], -v[6:7]
	v_add_f64 v[2:3], v[2:3], v[6:7]
	v_mad_u64_u32 v[6:7], s[6:7], s4, -11, v[0:1]
	v_mov_b32_e32 v7, v1
	v_lshlrev_b64 v[7:8], 3, v[6:7]
	v_add_u32_e32 v0, s4, v6
	v_add_co_u32_e32 v12, vcc, s8, v7
	v_addc_co_u32_e32 v13, vcc, v22, v8, vcc
	v_add_co_u32_e32 v7, vcc, s10, v7
	v_addc_co_u32_e32 v8, vcc, v23, v8, vcc
	global_load_dwordx2 v[12:13], v[12:13], off
	s_nop 0
	global_load_dwordx2 v[7:8], v[7:8], off
	s_waitcnt vmcnt(0)
	v_add_f64 v[7:8], v[12:13], -v[7:8]
	v_add_f64 v[4:5], v[4:5], -v[7:8]
	v_lshlrev_b64 v[6:7], 3, v[0:1]
	v_add_u32_e32 v0, s4, v0
	v_add_co_u32_e32 v8, vcc, s8, v6
	v_addc_co_u32_e32 v9, vcc, v22, v7, vcc
	v_add_co_u32_e32 v6, vcc, s10, v6
	v_addc_co_u32_e32 v7, vcc, v23, v7, vcc
	global_load_dwordx2 v[8:9], v[8:9], off
	s_nop 0
	global_load_dwordx2 v[6:7], v[6:7], off
	s_waitcnt vmcnt(0)
	v_add_f64 v[6:7], v[8:9], -v[6:7]
	v_add_f64 v[4:5], v[4:5], -v[6:7]
	;; [unrolled: 12-line block ×5, first 2 shown]
	v_lshlrev_b64 v[6:7], 3, v[0:1]
	v_lshl_add_u32 v0, s4, 1, v0
	v_add_co_u32_e32 v8, vcc, s8, v6
	v_addc_co_u32_e32 v9, vcc, v22, v7, vcc
	v_add_co_u32_e32 v6, vcc, s10, v6
	v_addc_co_u32_e32 v7, vcc, v23, v7, vcc
	global_load_dwordx2 v[8:9], v[8:9], off
	v_add_f64 v[4:5], v[4:5], -v[10:11]
	global_load_dwordx2 v[6:7], v[6:7], off
	v_add_f64 v[4:5], v[4:5], -v[10:11]
	s_waitcnt vmcnt(0)
	v_add_f64 v[14:15], v[8:9], -v[6:7]
	v_add_f64 v[6:7], v[14:15], v[4:5]
	v_lshlrev_b64 v[4:5], 3, v[0:1]
	v_add_u32_e32 v0, s2, v0
	v_add_co_u32_e32 v8, vcc, s8, v4
	v_addc_co_u32_e32 v9, vcc, v22, v5, vcc
	v_add_co_u32_e32 v4, vcc, s10, v4
	v_addc_co_u32_e32 v5, vcc, v23, v5, vcc
	global_load_dwordx2 v[8:9], v[8:9], off
	s_nop 0
	global_load_dwordx2 v[4:5], v[4:5], off
	s_waitcnt vmcnt(0)
	v_add_f64 v[4:5], v[8:9], -v[4:5]
	v_lshlrev_b64 v[8:9], 3, v[0:1]
	v_add_co_u32_e32 v12, vcc, s8, v8
	v_addc_co_u32_e32 v13, vcc, v22, v9, vcc
	v_add_co_u32_e32 v8, vcc, s10, v8
	v_addc_co_u32_e32 v9, vcc, v23, v9, vcc
	global_load_dwordx2 v[12:13], v[12:13], off
	v_add_f64 v[6:7], v[6:7], v[4:5]
	global_load_dwordx2 v[8:9], v[8:9], off
	v_add_f64 v[6:7], v[2:3], v[6:7]
	s_waitcnt vmcnt(0)
	v_add_f64 v[8:9], v[12:13], -v[8:9]
	v_add_f64 v[6:7], v[6:7], -v[8:9]
	v_mad_u64_u32 v[8:9], s[2:3], s4, 14, v[0:1]
	v_mov_b32_e32 v9, v1
	v_lshlrev_b64 v[12:13], 3, v[8:9]
	v_add_u32_e32 v0, s5, v8
	v_add_co_u32_e32 v16, vcc, s8, v12
	v_addc_co_u32_e32 v17, vcc, v22, v13, vcc
	v_add_co_u32_e32 v12, vcc, s10, v12
	v_addc_co_u32_e32 v13, vcc, v23, v13, vcc
	global_load_dwordx2 v[16:17], v[16:17], off
	v_lshlrev_b64 v[8:9], 3, v[0:1]
	global_load_dwordx2 v[12:13], v[12:13], off
	s_waitcnt vmcnt(0)
	v_add_f64 v[12:13], v[16:17], -v[12:13]
	v_add_f64 v[6:7], v[6:7], v[12:13]
	v_add_co_u32_e32 v12, vcc, s8, v8
	v_addc_co_u32_e32 v13, vcc, v22, v9, vcc
	v_add_co_u32_e32 v8, vcc, s10, v8
	v_addc_co_u32_e32 v9, vcc, v23, v9, vcc
	global_load_dwordx2 v[12:13], v[12:13], off
	s_nop 0
	global_load_dwordx2 v[8:9], v[8:9], off
	s_waitcnt vmcnt(0)
	v_add_f64 v[8:9], v[12:13], -v[8:9]
	v_add_f64 v[6:7], v[6:7], -v[8:9]
	v_mad_u64_u32 v[8:9], s[2:3], s4, 20, v[0:1]
	v_mov_b32_e32 v9, v1
	v_lshlrev_b64 v[12:13], 3, v[8:9]
	v_add_u32_e32 v0, s4, v8
	v_add_co_u32_e32 v16, vcc, s8, v12
	v_addc_co_u32_e32 v17, vcc, v22, v13, vcc
	v_add_co_u32_e32 v12, vcc, s10, v12
	v_addc_co_u32_e32 v13, vcc, v23, v13, vcc
	global_load_dwordx2 v[16:17], v[16:17], off
	s_nop 0
	global_load_dwordx2 v[12:13], v[12:13], off
	s_waitcnt vmcnt(0)
	v_add_f64 v[12:13], v[16:17], -v[12:13]
	v_add_f64 v[12:13], v[6:7], v[12:13]
	v_lshlrev_b64 v[6:7], 3, v[0:1]
	v_add_u32_e32 v0, s5, v0
	v_add_co_u32_e32 v8, vcc, s8, v6
	v_addc_co_u32_e32 v9, vcc, v22, v7, vcc
	v_add_co_u32_e32 v6, vcc, s10, v6
	v_addc_co_u32_e32 v7, vcc, v23, v7, vcc
	global_load_dwordx2 v[8:9], v[8:9], off
	s_mul_i32 s5, s4, 9
	global_load_dwordx2 v[6:7], v[6:7], off
	s_waitcnt vmcnt(0)
	v_add_f64 v[6:7], v[8:9], -v[6:7]
	v_add_f64 v[8:9], v[12:13], -v[6:7]
	v_lshlrev_b64 v[12:13], 3, v[0:1]
	v_add_u32_e32 v0, s4, v0
	v_add_co_u32_e32 v16, vcc, s8, v12
	v_addc_co_u32_e32 v17, vcc, v22, v13, vcc
	v_add_co_u32_e32 v12, vcc, s10, v12
	v_addc_co_u32_e32 v13, vcc, v23, v13, vcc
	global_load_dwordx2 v[16:17], v[16:17], off
	s_nop 0
	global_load_dwordx2 v[12:13], v[12:13], off
	s_waitcnt vmcnt(0)
	v_add_f64 v[12:13], v[16:17], -v[12:13]
	v_add_f64 v[8:9], v[8:9], -v[12:13]
	v_lshlrev_b64 v[12:13], 3, v[0:1]
	v_add_u32_e32 v0, s4, v0
	v_add_co_u32_e32 v16, vcc, s8, v12
	v_addc_co_u32_e32 v17, vcc, v22, v13, vcc
	v_add_co_u32_e32 v12, vcc, s10, v12
	v_addc_co_u32_e32 v13, vcc, v23, v13, vcc
	global_load_dwordx2 v[16:17], v[16:17], off
	s_nop 0
	global_load_dwordx2 v[12:13], v[12:13], off
	s_waitcnt vmcnt(0)
	v_add_f64 v[12:13], v[16:17], -v[12:13]
	v_add_f64 v[12:13], v[8:9], -v[12:13]
	v_lshlrev_b64 v[8:9], 3, v[0:1]
	v_add_co_u32_e32 v16, vcc, s8, v8
	v_addc_co_u32_e32 v17, vcc, v22, v9, vcc
	v_add_co_u32_e32 v8, vcc, s10, v8
	v_addc_co_u32_e32 v9, vcc, v23, v9, vcc
	global_load_dwordx2 v[16:17], v[16:17], off
	s_nop 0
	global_load_dwordx2 v[8:9], v[8:9], off
	s_waitcnt vmcnt(0)
	v_add_f64 v[8:9], v[16:17], -v[8:9]
	v_mad_u64_u32 v[16:17], s[2:3], s4, 15, v[0:1]
	v_mov_b32_e32 v17, v1
	v_lshlrev_b64 v[17:18], 3, v[16:17]
	v_add_co_u32_e32 v19, vcc, s8, v17
	v_addc_co_u32_e32 v20, vcc, v22, v18, vcc
	v_add_co_u32_e32 v17, vcc, s10, v17
	v_addc_co_u32_e32 v18, vcc, v23, v18, vcc
	global_load_dwordx2 v[19:20], v[19:20], off
	v_add_f64 v[12:13], v[12:13], v[8:9]
	global_load_dwordx2 v[17:18], v[17:18], off
	s_waitcnt vmcnt(0)
	v_add_f64 v[17:18], v[19:20], -v[17:18]
	v_add_f64 v[12:13], v[12:13], v[17:18]
	v_mad_u64_u32 v[16:17], s[2:3], s4, 37, v[16:17]
	v_mov_b32_e32 v17, v1
	v_lshlrev_b64 v[17:18], 3, v[16:17]
	v_add_u32_e32 v0, s1, v16
	v_add_co_u32_e32 v19, vcc, s8, v17
	v_addc_co_u32_e32 v20, vcc, v22, v18, vcc
	v_add_co_u32_e32 v17, vcc, s10, v17
	v_addc_co_u32_e32 v18, vcc, v23, v18, vcc
	global_load_dwordx2 v[19:20], v[19:20], off
	s_nop 0
	global_load_dwordx2 v[17:18], v[17:18], off
	s_waitcnt vmcnt(0)
	v_add_f64 v[17:18], v[19:20], -v[17:18]
	v_add_f64 v[12:13], v[12:13], v[17:18]
	v_lshlrev_b64 v[16:17], 3, v[0:1]
	v_add_u32_e32 v0, s4, v0
	v_add_co_u32_e32 v18, vcc, s8, v16
	v_addc_co_u32_e32 v19, vcc, v22, v17, vcc
	v_add_co_u32_e32 v16, vcc, s10, v16
	v_addc_co_u32_e32 v17, vcc, v23, v17, vcc
	global_load_dwordx2 v[18:19], v[18:19], off
	s_nop 0
	global_load_dwordx2 v[16:17], v[16:17], off
	s_waitcnt vmcnt(0)
	v_add_f64 v[16:17], v[18:19], -v[16:17]
	v_add_f64 v[16:17], v[12:13], -v[16:17]
	v_lshlrev_b64 v[12:13], 3, v[0:1]
	v_add_u32_e32 v0, s0, v0
	v_add_co_u32_e32 v18, vcc, s8, v12
	v_addc_co_u32_e32 v19, vcc, v22, v13, vcc
	v_add_co_u32_e32 v12, vcc, s10, v12
	v_addc_co_u32_e32 v13, vcc, v23, v13, vcc
	global_load_dwordx2 v[18:19], v[18:19], off
	s_nop 0
	global_load_dwordx2 v[12:13], v[12:13], off
	s_waitcnt vmcnt(0)
	v_add_f64 v[12:13], v[18:19], -v[12:13]
	v_lshlrev_b64 v[18:19], 3, v[0:1]
	v_add_u32_e32 v0, s5, v0
	v_add_co_u32_e32 v20, vcc, s8, v18
	v_addc_co_u32_e32 v21, vcc, v22, v19, vcc
	v_add_co_u32_e32 v18, vcc, s10, v18
	v_addc_co_u32_e32 v19, vcc, v23, v19, vcc
	global_load_dwordx2 v[20:21], v[20:21], off
	v_add_f64 v[16:17], v[16:17], v[12:13]
	global_load_dwordx2 v[18:19], v[18:19], off
	s_waitcnt vmcnt(0)
	v_add_f64 v[18:19], v[20:21], -v[18:19]
	v_add_f64 v[16:17], v[16:17], v[18:19]
	v_lshlrev_b64 v[18:19], 3, v[0:1]
	v_add_u32_e32 v0, s4, v0
	v_add_co_u32_e32 v20, vcc, s8, v18
	v_addc_co_u32_e32 v21, vcc, v22, v19, vcc
	v_add_co_u32_e32 v18, vcc, s10, v18
	v_addc_co_u32_e32 v19, vcc, v23, v19, vcc
	global_load_dwordx2 v[20:21], v[20:21], off
	s_nop 0
	global_load_dwordx2 v[18:19], v[18:19], off
	s_waitcnt vmcnt(0)
	v_add_f64 v[18:19], v[20:21], -v[18:19]
	v_add_f64 v[16:17], v[16:17], v[18:19]
	v_lshlrev_b64 v[18:19], 3, v[0:1]
	v_add_u32_e32 v0, s0, v0
	v_add_co_u32_e32 v20, vcc, s8, v18
	v_addc_co_u32_e32 v21, vcc, v22, v19, vcc
	v_add_co_u32_e32 v18, vcc, s10, v18
	v_addc_co_u32_e32 v19, vcc, v23, v19, vcc
	global_load_dwordx2 v[20:21], v[20:21], off
	s_nop 0
	global_load_dwordx2 v[18:19], v[18:19], off
	s_waitcnt vmcnt(0)
	v_add_f64 v[18:19], v[20:21], -v[18:19]
	v_add_f64 v[16:17], v[16:17], -v[18:19]
	v_lshlrev_b64 v[18:19], 3, v[0:1]
	v_add_u32_e32 v0, s4, v0
	v_add_co_u32_e32 v20, vcc, s8, v18
	v_addc_co_u32_e32 v21, vcc, v22, v19, vcc
	v_add_co_u32_e32 v18, vcc, s10, v18
	v_addc_co_u32_e32 v19, vcc, v23, v19, vcc
	global_load_dwordx2 v[20:21], v[20:21], off
	s_nop 0
	global_load_dwordx2 v[18:19], v[18:19], off
	s_waitcnt vmcnt(0)
	v_add_f64 v[18:19], v[20:21], -v[18:19]
	v_add_f64 v[16:17], v[16:17], v[18:19]
	v_lshlrev_b64 v[18:19], 3, v[0:1]
	v_add_u32_e32 v0, s4, v0
	v_add_co_u32_e32 v20, vcc, s8, v18
	v_addc_co_u32_e32 v21, vcc, v22, v19, vcc
	v_add_co_u32_e32 v18, vcc, s10, v18
	v_addc_co_u32_e32 v19, vcc, v23, v19, vcc
	global_load_dwordx2 v[20:21], v[20:21], off
	s_nop 0
	global_load_dwordx2 v[18:19], v[18:19], off
	s_waitcnt vmcnt(0)
	v_add_f64 v[18:19], v[20:21], -v[18:19]
	v_add_f64 v[18:19], v[16:17], -v[18:19]
	v_lshlrev_b64 v[16:17], 3, v[0:1]
	v_add_u32_e32 v0, s4, v0
	v_add_co_u32_e32 v20, vcc, s8, v16
	v_addc_co_u32_e32 v21, vcc, v22, v17, vcc
	v_add_co_u32_e32 v16, vcc, s10, v16
	v_addc_co_u32_e32 v17, vcc, v23, v17, vcc
	global_load_dwordx2 v[20:21], v[20:21], off
	s_nop 0
	global_load_dwordx2 v[16:17], v[16:17], off
	s_waitcnt vmcnt(0)
	v_add_f64 v[16:17], v[20:21], -v[16:17]
	v_lshlrev_b64 v[20:21], 3, v[0:1]
	v_add_u32_e32 v0, s4, v0
	v_add_co_u32_e32 v24, vcc, s8, v20
	v_addc_co_u32_e32 v25, vcc, v22, v21, vcc
	v_add_co_u32_e32 v20, vcc, s10, v20
	v_addc_co_u32_e32 v21, vcc, v23, v21, vcc
	global_load_dwordx2 v[24:25], v[24:25], off
	v_add_f64 v[18:19], v[18:19], -v[16:17]
	global_load_dwordx2 v[20:21], v[20:21], off
	s_waitcnt vmcnt(0)
	v_add_f64 v[20:21], v[24:25], -v[20:21]
	v_add_f64 v[20:21], v[18:19], -v[20:21]
	v_lshlrev_b64 v[18:19], 3, v[0:1]
	v_add_u32_e32 v0, s5, v0
	v_add_co_u32_e32 v24, vcc, s8, v18
	v_addc_co_u32_e32 v25, vcc, v22, v19, vcc
	v_add_co_u32_e32 v18, vcc, s10, v18
	v_addc_co_u32_e32 v19, vcc, v23, v19, vcc
	global_load_dwordx2 v[24:25], v[24:25], off
	s_nop 0
	global_load_dwordx2 v[18:19], v[18:19], off
	s_waitcnt vmcnt(0)
	v_add_f64 v[18:19], v[24:25], -v[18:19]
	v_lshlrev_b64 v[24:25], 3, v[0:1]
	v_add_u32_e32 v0, s4, v0
	v_add_co_u32_e32 v26, vcc, s8, v24
	v_addc_co_u32_e32 v27, vcc, v22, v25, vcc
	v_add_co_u32_e32 v24, vcc, s10, v24
	v_addc_co_u32_e32 v25, vcc, v23, v25, vcc
	global_load_dwordx2 v[26:27], v[26:27], off
	v_add_f64 v[20:21], v[20:21], v[18:19]
	global_load_dwordx2 v[24:25], v[24:25], off
	s_waitcnt vmcnt(0)
	v_add_f64 v[24:25], v[26:27], -v[24:25]
	v_add_f64 v[20:21], v[20:21], -v[24:25]
	v_lshlrev_b64 v[24:25], 3, v[0:1]
	v_add_u32_e32 v0, s5, v0
	v_add_co_u32_e32 v26, vcc, s8, v24
	v_addc_co_u32_e32 v27, vcc, v22, v25, vcc
	v_add_co_u32_e32 v24, vcc, s10, v24
	v_addc_co_u32_e32 v25, vcc, v23, v25, vcc
	global_load_dwordx2 v[26:27], v[26:27], off
	s_nop 0
	global_load_dwordx2 v[24:25], v[24:25], off
	s_waitcnt vmcnt(0)
	v_add_f64 v[24:25], v[26:27], -v[24:25]
	v_add_f64 v[24:25], v[20:21], -v[24:25]
	v_lshlrev_b64 v[20:21], 3, v[0:1]
	v_add_co_u32_e32 v26, vcc, s8, v20
	v_addc_co_u32_e32 v27, vcc, v22, v21, vcc
	v_add_co_u32_e32 v20, vcc, s10, v20
	v_addc_co_u32_e32 v21, vcc, v23, v21, vcc
	global_load_dwordx2 v[26:27], v[26:27], off
	s_nop 0
	global_load_dwordx2 v[20:21], v[20:21], off
	s_waitcnt vmcnt(0)
	v_add_f64 v[20:21], v[26:27], -v[20:21]
	v_mad_u64_u32 v[26:27], s[0:1], s4, 6, v[0:1]
	v_mov_b32_e32 v27, v1
	s_load_dwordx4 s[0:3], s[16:17], 0x30
	v_lshlrev_b64 v[27:28], 3, v[26:27]
	v_add_u32_e32 v0, s4, v26
	v_add_co_u32_e32 v29, vcc, s8, v27
	v_addc_co_u32_e32 v30, vcc, v22, v28, vcc
	v_add_co_u32_e32 v27, vcc, s10, v27
	v_addc_co_u32_e32 v28, vcc, v23, v28, vcc
	global_load_dwordx2 v[29:30], v[29:30], off
	v_add_f64 v[24:25], v[24:25], -v[20:21]
	global_load_dwordx2 v[27:28], v[27:28], off
	s_waitcnt vmcnt(0)
	v_add_f64 v[27:28], v[29:30], -v[27:28]
	v_add_f64 v[24:25], v[24:25], v[27:28]
	v_lshlrev_b64 v[26:27], 3, v[0:1]
	v_add_co_u32_e32 v28, vcc, s8, v26
	v_addc_co_u32_e32 v29, vcc, v22, v27, vcc
	v_add_co_u32_e32 v26, vcc, s10, v26
	v_addc_co_u32_e32 v27, vcc, v23, v27, vcc
	global_load_dwordx2 v[28:29], v[28:29], off
	s_nop 0
	global_load_dwordx2 v[26:27], v[26:27], off
	s_waitcnt vmcnt(0)
	v_add_f64 v[26:27], v[28:29], -v[26:27]
	v_add_f64 v[24:25], v[24:25], -v[26:27]
	v_mul_f64 v[24:25], s[14:15], v[24:25]
	s_waitcnt lgkmcnt(0)
	v_mul_f64 v[25:26], s[0:1], v[24:25]
	s_mul_i32 s0, s4, 0xffffff3b
	v_add_u32_e32 v0, s0, v0
	v_lshlrev_b64 v[27:28], 3, v[0:1]
	v_mov_b32_e32 v24, s13
	v_add_co_u32_e32 v27, vcc, s12, v27
	v_addc_co_u32_e32 v28, vcc, v24, v28, vcc
	v_add_u32_e32 v0, s5, v0
	global_store_dwordx2 v[27:28], v[25:26], off
	v_lshlrev_b64 v[25:26], 3, v[0:1]
	v_add_u32_e32 v0, s5, v0
	v_add_co_u32_e32 v27, vcc, s8, v25
	v_addc_co_u32_e32 v28, vcc, v22, v26, vcc
	v_add_co_u32_e32 v25, vcc, s10, v25
	v_addc_co_u32_e32 v26, vcc, v23, v26, vcc
	global_load_dwordx2 v[27:28], v[27:28], off
	s_mulk_i32 s4, 0xffef
	global_load_dwordx2 v[25:26], v[25:26], off
	s_waitcnt vmcnt(0)
	v_add_f64 v[25:26], v[27:28], -v[25:26]
	v_add_f64 v[10:11], v[10:11], v[25:26]
	v_lshlrev_b64 v[25:26], 3, v[0:1]
	v_add_u32_e32 v0, s4, v0
	v_lshlrev_b64 v[0:1], 3, v[0:1]
	v_add_f64 v[10:11], v[10:11], -v[14:15]
	v_add_co_u32_e32 v14, vcc, s8, v25
	v_addc_co_u32_e32 v15, vcc, v22, v26, vcc
	v_add_co_u32_e32 v22, vcc, s10, v25
	v_addc_co_u32_e32 v23, vcc, v23, v26, vcc
	global_load_dwordx2 v[14:15], v[14:15], off
	v_add_co_u32_e32 v0, vcc, s12, v0
	global_load_dwordx2 v[22:23], v[22:23], off
	v_addc_co_u32_e32 v1, vcc, v24, v1, vcc
	s_waitcnt vmcnt(0)
	v_add_f64 v[14:15], v[14:15], -v[22:23]
	v_add_f64 v[10:11], v[10:11], -v[14:15]
	v_add_f64 v[4:5], v[10:11], -v[4:5]
	v_add_f64 v[2:3], v[4:5], -v[2:3]
	v_add_f64 v[2:3], v[6:7], v[2:3]
	v_add_f64 v[2:3], v[2:3], -v[8:9]
	v_add_f64 v[2:3], v[2:3], -v[12:13]
	v_add_f64 v[2:3], v[16:17], v[2:3]
	v_add_f64 v[2:3], v[2:3], -v[18:19]
	v_add_f64 v[2:3], v[20:21], v[2:3]
	v_mul_f64 v[2:3], s[14:15], v[2:3]
	v_mul_f64 v[2:3], s[2:3], v[2:3]
	global_store_dwordx2 v[0:1], v[2:3], off
	s_endpgm
	.section	.rodata,"a",@progbits
	.p2align	6, 0x0
	.amdhsa_kernel _Z14rdwdot8_kernelIdEvPKT_S2_PS0_S0_S2_
		.amdhsa_group_segment_fixed_size 0
		.amdhsa_private_segment_fixed_size 0
		.amdhsa_kernarg_size 296
		.amdhsa_user_sgpr_count 6
		.amdhsa_user_sgpr_private_segment_buffer 1
		.amdhsa_user_sgpr_dispatch_ptr 0
		.amdhsa_user_sgpr_queue_ptr 0
		.amdhsa_user_sgpr_kernarg_segment_ptr 1
		.amdhsa_user_sgpr_dispatch_id 0
		.amdhsa_user_sgpr_flat_scratch_init 0
		.amdhsa_user_sgpr_private_segment_size 0
		.amdhsa_uses_dynamic_stack 0
		.amdhsa_system_sgpr_private_segment_wavefront_offset 0
		.amdhsa_system_sgpr_workgroup_id_x 1
		.amdhsa_system_sgpr_workgroup_id_y 0
		.amdhsa_system_sgpr_workgroup_id_z 0
		.amdhsa_system_sgpr_workgroup_info 0
		.amdhsa_system_vgpr_workitem_id 0
		.amdhsa_next_free_vgpr 31
		.amdhsa_next_free_sgpr 18
		.amdhsa_reserve_vcc 1
		.amdhsa_reserve_flat_scratch 0
		.amdhsa_float_round_mode_32 0
		.amdhsa_float_round_mode_16_64 0
		.amdhsa_float_denorm_mode_32 3
		.amdhsa_float_denorm_mode_16_64 3
		.amdhsa_dx10_clamp 1
		.amdhsa_ieee_mode 1
		.amdhsa_fp16_overflow 0
		.amdhsa_exception_fp_ieee_invalid_op 0
		.amdhsa_exception_fp_denorm_src 0
		.amdhsa_exception_fp_ieee_div_zero 0
		.amdhsa_exception_fp_ieee_overflow 0
		.amdhsa_exception_fp_ieee_underflow 0
		.amdhsa_exception_fp_ieee_inexact 0
		.amdhsa_exception_int_div_zero 0
	.end_amdhsa_kernel
	.section	.text._Z14rdwdot8_kernelIdEvPKT_S2_PS0_S0_S2_,"axG",@progbits,_Z14rdwdot8_kernelIdEvPKT_S2_PS0_S0_S2_,comdat
.Lfunc_end51:
	.size	_Z14rdwdot8_kernelIdEvPKT_S2_PS0_S0_S2_, .Lfunc_end51-_Z14rdwdot8_kernelIdEvPKT_S2_PS0_S0_S2_
                                        ; -- End function
	.set _Z14rdwdot8_kernelIdEvPKT_S2_PS0_S0_S2_.num_vgpr, 31
	.set _Z14rdwdot8_kernelIdEvPKT_S2_PS0_S0_S2_.num_agpr, 0
	.set _Z14rdwdot8_kernelIdEvPKT_S2_PS0_S0_S2_.numbered_sgpr, 18
	.set _Z14rdwdot8_kernelIdEvPKT_S2_PS0_S0_S2_.num_named_barrier, 0
	.set _Z14rdwdot8_kernelIdEvPKT_S2_PS0_S0_S2_.private_seg_size, 0
	.set _Z14rdwdot8_kernelIdEvPKT_S2_PS0_S0_S2_.uses_vcc, 1
	.set _Z14rdwdot8_kernelIdEvPKT_S2_PS0_S0_S2_.uses_flat_scratch, 0
	.set _Z14rdwdot8_kernelIdEvPKT_S2_PS0_S0_S2_.has_dyn_sized_stack, 0
	.set _Z14rdwdot8_kernelIdEvPKT_S2_PS0_S0_S2_.has_recursion, 0
	.set _Z14rdwdot8_kernelIdEvPKT_S2_PS0_S0_S2_.has_indirect_call, 0
	.section	.AMDGPU.csdata,"",@progbits
; Kernel info:
; codeLenInByte = 3144
; TotalNumSgprs: 22
; NumVgprs: 31
; ScratchSize: 0
; MemoryBound: 0
; FloatMode: 240
; IeeeMode: 1
; LDSByteSize: 0 bytes/workgroup (compile time only)
; SGPRBlocks: 2
; VGPRBlocks: 7
; NumSGPRsForWavesPerEU: 22
; NumVGPRsForWavesPerEU: 31
; Occupancy: 8
; WaveLimiterHint : 0
; COMPUTE_PGM_RSRC2:SCRATCH_EN: 0
; COMPUTE_PGM_RSRC2:USER_SGPR: 6
; COMPUTE_PGM_RSRC2:TRAP_HANDLER: 0
; COMPUTE_PGM_RSRC2:TGID_X_EN: 1
; COMPUTE_PGM_RSRC2:TGID_Y_EN: 0
; COMPUTE_PGM_RSRC2:TGID_Z_EN: 0
; COMPUTE_PGM_RSRC2:TIDIG_COMP_CNT: 0
	.section	.text._Z14rdwdot9_kernelIdEvPKT_S2_PS0_S0_S2_,"axG",@progbits,_Z14rdwdot9_kernelIdEvPKT_S2_PS0_S0_S2_,comdat
	.protected	_Z14rdwdot9_kernelIdEvPKT_S2_PS0_S0_S2_ ; -- Begin function _Z14rdwdot9_kernelIdEvPKT_S2_PS0_S0_S2_
	.globl	_Z14rdwdot9_kernelIdEvPKT_S2_PS0_S0_S2_
	.p2align	8
	.type	_Z14rdwdot9_kernelIdEvPKT_S2_PS0_S0_S2_,@function
_Z14rdwdot9_kernelIdEvPKT_S2_PS0_S0_S2_: ; @_Z14rdwdot9_kernelIdEvPKT_S2_PS0_S0_S2_
; %bb.0:
	s_load_dwordx8 s[8:15], s[4:5], 0x0
	s_load_dwordx2 s[0:1], s[4:5], 0x20
	s_load_dword s2, s[4:5], 0x28
	s_load_dword s3, s[4:5], 0x34
	s_waitcnt lgkmcnt(0)
	v_mov_b32_e32 v4, s9
	s_load_dwordx2 s[0:1], s[0:1], 0x20
	s_and_b32 s3, s3, 0xffff
	s_mul_i32 s6, s6, s3
	s_mul_i32 s2, s2, s3
	v_add_u32_e32 v5, s6, v0
	v_mad_u64_u32 v[0:1], s[4:5], s2, 26, v[5:6]
	v_mov_b32_e32 v1, 0
	s_mul_i32 s7, s2, 5
	v_lshlrev_b64 v[2:3], 3, v[0:1]
	v_add_u32_e32 v0, s2, v0
	v_add_co_u32_e32 v6, vcc, s8, v2
	v_addc_co_u32_e32 v7, vcc, v4, v3, vcc
	global_load_dwordx2 v[8:9], v[6:7], off
	v_add_co_u32_e32 v2, vcc, s10, v2
	v_mov_b32_e32 v7, s11
	v_addc_co_u32_e32 v3, vcc, v7, v3, vcc
	global_load_dwordx2 v[2:3], v[2:3], off
	v_mov_b32_e32 v6, v1
	s_mul_i32 s3, s2, 6
	s_mul_i32 s5, s2, 3
	s_lshl_b32 s6, s2, 2
	s_lshl_b32 s4, s2, 1
	;; [unrolled: 1-line block ×3, first 2 shown]
	s_waitcnt vmcnt(0)
	v_add_f64 v[2:3], v[8:9], -v[2:3]
	v_lshlrev_b64 v[8:9], 3, v[0:1]
	v_add_u32_e32 v0, s2, v5
	v_add_co_u32_e32 v10, vcc, s8, v8
	v_addc_co_u32_e32 v11, vcc, v4, v9, vcc
	v_add_co_u32_e32 v8, vcc, s10, v8
	v_addc_co_u32_e32 v9, vcc, v7, v9, vcc
	global_load_dwordx2 v[10:11], v[10:11], off
	s_nop 0
	global_load_dwordx2 v[8:9], v[8:9], off
	s_waitcnt vmcnt(0)
	v_add_f64 v[8:9], v[10:11], -v[8:9]
	v_add_f64 v[2:3], v[2:3], v[8:9]
	v_lshlrev_b64 v[8:9], 3, v[5:6]
	v_lshlrev_b64 v[5:6], 3, v[0:1]
	v_add_co_u32_e32 v10, vcc, s8, v8
	v_addc_co_u32_e32 v11, vcc, v4, v9, vcc
	v_add_co_u32_e32 v8, vcc, s10, v8
	v_addc_co_u32_e32 v9, vcc, v7, v9, vcc
	global_load_dwordx2 v[10:11], v[10:11], off
	v_add_u32_e32 v0, s2, v0
	global_load_dwordx2 v[8:9], v[8:9], off
	s_waitcnt vmcnt(0)
	v_add_f64 v[8:9], v[10:11], -v[8:9]
	v_add_co_u32_e32 v10, vcc, s8, v5
	v_addc_co_u32_e32 v11, vcc, v4, v6, vcc
	v_add_co_u32_e32 v5, vcc, s10, v5
	v_addc_co_u32_e32 v6, vcc, v7, v6, vcc
	global_load_dwordx2 v[10:11], v[10:11], off
	s_nop 0
	global_load_dwordx2 v[5:6], v[5:6], off
	s_waitcnt vmcnt(0)
	v_add_f64 v[5:6], v[10:11], -v[5:6]
	v_add_f64 v[5:6], v[8:9], v[5:6]
	v_lshlrev_b64 v[8:9], 3, v[0:1]
	v_add_u32_e32 v0, s2, v0
	v_add_co_u32_e32 v10, vcc, s8, v8
	v_addc_co_u32_e32 v11, vcc, v4, v9, vcc
	v_add_co_u32_e32 v8, vcc, s10, v8
	v_addc_co_u32_e32 v9, vcc, v7, v9, vcc
	global_load_dwordx2 v[10:11], v[10:11], off
	s_nop 0
	global_load_dwordx2 v[8:9], v[8:9], off
	s_waitcnt vmcnt(0)
	v_add_f64 v[8:9], v[10:11], -v[8:9]
	v_add_f64 v[5:6], v[5:6], -v[8:9]
	v_lshlrev_b64 v[8:9], 3, v[0:1]
	v_add_u32_e32 v0, s7, v0
	v_add_co_u32_e32 v10, vcc, s8, v8
	v_addc_co_u32_e32 v11, vcc, v4, v9, vcc
	v_add_co_u32_e32 v8, vcc, s10, v8
	v_addc_co_u32_e32 v9, vcc, v7, v9, vcc
	global_load_dwordx2 v[10:11], v[10:11], off
	s_nop 0
	global_load_dwordx2 v[8:9], v[8:9], off
	s_waitcnt vmcnt(0)
	v_add_f64 v[8:9], v[10:11], -v[8:9]
	v_add_f64 v[5:6], v[5:6], -v[8:9]
	;; [unrolled: 1-line block ×3, first 2 shown]
	v_lshlrev_b64 v[8:9], 3, v[0:1]
	v_add_u32_e32 v0, s2, v0
	v_add_co_u32_e32 v10, vcc, s8, v8
	v_addc_co_u32_e32 v11, vcc, v4, v9, vcc
	v_add_co_u32_e32 v8, vcc, s10, v8
	v_addc_co_u32_e32 v9, vcc, v7, v9, vcc
	global_load_dwordx2 v[10:11], v[10:11], off
	s_nop 0
	global_load_dwordx2 v[8:9], v[8:9], off
	s_waitcnt vmcnt(0)
	v_add_f64 v[8:9], v[10:11], -v[8:9]
	v_add_f64 v[5:6], v[5:6], -v[8:9]
	v_lshlrev_b64 v[8:9], 3, v[0:1]
	v_add_u32_e32 v0, s3, v0
	v_add_co_u32_e32 v10, vcc, s8, v8
	v_addc_co_u32_e32 v11, vcc, v4, v9, vcc
	v_add_co_u32_e32 v8, vcc, s10, v8
	v_addc_co_u32_e32 v9, vcc, v7, v9, vcc
	global_load_dwordx2 v[10:11], v[10:11], off
	s_nop 0
	global_load_dwordx2 v[8:9], v[8:9], off
	s_waitcnt vmcnt(0)
	v_add_f64 v[8:9], v[10:11], -v[8:9]
	v_add_f64 v[5:6], v[5:6], v[8:9]
	v_lshlrev_b64 v[8:9], 3, v[0:1]
	v_add_u32_e32 v0, s5, v0
	v_add_co_u32_e32 v10, vcc, s8, v8
	v_addc_co_u32_e32 v11, vcc, v4, v9, vcc
	v_add_co_u32_e32 v8, vcc, s10, v8
	v_addc_co_u32_e32 v9, vcc, v7, v9, vcc
	global_load_dwordx2 v[10:11], v[10:11], off
	s_nop 0
	global_load_dwordx2 v[8:9], v[8:9], off
	s_waitcnt vmcnt(0)
	v_add_f64 v[8:9], v[10:11], -v[8:9]
	v_add_f64 v[5:6], v[5:6], -v[8:9]
	;; [unrolled: 1-line block ×3, first 2 shown]
	v_lshlrev_b64 v[8:9], 3, v[0:1]
	v_add_u32_e32 v0, s2, v0
	v_add_co_u32_e32 v10, vcc, s8, v8
	v_addc_co_u32_e32 v11, vcc, v4, v9, vcc
	v_add_co_u32_e32 v8, vcc, s10, v8
	v_addc_co_u32_e32 v9, vcc, v7, v9, vcc
	global_load_dwordx2 v[10:11], v[10:11], off
	s_nop 0
	global_load_dwordx2 v[8:9], v[8:9], off
	s_waitcnt vmcnt(0)
	v_add_f64 v[8:9], v[10:11], -v[8:9]
	v_add_f64 v[5:6], v[5:6], v[8:9]
	v_add_f64 v[5:6], v[8:9], v[5:6]
	v_lshlrev_b64 v[8:9], 3, v[0:1]
	v_add_u32_e32 v0, s2, v0
	v_add_co_u32_e32 v10, vcc, s8, v8
	v_addc_co_u32_e32 v11, vcc, v4, v9, vcc
	v_add_co_u32_e32 v8, vcc, s10, v8
	v_addc_co_u32_e32 v9, vcc, v7, v9, vcc
	global_load_dwordx2 v[10:11], v[10:11], off
	s_nop 0
	global_load_dwordx2 v[8:9], v[8:9], off
	s_waitcnt vmcnt(0)
	v_add_f64 v[8:9], v[10:11], -v[8:9]
	v_add_f64 v[5:6], v[5:6], v[8:9]
	v_lshlrev_b64 v[8:9], 3, v[0:1]
	v_add_u32_e32 v0, s6, v0
	v_add_co_u32_e32 v10, vcc, s8, v8
	v_addc_co_u32_e32 v11, vcc, v4, v9, vcc
	v_add_co_u32_e32 v8, vcc, s10, v8
	v_addc_co_u32_e32 v9, vcc, v7, v9, vcc
	global_load_dwordx2 v[10:11], v[10:11], off
	s_nop 0
	global_load_dwordx2 v[8:9], v[8:9], off
	s_waitcnt vmcnt(0)
	v_add_f64 v[8:9], v[10:11], -v[8:9]
	v_add_f64 v[5:6], v[5:6], -v[8:9]
	v_lshlrev_b64 v[8:9], 3, v[0:1]
	v_add_u32_e32 v0, s2, v0
	v_add_co_u32_e32 v10, vcc, s8, v8
	v_addc_co_u32_e32 v11, vcc, v4, v9, vcc
	v_add_co_u32_e32 v8, vcc, s10, v8
	v_addc_co_u32_e32 v9, vcc, v7, v9, vcc
	global_load_dwordx2 v[10:11], v[10:11], off
	s_nop 0
	global_load_dwordx2 v[8:9], v[8:9], off
	s_waitcnt vmcnt(0)
	v_add_f64 v[8:9], v[10:11], -v[8:9]
	v_add_f64 v[5:6], v[5:6], v[8:9]
	v_lshlrev_b64 v[8:9], 3, v[0:1]
	v_add_u32_e32 v0, s6, v0
	v_add_co_u32_e32 v10, vcc, s8, v8
	v_addc_co_u32_e32 v11, vcc, v4, v9, vcc
	v_add_co_u32_e32 v8, vcc, s10, v8
	v_addc_co_u32_e32 v9, vcc, v7, v9, vcc
	global_load_dwordx2 v[10:11], v[10:11], off
	s_nop 0
	global_load_dwordx2 v[8:9], v[8:9], off
	s_waitcnt vmcnt(0)
	v_add_f64 v[8:9], v[10:11], -v[8:9]
	v_add_f64 v[5:6], v[5:6], v[8:9]
	v_add_f64 v[2:3], v[5:6], -v[2:3]
	v_lshlrev_b64 v[5:6], 3, v[0:1]
	v_add_u32_e32 v0, s5, v0
	v_add_co_u32_e32 v8, vcc, s8, v5
	v_addc_co_u32_e32 v9, vcc, v4, v6, vcc
	v_add_co_u32_e32 v5, vcc, s10, v5
	v_addc_co_u32_e32 v6, vcc, v7, v6, vcc
	global_load_dwordx2 v[8:9], v[8:9], off
	s_nop 0
	global_load_dwordx2 v[5:6], v[5:6], off
	s_waitcnt vmcnt(0)
	v_add_f64 v[5:6], v[8:9], -v[5:6]
	v_add_f64 v[2:3], v[2:3], -v[5:6]
	v_lshlrev_b64 v[5:6], 3, v[0:1]
	v_add_u32_e32 v0, s4, v0
	v_add_co_u32_e32 v8, vcc, s8, v5
	v_addc_co_u32_e32 v9, vcc, v4, v6, vcc
	v_add_co_u32_e32 v5, vcc, s10, v5
	v_addc_co_u32_e32 v6, vcc, v7, v6, vcc
	global_load_dwordx2 v[8:9], v[8:9], off
	s_nop 0
	global_load_dwordx2 v[5:6], v[5:6], off
	s_waitcnt vmcnt(0)
	v_add_f64 v[5:6], v[8:9], -v[5:6]
	v_add_f64 v[2:3], v[2:3], v[5:6]
	v_lshlrev_b64 v[5:6], 3, v[0:1]
	v_add_u32_e32 v0, s9, v0
	v_add_co_u32_e32 v8, vcc, s8, v5
	v_addc_co_u32_e32 v9, vcc, v4, v6, vcc
	v_add_co_u32_e32 v5, vcc, s10, v5
	v_addc_co_u32_e32 v6, vcc, v7, v6, vcc
	global_load_dwordx2 v[8:9], v[8:9], off
	s_nop 0
	global_load_dwordx2 v[5:6], v[5:6], off
	s_waitcnt vmcnt(0)
	v_add_f64 v[5:6], v[8:9], -v[5:6]
	v_add_f64 v[2:3], v[2:3], -v[5:6]
	v_lshlrev_b64 v[5:6], 3, v[0:1]
	v_add_u32_e32 v0, s4, v0
	v_add_co_u32_e32 v8, vcc, s8, v5
	v_addc_co_u32_e32 v9, vcc, v4, v6, vcc
	v_add_co_u32_e32 v5, vcc, s10, v5
	v_addc_co_u32_e32 v6, vcc, v7, v6, vcc
	global_load_dwordx2 v[8:9], v[8:9], off
	s_nop 0
	global_load_dwordx2 v[5:6], v[5:6], off
	s_waitcnt vmcnt(0)
	v_add_f64 v[5:6], v[8:9], -v[5:6]
	v_add_f64 v[2:3], v[2:3], v[5:6]
	v_lshlrev_b64 v[5:6], 3, v[0:1]
	v_add_u32_e32 v0, s3, v0
	v_add_co_u32_e32 v8, vcc, s8, v5
	v_addc_co_u32_e32 v9, vcc, v4, v6, vcc
	v_add_co_u32_e32 v5, vcc, s10, v5
	v_addc_co_u32_e32 v6, vcc, v7, v6, vcc
	global_load_dwordx2 v[8:9], v[8:9], off
	s_nop 0
	global_load_dwordx2 v[5:6], v[5:6], off
	s_waitcnt vmcnt(0)
	v_add_f64 v[5:6], v[8:9], -v[5:6]
	v_add_f64 v[2:3], v[2:3], -v[5:6]
	v_lshlrev_b64 v[5:6], 3, v[0:1]
	v_add_u32_e32 v0, s4, v0
	v_add_co_u32_e32 v8, vcc, s8, v5
	v_addc_co_u32_e32 v9, vcc, v4, v6, vcc
	v_add_co_u32_e32 v5, vcc, s10, v5
	v_addc_co_u32_e32 v6, vcc, v7, v6, vcc
	global_load_dwordx2 v[8:9], v[8:9], off
	s_nop 0
	global_load_dwordx2 v[5:6], v[5:6], off
	s_waitcnt vmcnt(0)
	v_add_f64 v[5:6], v[8:9], -v[5:6]
	v_add_f64 v[2:3], v[2:3], v[5:6]
	v_lshlrev_b64 v[5:6], 3, v[0:1]
	v_add_u32_e32 v0, s2, v0
	v_add_co_u32_e32 v8, vcc, s8, v5
	v_addc_co_u32_e32 v9, vcc, v4, v6, vcc
	v_add_co_u32_e32 v5, vcc, s10, v5
	v_addc_co_u32_e32 v6, vcc, v7, v6, vcc
	global_load_dwordx2 v[8:9], v[8:9], off
	s_nop 0
	global_load_dwordx2 v[5:6], v[5:6], off
	s_waitcnt vmcnt(0)
	v_add_f64 v[5:6], v[8:9], -v[5:6]
	v_add_f64 v[2:3], v[2:3], -v[5:6]
	v_lshlrev_b64 v[5:6], 3, v[0:1]
	v_add_u32_e32 v0, s2, v0
	v_add_co_u32_e32 v8, vcc, s8, v5
	v_addc_co_u32_e32 v9, vcc, v4, v6, vcc
	v_add_co_u32_e32 v5, vcc, s10, v5
	v_addc_co_u32_e32 v6, vcc, v7, v6, vcc
	global_load_dwordx2 v[8:9], v[8:9], off
	s_nop 0
	global_load_dwordx2 v[5:6], v[5:6], off
	s_waitcnt vmcnt(0)
	v_add_f64 v[5:6], v[8:9], -v[5:6]
	v_add_f64 v[2:3], v[2:3], -v[5:6]
	v_lshlrev_b64 v[5:6], 3, v[0:1]
	v_add_u32_e32 v0, s9, v0
	v_add_co_u32_e32 v8, vcc, s8, v5
	v_addc_co_u32_e32 v9, vcc, v4, v6, vcc
	v_add_co_u32_e32 v5, vcc, s10, v5
	v_addc_co_u32_e32 v6, vcc, v7, v6, vcc
	global_load_dwordx2 v[8:9], v[8:9], off
	s_nop 0
	global_load_dwordx2 v[5:6], v[5:6], off
	s_waitcnt vmcnt(0)
	v_add_f64 v[5:6], v[8:9], -v[5:6]
	v_add_f64 v[2:3], v[2:3], v[5:6]
	v_lshlrev_b64 v[5:6], 3, v[0:1]
	v_add_u32_e32 v0, s4, v0
	v_add_co_u32_e32 v8, vcc, s8, v5
	v_addc_co_u32_e32 v9, vcc, v4, v6, vcc
	v_add_co_u32_e32 v5, vcc, s10, v5
	v_addc_co_u32_e32 v6, vcc, v7, v6, vcc
	global_load_dwordx2 v[8:9], v[8:9], off
	s_nop 0
	global_load_dwordx2 v[5:6], v[5:6], off
	s_waitcnt vmcnt(0)
	v_add_f64 v[5:6], v[8:9], -v[5:6]
	v_add_f64 v[2:3], v[2:3], -v[5:6]
	v_lshlrev_b64 v[5:6], 3, v[0:1]
	v_add_u32_e32 v0, s9, v0
	v_add_co_u32_e32 v8, vcc, s8, v5
	v_addc_co_u32_e32 v9, vcc, v4, v6, vcc
	v_add_co_u32_e32 v5, vcc, s10, v5
	v_addc_co_u32_e32 v6, vcc, v7, v6, vcc
	global_load_dwordx2 v[8:9], v[8:9], off
	s_nop 0
	global_load_dwordx2 v[5:6], v[5:6], off
	s_waitcnt vmcnt(0)
	v_add_f64 v[5:6], v[8:9], -v[5:6]
	v_add_f64 v[2:3], v[2:3], v[5:6]
	v_lshlrev_b64 v[5:6], 3, v[0:1]
	v_add_u32_e32 v0, s2, v0
	v_add_co_u32_e32 v8, vcc, s8, v5
	v_addc_co_u32_e32 v9, vcc, v4, v6, vcc
	v_add_co_u32_e32 v5, vcc, s10, v5
	v_addc_co_u32_e32 v6, vcc, v7, v6, vcc
	global_load_dwordx2 v[8:9], v[8:9], off
	s_nop 0
	global_load_dwordx2 v[5:6], v[5:6], off
	s_waitcnt vmcnt(0)
	v_add_f64 v[5:6], v[8:9], -v[5:6]
	v_add_f64 v[2:3], v[2:3], v[5:6]
	v_lshlrev_b64 v[5:6], 3, v[0:1]
	v_add_u32_e32 v0, s3, v0
	v_add_co_u32_e32 v8, vcc, s8, v5
	v_addc_co_u32_e32 v9, vcc, v4, v6, vcc
	v_add_co_u32_e32 v5, vcc, s10, v5
	v_addc_co_u32_e32 v6, vcc, v7, v6, vcc
	global_load_dwordx2 v[8:9], v[8:9], off
	s_nop 0
	global_load_dwordx2 v[5:6], v[5:6], off
	s_waitcnt vmcnt(0)
	v_add_f64 v[5:6], v[8:9], -v[5:6]
	v_add_f64 v[2:3], v[2:3], -v[5:6]
	v_lshlrev_b64 v[5:6], 3, v[0:1]
	v_add_u32_e32 v0, s2, v0
	v_add_co_u32_e32 v8, vcc, s8, v5
	v_addc_co_u32_e32 v9, vcc, v4, v6, vcc
	v_add_co_u32_e32 v5, vcc, s10, v5
	v_addc_co_u32_e32 v6, vcc, v7, v6, vcc
	global_load_dwordx2 v[8:9], v[8:9], off
	s_nop 0
	global_load_dwordx2 v[5:6], v[5:6], off
	s_waitcnt vmcnt(0)
	v_add_f64 v[5:6], v[8:9], -v[5:6]
	v_add_f64 v[2:3], v[2:3], -v[5:6]
	;; [unrolled: 12-line block ×3, first 2 shown]
	v_lshlrev_b64 v[5:6], 3, v[0:1]
	v_add_u32_e32 v0, s4, v0
	v_add_co_u32_e32 v8, vcc, s8, v5
	v_addc_co_u32_e32 v9, vcc, v4, v6, vcc
	v_add_co_u32_e32 v5, vcc, s10, v5
	v_addc_co_u32_e32 v6, vcc, v7, v6, vcc
	global_load_dwordx2 v[8:9], v[8:9], off
	s_nop 0
	global_load_dwordx2 v[5:6], v[5:6], off
	s_waitcnt vmcnt(0)
	v_add_f64 v[5:6], v[8:9], -v[5:6]
	v_add_f64 v[2:3], v[2:3], v[5:6]
	v_lshlrev_b64 v[5:6], 3, v[0:1]
	v_add_co_u32_e32 v8, vcc, s8, v5
	v_addc_co_u32_e32 v9, vcc, v4, v6, vcc
	v_add_co_u32_e32 v5, vcc, s10, v5
	v_addc_co_u32_e32 v6, vcc, v7, v6, vcc
	global_load_dwordx2 v[8:9], v[8:9], off
	s_nop 0
	global_load_dwordx2 v[5:6], v[5:6], off
	s_waitcnt vmcnt(0)
	v_add_f64 v[5:6], v[8:9], -v[5:6]
	v_add_f64 v[2:3], v[2:3], v[5:6]
	v_mad_u64_u32 v[5:6], s[16:17], s2, 12, v[0:1]
	v_mov_b32_e32 v6, v1
	v_lshlrev_b64 v[8:9], 3, v[5:6]
	v_add_u32_e32 v0, s4, v5
	v_add_co_u32_e32 v10, vcc, s8, v8
	v_addc_co_u32_e32 v11, vcc, v4, v9, vcc
	v_add_co_u32_e32 v8, vcc, s10, v8
	v_addc_co_u32_e32 v9, vcc, v7, v9, vcc
	global_load_dwordx2 v[10:11], v[10:11], off
	v_lshlrev_b64 v[5:6], 3, v[0:1]
	global_load_dwordx2 v[8:9], v[8:9], off
	v_add_u32_e32 v0, s2, v0
	s_waitcnt vmcnt(0)
	v_add_f64 v[8:9], v[10:11], -v[8:9]
	v_add_f64 v[2:3], v[2:3], v[8:9]
	v_add_co_u32_e32 v8, vcc, s8, v5
	v_addc_co_u32_e32 v9, vcc, v4, v6, vcc
	v_add_co_u32_e32 v5, vcc, s10, v5
	v_addc_co_u32_e32 v6, vcc, v7, v6, vcc
	global_load_dwordx2 v[8:9], v[8:9], off
	s_nop 0
	global_load_dwordx2 v[5:6], v[5:6], off
	s_waitcnt vmcnt(0)
	v_add_f64 v[5:6], v[8:9], -v[5:6]
	v_add_f64 v[2:3], v[2:3], v[5:6]
	v_lshlrev_b64 v[5:6], 3, v[0:1]
	v_add_u32_e32 v0, s5, v0
	v_add_co_u32_e32 v8, vcc, s8, v5
	v_addc_co_u32_e32 v9, vcc, v4, v6, vcc
	v_add_co_u32_e32 v5, vcc, s10, v5
	v_addc_co_u32_e32 v6, vcc, v7, v6, vcc
	global_load_dwordx2 v[8:9], v[8:9], off
	s_nop 0
	global_load_dwordx2 v[5:6], v[5:6], off
	s_waitcnt vmcnt(0)
	v_add_f64 v[5:6], v[8:9], -v[5:6]
	v_add_f64 v[2:3], v[2:3], -v[5:6]
	v_lshlrev_b64 v[5:6], 3, v[0:1]
	v_add_u32_e32 v0, s2, v0
	v_add_co_u32_e32 v8, vcc, s8, v5
	v_addc_co_u32_e32 v9, vcc, v4, v6, vcc
	v_add_co_u32_e32 v5, vcc, s10, v5
	v_addc_co_u32_e32 v6, vcc, v7, v6, vcc
	global_load_dwordx2 v[8:9], v[8:9], off
	s_nop 0
	global_load_dwordx2 v[5:6], v[5:6], off
	s_waitcnt vmcnt(0)
	v_add_f64 v[5:6], v[8:9], -v[5:6]
	v_add_f64 v[2:3], v[2:3], v[5:6]
	v_lshlrev_b64 v[5:6], 3, v[0:1]
	v_add_u32_e32 v0, s3, v0
	v_add_co_u32_e32 v8, vcc, s8, v5
	v_addc_co_u32_e32 v9, vcc, v4, v6, vcc
	v_add_co_u32_e32 v5, vcc, s10, v5
	v_addc_co_u32_e32 v6, vcc, v7, v6, vcc
	global_load_dwordx2 v[8:9], v[8:9], off
	s_nop 0
	global_load_dwordx2 v[5:6], v[5:6], off
	s_waitcnt vmcnt(0)
	v_add_f64 v[5:6], v[8:9], -v[5:6]
	v_add_f64 v[2:3], v[2:3], -v[5:6]
	v_lshlrev_b64 v[5:6], 3, v[0:1]
	v_add_u32_e32 v0, s9, v0
	;; [unrolled: 24-line block ×3, first 2 shown]
	v_add_co_u32_e32 v8, vcc, s8, v5
	v_addc_co_u32_e32 v9, vcc, v4, v6, vcc
	v_add_co_u32_e32 v5, vcc, s10, v5
	v_addc_co_u32_e32 v6, vcc, v7, v6, vcc
	global_load_dwordx2 v[8:9], v[8:9], off
	s_nop 0
	global_load_dwordx2 v[5:6], v[5:6], off
	s_waitcnt vmcnt(0)
	v_add_f64 v[5:6], v[8:9], -v[5:6]
	v_add_f64 v[2:3], v[2:3], -v[5:6]
	v_lshlrev_b64 v[5:6], 3, v[0:1]
	v_add_u32_e32 v0, s7, v0
	v_add_co_u32_e32 v8, vcc, s8, v5
	v_addc_co_u32_e32 v9, vcc, v4, v6, vcc
	v_add_co_u32_e32 v5, vcc, s10, v5
	v_addc_co_u32_e32 v6, vcc, v7, v6, vcc
	global_load_dwordx2 v[8:9], v[8:9], off
	s_nop 0
	global_load_dwordx2 v[5:6], v[5:6], off
	s_waitcnt vmcnt(0)
	v_add_f64 v[5:6], v[8:9], -v[5:6]
	v_add_f64 v[2:3], v[2:3], -v[5:6]
	v_lshlrev_b64 v[5:6], 3, v[0:1]
	v_add_u32_e32 v0, s4, v0
	v_add_co_u32_e32 v8, vcc, s8, v5
	v_addc_co_u32_e32 v9, vcc, v4, v6, vcc
	v_add_co_u32_e32 v5, vcc, s10, v5
	v_addc_co_u32_e32 v6, vcc, v7, v6, vcc
	global_load_dwordx2 v[8:9], v[8:9], off
	s_nop 0
	global_load_dwordx2 v[5:6], v[5:6], off
	s_waitcnt vmcnt(0)
	v_add_f64 v[5:6], v[8:9], -v[5:6]
	v_add_f64 v[2:3], v[2:3], v[5:6]
	v_lshlrev_b64 v[5:6], 3, v[0:1]
	v_add_u32_e32 v0, s3, v0
	v_add_co_u32_e32 v8, vcc, s8, v5
	v_addc_co_u32_e32 v9, vcc, v4, v6, vcc
	v_add_co_u32_e32 v5, vcc, s10, v5
	v_addc_co_u32_e32 v6, vcc, v7, v6, vcc
	global_load_dwordx2 v[8:9], v[8:9], off
	s_nop 0
	global_load_dwordx2 v[5:6], v[5:6], off
	s_waitcnt vmcnt(0)
	v_add_f64 v[5:6], v[8:9], -v[5:6]
	v_add_f64 v[2:3], v[2:3], -v[5:6]
	v_lshlrev_b64 v[5:6], 3, v[0:1]
	v_add_u32_e32 v0, s6, v0
	v_add_co_u32_e32 v8, vcc, s8, v5
	v_addc_co_u32_e32 v9, vcc, v4, v6, vcc
	v_add_co_u32_e32 v5, vcc, s10, v5
	v_addc_co_u32_e32 v6, vcc, v7, v6, vcc
	global_load_dwordx2 v[8:9], v[8:9], off
	s_nop 0
	global_load_dwordx2 v[5:6], v[5:6], off
	s_waitcnt vmcnt(0)
	v_add_f64 v[5:6], v[8:9], -v[5:6]
	v_add_f64 v[2:3], v[2:3], -v[5:6]
	v_lshlrev_b64 v[5:6], 3, v[0:1]
	v_add_co_u32_e32 v8, vcc, s8, v5
	v_addc_co_u32_e32 v9, vcc, v4, v6, vcc
	v_add_co_u32_e32 v5, vcc, s10, v5
	v_addc_co_u32_e32 v6, vcc, v7, v6, vcc
	global_load_dwordx2 v[8:9], v[8:9], off
	s_nop 0
	global_load_dwordx2 v[5:6], v[5:6], off
	s_waitcnt vmcnt(0)
	v_add_f64 v[5:6], v[8:9], -v[5:6]
	v_add_f64 v[2:3], v[2:3], v[5:6]
	v_mad_u64_u32 v[5:6], s[16:17], s2, 10, v[0:1]
	v_mov_b32_e32 v6, v1
	v_lshlrev_b64 v[8:9], 3, v[5:6]
	v_add_u32_e32 v0, s2, v5
	v_add_co_u32_e32 v10, vcc, s8, v8
	v_addc_co_u32_e32 v11, vcc, v4, v9, vcc
	v_add_co_u32_e32 v8, vcc, s10, v8
	v_addc_co_u32_e32 v9, vcc, v7, v9, vcc
	global_load_dwordx2 v[10:11], v[10:11], off
	v_lshlrev_b64 v[5:6], 3, v[0:1]
	global_load_dwordx2 v[8:9], v[8:9], off
	v_add_u32_e32 v0, s4, v0
	s_waitcnt vmcnt(0)
	v_add_f64 v[8:9], v[10:11], -v[8:9]
	v_add_f64 v[2:3], v[2:3], v[8:9]
	v_add_co_u32_e32 v8, vcc, s8, v5
	v_addc_co_u32_e32 v9, vcc, v4, v6, vcc
	v_add_co_u32_e32 v5, vcc, s10, v5
	v_addc_co_u32_e32 v6, vcc, v7, v6, vcc
	global_load_dwordx2 v[8:9], v[8:9], off
	s_nop 0
	global_load_dwordx2 v[5:6], v[5:6], off
	s_waitcnt vmcnt(0)
	v_add_f64 v[5:6], v[8:9], -v[5:6]
	v_add_f64 v[2:3], v[2:3], -v[5:6]
	v_lshlrev_b64 v[5:6], 3, v[0:1]
	v_add_u32_e32 v0, s6, v0
	v_add_co_u32_e32 v8, vcc, s8, v5
	v_addc_co_u32_e32 v9, vcc, v4, v6, vcc
	v_add_co_u32_e32 v5, vcc, s10, v5
	v_addc_co_u32_e32 v6, vcc, v7, v6, vcc
	global_load_dwordx2 v[8:9], v[8:9], off
	s_nop 0
	global_load_dwordx2 v[5:6], v[5:6], off
	s_waitcnt vmcnt(0)
	v_add_f64 v[5:6], v[8:9], -v[5:6]
	v_add_f64 v[2:3], v[2:3], v[5:6]
	v_lshlrev_b64 v[5:6], 3, v[0:1]
	v_add_u32_e32 v0, s5, v0
	v_add_co_u32_e32 v8, vcc, s8, v5
	v_addc_co_u32_e32 v9, vcc, v4, v6, vcc
	v_add_co_u32_e32 v5, vcc, s10, v5
	v_addc_co_u32_e32 v6, vcc, v7, v6, vcc
	global_load_dwordx2 v[8:9], v[8:9], off
	s_nop 0
	global_load_dwordx2 v[5:6], v[5:6], off
	s_waitcnt vmcnt(0)
	v_add_f64 v[5:6], v[8:9], -v[5:6]
	v_add_f64 v[2:3], v[2:3], v[5:6]
	v_lshlrev_b64 v[5:6], 3, v[0:1]
	v_add_u32_e32 v0, s4, v0
	v_add_co_u32_e32 v8, vcc, s8, v5
	v_addc_co_u32_e32 v9, vcc, v4, v6, vcc
	v_add_co_u32_e32 v5, vcc, s10, v5
	v_addc_co_u32_e32 v6, vcc, v7, v6, vcc
	global_load_dwordx2 v[8:9], v[8:9], off
	s_nop 0
	global_load_dwordx2 v[5:6], v[5:6], off
	s_waitcnt vmcnt(0)
	v_add_f64 v[5:6], v[8:9], -v[5:6]
	v_add_f64 v[2:3], v[2:3], -v[5:6]
	v_lshlrev_b64 v[5:6], 3, v[0:1]
	v_add_co_u32_e32 v8, vcc, s8, v5
	v_addc_co_u32_e32 v9, vcc, v4, v6, vcc
	v_add_co_u32_e32 v5, vcc, s10, v5
	v_addc_co_u32_e32 v6, vcc, v7, v6, vcc
	global_load_dwordx2 v[8:9], v[8:9], off
	s_nop 0
	global_load_dwordx2 v[5:6], v[5:6], off
	s_waitcnt vmcnt(0)
	v_add_f64 v[5:6], v[8:9], -v[5:6]
	v_add_f64 v[2:3], v[2:3], v[5:6]
	v_mad_u64_u32 v[5:6], s[16:17], s2, 14, v[0:1]
	v_mov_b32_e32 v6, v1
	v_lshlrev_b64 v[8:9], 3, v[5:6]
	v_add_u32_e32 v0, s6, v5
	v_add_co_u32_e32 v10, vcc, s8, v8
	v_addc_co_u32_e32 v11, vcc, v4, v9, vcc
	v_add_co_u32_e32 v8, vcc, s10, v8
	v_addc_co_u32_e32 v9, vcc, v7, v9, vcc
	global_load_dwordx2 v[10:11], v[10:11], off
	v_lshlrev_b64 v[5:6], 3, v[0:1]
	global_load_dwordx2 v[8:9], v[8:9], off
	v_add_u32_e32 v0, s2, v0
	s_waitcnt vmcnt(0)
	v_add_f64 v[8:9], v[10:11], -v[8:9]
	v_add_f64 v[2:3], v[2:3], v[8:9]
	v_add_co_u32_e32 v8, vcc, s8, v5
	v_addc_co_u32_e32 v9, vcc, v4, v6, vcc
	v_add_co_u32_e32 v5, vcc, s10, v5
	v_addc_co_u32_e32 v6, vcc, v7, v6, vcc
	global_load_dwordx2 v[8:9], v[8:9], off
	s_nop 0
	global_load_dwordx2 v[5:6], v[5:6], off
	s_waitcnt vmcnt(0)
	v_add_f64 v[5:6], v[8:9], -v[5:6]
	v_add_f64 v[2:3], v[2:3], v[5:6]
	v_lshlrev_b64 v[5:6], 3, v[0:1]
	v_add_u32_e32 v0, s3, v0
	v_add_co_u32_e32 v8, vcc, s8, v5
	v_addc_co_u32_e32 v9, vcc, v4, v6, vcc
	v_add_co_u32_e32 v5, vcc, s10, v5
	v_addc_co_u32_e32 v6, vcc, v7, v6, vcc
	global_load_dwordx2 v[8:9], v[8:9], off
	s_nop 0
	global_load_dwordx2 v[5:6], v[5:6], off
	s_waitcnt vmcnt(0)
	v_add_f64 v[5:6], v[8:9], -v[5:6]
	v_add_f64 v[2:3], v[2:3], -v[5:6]
	v_lshlrev_b64 v[5:6], 3, v[0:1]
	v_add_co_u32_e32 v8, vcc, s8, v5
	v_addc_co_u32_e32 v9, vcc, v4, v6, vcc
	v_add_co_u32_e32 v5, vcc, s10, v5
	v_addc_co_u32_e32 v6, vcc, v7, v6, vcc
	global_load_dwordx2 v[8:9], v[8:9], off
	s_nop 0
	global_load_dwordx2 v[5:6], v[5:6], off
	s_waitcnt vmcnt(0)
	v_add_f64 v[5:6], v[8:9], -v[5:6]
	v_add_f64 v[2:3], v[2:3], v[5:6]
	v_mad_u64_u32 v[5:6], s[6:7], s2, 7, v[0:1]
	v_mov_b32_e32 v6, v1
	v_lshlrev_b64 v[8:9], 3, v[5:6]
	v_add_u32_e32 v0, s2, v5
	v_add_co_u32_e32 v10, vcc, s8, v8
	v_addc_co_u32_e32 v11, vcc, v4, v9, vcc
	v_add_co_u32_e32 v8, vcc, s10, v8
	v_addc_co_u32_e32 v9, vcc, v7, v9, vcc
	global_load_dwordx2 v[10:11], v[10:11], off
	v_lshlrev_b64 v[5:6], 3, v[0:1]
	global_load_dwordx2 v[8:9], v[8:9], off
	v_add_u32_e32 v0, s3, v0
	s_mulk_i32 s2, 0xff39
	s_waitcnt vmcnt(0)
	v_add_f64 v[8:9], v[10:11], -v[8:9]
	v_add_f64 v[2:3], v[2:3], v[8:9]
	v_add_co_u32_e32 v8, vcc, s8, v5
	v_addc_co_u32_e32 v9, vcc, v4, v6, vcc
	v_add_co_u32_e32 v5, vcc, s10, v5
	v_addc_co_u32_e32 v6, vcc, v7, v6, vcc
	global_load_dwordx2 v[8:9], v[8:9], off
	s_nop 0
	global_load_dwordx2 v[5:6], v[5:6], off
	s_waitcnt vmcnt(0)
	v_add_f64 v[5:6], v[8:9], -v[5:6]
	v_add_f64 v[2:3], v[2:3], -v[5:6]
	v_lshlrev_b64 v[5:6], 3, v[0:1]
	v_add_u32_e32 v0, s4, v0
	v_add_co_u32_e32 v8, vcc, s8, v5
	v_addc_co_u32_e32 v9, vcc, v4, v6, vcc
	v_add_co_u32_e32 v5, vcc, s10, v5
	v_addc_co_u32_e32 v6, vcc, v7, v6, vcc
	global_load_dwordx2 v[8:9], v[8:9], off
	s_nop 0
	global_load_dwordx2 v[5:6], v[5:6], off
	s_waitcnt vmcnt(0)
	v_add_f64 v[5:6], v[8:9], -v[5:6]
	v_lshlrev_b64 v[8:9], 3, v[0:1]
	v_add_u32_e32 v0, s2, v0
	v_lshlrev_b64 v[0:1], 3, v[0:1]
	v_add_f64 v[2:3], v[2:3], -v[5:6]
	v_add_co_u32_e32 v5, vcc, s8, v8
	v_addc_co_u32_e32 v6, vcc, v4, v9, vcc
	global_load_dwordx2 v[4:5], v[5:6], off
	v_add_co_u32_e32 v6, vcc, s10, v8
	v_addc_co_u32_e32 v7, vcc, v7, v9, vcc
	global_load_dwordx2 v[6:7], v[6:7], off
	v_add_co_u32_e32 v0, vcc, s12, v0
	s_waitcnt vmcnt(0)
	v_add_f64 v[4:5], v[4:5], -v[6:7]
	v_add_f64 v[2:3], v[2:3], v[4:5]
	v_mov_b32_e32 v4, s13
	v_addc_co_u32_e32 v1, vcc, v4, v1, vcc
	v_mul_f64 v[2:3], s[14:15], v[2:3]
	s_waitcnt lgkmcnt(0)
	v_mul_f64 v[2:3], s[0:1], v[2:3]
	global_store_dwordx2 v[0:1], v[2:3], off
	s_endpgm
	.section	.rodata,"a",@progbits
	.p2align	6, 0x0
	.amdhsa_kernel _Z14rdwdot9_kernelIdEvPKT_S2_PS0_S0_S2_
		.amdhsa_group_segment_fixed_size 0
		.amdhsa_private_segment_fixed_size 0
		.amdhsa_kernarg_size 296
		.amdhsa_user_sgpr_count 6
		.amdhsa_user_sgpr_private_segment_buffer 1
		.amdhsa_user_sgpr_dispatch_ptr 0
		.amdhsa_user_sgpr_queue_ptr 0
		.amdhsa_user_sgpr_kernarg_segment_ptr 1
		.amdhsa_user_sgpr_dispatch_id 0
		.amdhsa_user_sgpr_flat_scratch_init 0
		.amdhsa_user_sgpr_private_segment_size 0
		.amdhsa_uses_dynamic_stack 0
		.amdhsa_system_sgpr_private_segment_wavefront_offset 0
		.amdhsa_system_sgpr_workgroup_id_x 1
		.amdhsa_system_sgpr_workgroup_id_y 0
		.amdhsa_system_sgpr_workgroup_id_z 0
		.amdhsa_system_sgpr_workgroup_info 0
		.amdhsa_system_vgpr_workitem_id 0
		.amdhsa_next_free_vgpr 12
		.amdhsa_next_free_sgpr 18
		.amdhsa_reserve_vcc 1
		.amdhsa_reserve_flat_scratch 0
		.amdhsa_float_round_mode_32 0
		.amdhsa_float_round_mode_16_64 0
		.amdhsa_float_denorm_mode_32 3
		.amdhsa_float_denorm_mode_16_64 3
		.amdhsa_dx10_clamp 1
		.amdhsa_ieee_mode 1
		.amdhsa_fp16_overflow 0
		.amdhsa_exception_fp_ieee_invalid_op 0
		.amdhsa_exception_fp_denorm_src 0
		.amdhsa_exception_fp_ieee_div_zero 0
		.amdhsa_exception_fp_ieee_overflow 0
		.amdhsa_exception_fp_ieee_underflow 0
		.amdhsa_exception_fp_ieee_inexact 0
		.amdhsa_exception_int_div_zero 0
	.end_amdhsa_kernel
	.section	.text._Z14rdwdot9_kernelIdEvPKT_S2_PS0_S0_S2_,"axG",@progbits,_Z14rdwdot9_kernelIdEvPKT_S2_PS0_S0_S2_,comdat
.Lfunc_end52:
	.size	_Z14rdwdot9_kernelIdEvPKT_S2_PS0_S0_S2_, .Lfunc_end52-_Z14rdwdot9_kernelIdEvPKT_S2_PS0_S0_S2_
                                        ; -- End function
	.set _Z14rdwdot9_kernelIdEvPKT_S2_PS0_S0_S2_.num_vgpr, 12
	.set _Z14rdwdot9_kernelIdEvPKT_S2_PS0_S0_S2_.num_agpr, 0
	.set _Z14rdwdot9_kernelIdEvPKT_S2_PS0_S0_S2_.numbered_sgpr, 18
	.set _Z14rdwdot9_kernelIdEvPKT_S2_PS0_S0_S2_.num_named_barrier, 0
	.set _Z14rdwdot9_kernelIdEvPKT_S2_PS0_S0_S2_.private_seg_size, 0
	.set _Z14rdwdot9_kernelIdEvPKT_S2_PS0_S0_S2_.uses_vcc, 1
	.set _Z14rdwdot9_kernelIdEvPKT_S2_PS0_S0_S2_.uses_flat_scratch, 0
	.set _Z14rdwdot9_kernelIdEvPKT_S2_PS0_S0_S2_.has_dyn_sized_stack, 0
	.set _Z14rdwdot9_kernelIdEvPKT_S2_PS0_S0_S2_.has_recursion, 0
	.set _Z14rdwdot9_kernelIdEvPKT_S2_PS0_S0_S2_.has_indirect_call, 0
	.section	.AMDGPU.csdata,"",@progbits
; Kernel info:
; codeLenInByte = 4128
; TotalNumSgprs: 22
; NumVgprs: 12
; ScratchSize: 0
; MemoryBound: 0
; FloatMode: 240
; IeeeMode: 1
; LDSByteSize: 0 bytes/workgroup (compile time only)
; SGPRBlocks: 2
; VGPRBlocks: 2
; NumSGPRsForWavesPerEU: 22
; NumVGPRsForWavesPerEU: 12
; Occupancy: 10
; WaveLimiterHint : 0
; COMPUTE_PGM_RSRC2:SCRATCH_EN: 0
; COMPUTE_PGM_RSRC2:USER_SGPR: 6
; COMPUTE_PGM_RSRC2:TRAP_HANDLER: 0
; COMPUTE_PGM_RSRC2:TGID_X_EN: 1
; COMPUTE_PGM_RSRC2:TGID_Y_EN: 0
; COMPUTE_PGM_RSRC2:TGID_Z_EN: 0
; COMPUTE_PGM_RSRC2:TIDIG_COMP_CNT: 0
	.section	.text._Z15rdwdot10_kernelIdEvPKT_S2_PS0_S0_S2_,"axG",@progbits,_Z15rdwdot10_kernelIdEvPKT_S2_PS0_S0_S2_,comdat
	.protected	_Z15rdwdot10_kernelIdEvPKT_S2_PS0_S0_S2_ ; -- Begin function _Z15rdwdot10_kernelIdEvPKT_S2_PS0_S0_S2_
	.globl	_Z15rdwdot10_kernelIdEvPKT_S2_PS0_S0_S2_
	.p2align	8
	.type	_Z15rdwdot10_kernelIdEvPKT_S2_PS0_S0_S2_,@function
_Z15rdwdot10_kernelIdEvPKT_S2_PS0_S0_S2_: ; @_Z15rdwdot10_kernelIdEvPKT_S2_PS0_S0_S2_
; %bb.0:
	s_load_dwordx8 s[8:15], s[4:5], 0x0
	s_load_dwordx2 s[16:17], s[4:5], 0x20
	s_load_dword s0, s[4:5], 0x28
	s_load_dword s1, s[4:5], 0x34
	v_mov_b32_e32 v3, 0
	s_waitcnt lgkmcnt(0)
	v_mov_b32_e32 v51, s9
	v_mov_b32_e32 v52, s11
	s_load_dwordx2 s[22:23], s[16:17], 0x0
	s_and_b32 s2, s1, 0xffff
	s_mul_i32 s4, s0, s2
	s_mul_i32 s6, s6, s2
	;; [unrolled: 1-line block ×3, first 2 shown]
	v_add_u32_e32 v6, s6, v0
	v_add_u32_e32 v2, s1, v6
	v_lshlrev_b64 v[0:1], 3, v[2:3]
	v_add_u32_e32 v2, s4, v2
	v_add_co_u32_e32 v4, vcc, s8, v0
	v_addc_co_u32_e32 v5, vcc, v51, v1, vcc
	v_add_co_u32_e32 v0, vcc, s10, v0
	v_addc_co_u32_e32 v1, vcc, v52, v1, vcc
	global_load_dwordx2 v[4:5], v[4:5], off
	s_mul_i32 s0, s4, 7
	global_load_dwordx2 v[0:1], v[0:1], off
	s_lshl_b32 s5, s4, 2
	s_mul_i32 s2, s4, 0xffffffe9
	s_mul_i32 s7, s4, 15
	;; [unrolled: 1-line block ×4, first 2 shown]
	s_lshl_b32 s18, s4, 1
	s_mul_i32 s3, s4, 3
	s_lshl_b32 s19, s4, 3
	s_mul_i32 s11, s4, 14
	v_mov_b32_e32 v50, s13
	s_mul_i32 s13, s4, 0xffffff3c
	s_waitcnt vmcnt(0)
	v_add_f64 v[0:1], v[4:5], -v[0:1]
	v_lshlrev_b64 v[4:5], 3, v[2:3]
	v_add_u32_e32 v2, s4, v2
	v_add_co_u32_e32 v7, vcc, s8, v4
	v_addc_co_u32_e32 v8, vcc, v51, v5, vcc
	v_add_co_u32_e32 v4, vcc, s10, v4
	v_addc_co_u32_e32 v5, vcc, v52, v5, vcc
	global_load_dwordx2 v[7:8], v[7:8], off
	s_nop 0
	global_load_dwordx2 v[4:5], v[4:5], off
	s_waitcnt vmcnt(0)
	v_add_f64 v[4:5], v[7:8], -v[4:5]
	v_add_f64 v[0:1], v[0:1], v[4:5]
	v_lshlrev_b64 v[4:5], 3, v[2:3]
	v_add_u32_e32 v2, s4, v2
	v_add_co_u32_e32 v7, vcc, s8, v4
	v_addc_co_u32_e32 v8, vcc, v51, v5, vcc
	v_add_co_u32_e32 v4, vcc, s10, v4
	v_addc_co_u32_e32 v5, vcc, v52, v5, vcc
	global_load_dwordx2 v[7:8], v[7:8], off
	s_nop 0
	global_load_dwordx2 v[4:5], v[4:5], off
	s_waitcnt vmcnt(0)
	v_add_f64 v[4:5], v[7:8], -v[4:5]
	v_add_f64 v[0:1], v[0:1], v[4:5]
	;; [unrolled: 12-line block ×3, first 2 shown]
	v_lshlrev_b64 v[0:1], 3, v[2:3]
	v_add_u32_e32 v2, s4, v2
	v_add_co_u32_e32 v4, vcc, s8, v0
	v_addc_co_u32_e32 v5, vcc, v51, v1, vcc
	v_add_co_u32_e32 v0, vcc, s10, v0
	v_addc_co_u32_e32 v1, vcc, v52, v1, vcc
	global_load_dwordx2 v[4:5], v[4:5], off
	s_nop 0
	global_load_dwordx2 v[0:1], v[0:1], off
	s_waitcnt vmcnt(0)
	v_add_f64 v[0:1], v[4:5], -v[0:1]
	v_lshlrev_b64 v[4:5], 3, v[2:3]
	v_add_u32_e32 v2, s5, v2
	v_add_co_u32_e32 v7, vcc, s8, v4
	v_addc_co_u32_e32 v8, vcc, v51, v5, vcc
	v_add_co_u32_e32 v4, vcc, s10, v4
	v_addc_co_u32_e32 v5, vcc, v52, v5, vcc
	global_load_dwordx2 v[7:8], v[7:8], off
	s_nop 0
	global_load_dwordx2 v[4:5], v[4:5], off
	s_waitcnt vmcnt(0)
	v_add_f64 v[4:5], v[7:8], -v[4:5]
	v_add_f64 v[12:13], v[0:1], v[4:5]
	v_lshlrev_b64 v[0:1], 3, v[2:3]
	v_add_u32_e32 v2, s4, v2
	v_add_co_u32_e32 v4, vcc, s8, v0
	v_addc_co_u32_e32 v5, vcc, v51, v1, vcc
	v_add_co_u32_e32 v0, vcc, s10, v0
	v_addc_co_u32_e32 v1, vcc, v52, v1, vcc
	global_load_dwordx2 v[4:5], v[4:5], off
	s_nop 0
	global_load_dwordx2 v[0:1], v[0:1], off
	s_waitcnt vmcnt(0)
	v_add_f64 v[0:1], v[4:5], -v[0:1]
	v_lshlrev_b64 v[4:5], 3, v[2:3]
	v_add_u32_e32 v2, s2, v2
	v_add_co_u32_e32 v7, vcc, s8, v4
	v_addc_co_u32_e32 v8, vcc, v51, v5, vcc
	v_add_co_u32_e32 v4, vcc, s10, v4
	v_addc_co_u32_e32 v5, vcc, v52, v5, vcc
	global_load_dwordx2 v[7:8], v[7:8], off
	s_mul_i32 s2, s4, 5
	global_load_dwordx2 v[4:5], v[4:5], off
	s_waitcnt vmcnt(0)
	v_add_f64 v[4:5], v[7:8], -v[4:5]
	v_add_f64 v[4:5], v[0:1], v[4:5]
	v_lshlrev_b64 v[0:1], 3, v[2:3]
	v_add_u32_e32 v2, s4, v2
	v_add_co_u32_e32 v7, vcc, s8, v0
	v_addc_co_u32_e32 v8, vcc, v51, v1, vcc
	v_add_co_u32_e32 v0, vcc, s10, v0
	v_addc_co_u32_e32 v1, vcc, v52, v1, vcc
	global_load_dwordx2 v[7:8], v[7:8], off
	s_nop 0
	global_load_dwordx2 v[0:1], v[0:1], off
	s_waitcnt vmcnt(0)
	v_add_f64 v[7:8], v[7:8], -v[0:1]
	v_lshlrev_b64 v[0:1], 3, v[2:3]
	v_add_u32_e32 v2, s4, v2
	v_add_co_u32_e32 v14, vcc, s8, v0
	v_addc_co_u32_e32 v15, vcc, v51, v1, vcc
	v_add_co_u32_e32 v16, vcc, s10, v0
	v_addc_co_u32_e32 v17, vcc, v52, v1, vcc
	global_load_dwordx2 v[14:15], v[14:15], off
	s_nop 0
	global_load_dwordx2 v[16:17], v[16:17], off
	s_waitcnt vmcnt(0)
	v_add_f64 v[14:15], v[14:15], -v[16:17]
	v_add_f64 v[7:8], v[7:8], v[14:15]
	v_lshlrev_b64 v[14:15], 3, v[2:3]
	v_add_u32_e32 v2, s4, v2
	v_add_co_u32_e32 v16, vcc, s8, v14
	v_addc_co_u32_e32 v17, vcc, v51, v15, vcc
	v_add_co_u32_e32 v14, vcc, s10, v14
	v_addc_co_u32_e32 v15, vcc, v52, v15, vcc
	global_load_dwordx2 v[16:17], v[16:17], off
	s_nop 0
	global_load_dwordx2 v[14:15], v[14:15], off
	s_waitcnt vmcnt(0)
	v_add_f64 v[14:15], v[16:17], -v[14:15]
	v_add_f64 v[7:8], v[7:8], v[14:15]
	;; [unrolled: 12-line block ×3, first 2 shown]
	v_lshlrev_b64 v[7:8], 3, v[2:3]
	v_add_u32_e32 v2, s4, v2
	v_add_co_u32_e32 v14, vcc, s8, v7
	v_addc_co_u32_e32 v15, vcc, v51, v8, vcc
	v_add_co_u32_e32 v7, vcc, s10, v7
	v_addc_co_u32_e32 v8, vcc, v52, v8, vcc
	global_load_dwordx2 v[14:15], v[14:15], off
	s_nop 0
	global_load_dwordx2 v[7:8], v[7:8], off
	s_waitcnt vmcnt(0)
	v_add_f64 v[8:9], v[14:15], -v[7:8]
	v_lshlrev_b64 v[14:15], 3, v[2:3]
	v_add_u32_e32 v2, s7, v2
	v_add_co_u32_e32 v18, vcc, s8, v14
	v_addc_co_u32_e32 v19, vcc, v51, v15, vcc
	v_add_co_u32_e32 v20, vcc, s10, v14
	v_addc_co_u32_e32 v21, vcc, v52, v15, vcc
	global_load_dwordx2 v[22:23], v[18:19], off
	global_load_dwordx2 v[24:25], v[20:21], off
	v_mov_b32_e32 v7, v3
	v_lshlrev_b64 v[6:7], 3, v[6:7]
	s_waitcnt vmcnt(0)
	v_add_f64 v[22:23], v[22:23], -v[24:25]
	v_add_f64 v[22:23], -v[8:9], -v[22:23]
	v_add_f64 v[22:23], v[16:17], v[22:23]
	v_lshlrev_b64 v[16:17], 3, v[2:3]
	v_add_u32_e32 v2, s6, v2
	v_add_co_u32_e32 v24, vcc, s8, v16
	v_addc_co_u32_e32 v25, vcc, v51, v17, vcc
	v_add_co_u32_e32 v16, vcc, s10, v16
	v_addc_co_u32_e32 v17, vcc, v52, v17, vcc
	global_load_dwordx2 v[24:25], v[24:25], off
	s_nop 0
	global_load_dwordx2 v[16:17], v[16:17], off
	s_waitcnt vmcnt(0)
	v_add_f64 v[16:17], v[24:25], -v[16:17]
	v_lshlrev_b64 v[24:25], 3, v[2:3]
	v_add_u32_e32 v2, s0, v2
	v_add_co_u32_e32 v26, vcc, s8, v24
	v_addc_co_u32_e32 v27, vcc, v51, v25, vcc
	v_add_co_u32_e32 v24, vcc, s10, v24
	v_addc_co_u32_e32 v25, vcc, v52, v25, vcc
	global_load_dwordx2 v[26:27], v[26:27], off
	v_add_f64 v[22:23], v[22:23], v[16:17]
	global_load_dwordx2 v[24:25], v[24:25], off
	s_waitcnt vmcnt(0)
	v_add_f64 v[24:25], v[26:27], -v[24:25]
	v_add_f64 v[22:23], v[22:23], v[24:25]
	v_lshlrev_b64 v[24:25], 3, v[2:3]
	v_add_u32_e32 v2, s2, v2
	v_add_co_u32_e32 v26, vcc, s8, v24
	v_addc_co_u32_e32 v27, vcc, v51, v25, vcc
	v_add_co_u32_e32 v24, vcc, s10, v24
	v_addc_co_u32_e32 v25, vcc, v52, v25, vcc
	global_load_dwordx2 v[26:27], v[26:27], off
	s_nop 0
	global_load_dwordx2 v[24:25], v[24:25], off
	s_waitcnt vmcnt(0)
	v_add_f64 v[24:25], v[26:27], -v[24:25]
	v_add_f64 v[22:23], v[22:23], -v[24:25]
	v_lshlrev_b64 v[24:25], 3, v[2:3]
	v_add_u32_e32 v2, s6, v2
	v_add_co_u32_e32 v26, vcc, s8, v24
	v_addc_co_u32_e32 v27, vcc, v51, v25, vcc
	v_add_co_u32_e32 v24, vcc, s10, v24
	v_addc_co_u32_e32 v25, vcc, v52, v25, vcc
	global_load_dwordx2 v[26:27], v[26:27], off
	s_nop 0
	global_load_dwordx2 v[24:25], v[24:25], off
	s_waitcnt vmcnt(0)
	v_add_f64 v[24:25], v[26:27], -v[24:25]
	v_add_f64 v[22:23], v[22:23], -v[24:25]
	v_lshlrev_b64 v[24:25], 3, v[2:3]
	v_add_u32_e32 v2, s0, v2
	v_add_co_u32_e32 v26, vcc, s8, v24
	v_addc_co_u32_e32 v27, vcc, v51, v25, vcc
	v_add_co_u32_e32 v24, vcc, s10, v24
	v_addc_co_u32_e32 v25, vcc, v52, v25, vcc
	global_load_dwordx2 v[26:27], v[26:27], off
	s_nop 0
	global_load_dwordx2 v[24:25], v[24:25], off
	s_waitcnt vmcnt(0)
	v_add_f64 v[24:25], v[26:27], -v[24:25]
	v_add_f64 v[22:23], v[22:23], v[24:25]
	v_lshlrev_b64 v[24:25], 3, v[2:3]
	v_add_u32_e32 v2, s9, v2
	v_add_co_u32_e32 v26, vcc, s8, v24
	v_addc_co_u32_e32 v27, vcc, v51, v25, vcc
	v_add_co_u32_e32 v24, vcc, s10, v24
	v_addc_co_u32_e32 v25, vcc, v52, v25, vcc
	global_load_dwordx2 v[26:27], v[26:27], off
	s_nop 0
	global_load_dwordx2 v[24:25], v[24:25], off
	s_waitcnt vmcnt(0)
	v_add_f64 v[24:25], v[26:27], -v[24:25]
	v_add_f64 v[22:23], v[22:23], -v[24:25]
	v_lshlrev_b64 v[24:25], 3, v[2:3]
	v_add_u32_e32 v2, s18, v2
	v_add_co_u32_e32 v26, vcc, s8, v24
	v_addc_co_u32_e32 v27, vcc, v51, v25, vcc
	v_add_co_u32_e32 v24, vcc, s10, v24
	v_addc_co_u32_e32 v25, vcc, v52, v25, vcc
	global_load_dwordx2 v[26:27], v[26:27], off
	s_nop 0
	global_load_dwordx2 v[24:25], v[24:25], off
	s_waitcnt vmcnt(0)
	v_add_f64 v[24:25], v[26:27], -v[24:25]
	v_add_f64 v[22:23], v[22:23], v[24:25]
	v_lshlrev_b64 v[24:25], 3, v[2:3]
	v_add_u32_e32 v2, s4, v2
	v_add_co_u32_e32 v26, vcc, s8, v24
	v_addc_co_u32_e32 v27, vcc, v51, v25, vcc
	v_add_co_u32_e32 v24, vcc, s10, v24
	v_addc_co_u32_e32 v25, vcc, v52, v25, vcc
	global_load_dwordx2 v[26:27], v[26:27], off
	s_nop 0
	global_load_dwordx2 v[24:25], v[24:25], off
	s_waitcnt vmcnt(0)
	v_add_f64 v[24:25], v[26:27], -v[24:25]
	v_add_f64 v[22:23], v[22:23], v[24:25]
	v_lshlrev_b64 v[24:25], 3, v[2:3]
	v_add_u32_e32 v2, s3, v2
	v_add_co_u32_e32 v26, vcc, s8, v24
	v_addc_co_u32_e32 v27, vcc, v51, v25, vcc
	v_add_co_u32_e32 v24, vcc, s10, v24
	v_addc_co_u32_e32 v25, vcc, v52, v25, vcc
	global_load_dwordx2 v[26:27], v[26:27], off
	s_nop 0
	global_load_dwordx2 v[24:25], v[24:25], off
	s_waitcnt vmcnt(0)
	v_add_f64 v[42:43], v[26:27], -v[24:25]
	v_lshlrev_b64 v[24:25], 3, v[2:3]
	v_add_u32_e32 v2, s19, v2
	v_add_co_u32_e32 v26, vcc, s8, v24
	v_addc_co_u32_e32 v27, vcc, v51, v25, vcc
	v_add_co_u32_e32 v24, vcc, s10, v24
	v_addc_co_u32_e32 v25, vcc, v52, v25, vcc
	global_load_dwordx2 v[26:27], v[26:27], off
	v_add_f64 v[22:23], v[22:23], v[42:43]
	global_load_dwordx2 v[24:25], v[24:25], off
	s_waitcnt vmcnt(0)
	v_add_f64 v[24:25], v[26:27], -v[24:25]
	v_add_f64 v[22:23], v[22:23], -v[24:25]
	v_lshlrev_b64 v[24:25], 3, v[2:3]
	v_add_co_u32_e32 v26, vcc, s8, v24
	v_addc_co_u32_e32 v27, vcc, v51, v25, vcc
	v_add_co_u32_e32 v24, vcc, s10, v24
	v_addc_co_u32_e32 v25, vcc, v52, v25, vcc
	global_load_dwordx2 v[26:27], v[26:27], off
	s_nop 0
	global_load_dwordx2 v[24:25], v[24:25], off
	s_waitcnt vmcnt(0)
	v_add_f64 v[24:25], v[26:27], -v[24:25]
	v_add_f64 v[22:23], v[22:23], v[24:25]
	v_mad_u64_u32 v[24:25], s[20:21], s4, 24, v[2:3]
	v_mov_b32_e32 v25, v3
	v_lshlrev_b64 v[25:26], 3, v[24:25]
	v_add_u32_e32 v2, s6, v24
	v_add_co_u32_e32 v27, vcc, s8, v25
	v_addc_co_u32_e32 v28, vcc, v51, v26, vcc
	v_add_co_u32_e32 v25, vcc, s10, v25
	v_addc_co_u32_e32 v26, vcc, v52, v26, vcc
	global_load_dwordx2 v[27:28], v[27:28], off
	s_nop 0
	global_load_dwordx2 v[25:26], v[25:26], off
	s_waitcnt vmcnt(0)
	v_add_f64 v[25:26], v[27:28], -v[25:26]
	v_add_f64 v[22:23], v[22:23], v[25:26]
	v_lshlrev_b64 v[24:25], 3, v[2:3]
	v_add_co_u32_e32 v26, vcc, s8, v24
	v_addc_co_u32_e32 v27, vcc, v51, v25, vcc
	v_add_co_u32_e32 v24, vcc, s10, v24
	v_addc_co_u32_e32 v25, vcc, v52, v25, vcc
	global_load_dwordx2 v[26:27], v[26:27], off
	s_nop 0
	global_load_dwordx2 v[24:25], v[24:25], off
	s_waitcnt vmcnt(0)
	v_add_f64 v[24:25], v[26:27], -v[24:25]
	v_add_f64 v[22:23], v[22:23], v[24:25]
	v_mad_u64_u32 v[24:25], s[20:21], s4, 25, v[2:3]
	v_mov_b32_e32 v25, v3
	s_lshl_b32 s20, s4, 4
	v_lshlrev_b64 v[25:26], 3, v[24:25]
	v_add_u32_e32 v2, s6, v24
	v_add_co_u32_e32 v27, vcc, s8, v25
	v_addc_co_u32_e32 v28, vcc, v51, v26, vcc
	v_add_co_u32_e32 v25, vcc, s10, v25
	v_addc_co_u32_e32 v26, vcc, v52, v26, vcc
	global_load_dwordx2 v[27:28], v[27:28], off
	s_mul_i32 s21, s4, 12
	global_load_dwordx2 v[25:26], v[25:26], off
	s_waitcnt vmcnt(0)
	v_add_f64 v[25:26], v[27:28], -v[25:26]
	v_add_f64 v[22:23], v[22:23], v[25:26]
	v_lshlrev_b64 v[24:25], 3, v[2:3]
	v_add_u32_e32 v2, s4, v2
	v_add_co_u32_e32 v26, vcc, s8, v24
	v_addc_co_u32_e32 v27, vcc, v51, v25, vcc
	v_add_co_u32_e32 v24, vcc, s10, v24
	v_addc_co_u32_e32 v25, vcc, v52, v25, vcc
	global_load_dwordx2 v[26:27], v[26:27], off
	s_nop 0
	global_load_dwordx2 v[24:25], v[24:25], off
	s_waitcnt vmcnt(0)
	v_add_f64 v[24:25], v[26:27], -v[24:25]
	v_add_f64 v[22:23], v[22:23], v[24:25]
	v_lshlrev_b64 v[24:25], 3, v[2:3]
	v_add_u32_e32 v2, s20, v2
	v_add_co_u32_e32 v26, vcc, s8, v24
	v_addc_co_u32_e32 v27, vcc, v51, v25, vcc
	v_add_co_u32_e32 v24, vcc, s10, v24
	v_addc_co_u32_e32 v25, vcc, v52, v25, vcc
	global_load_dwordx2 v[26:27], v[26:27], off
	s_nop 0
	;; [unrolled: 12-line block ×8, first 2 shown]
	global_load_dwordx2 v[24:25], v[24:25], off
	s_waitcnt vmcnt(0)
	v_add_f64 v[24:25], v[26:27], -v[24:25]
	v_add_f64 v[22:23], v[22:23], v[24:25]
	v_lshlrev_b64 v[24:25], 3, v[2:3]
	v_add_u32_e32 v2, s13, v2
	v_add_co_u32_e32 v26, vcc, s8, v24
	v_addc_co_u32_e32 v27, vcc, v51, v25, vcc
	v_add_co_u32_e32 v24, vcc, s10, v24
	v_addc_co_u32_e32 v25, vcc, v52, v25, vcc
	global_load_dwordx2 v[26:27], v[26:27], off
	s_mul_i32 s13, s4, 17
	global_load_dwordx2 v[24:25], v[24:25], off
	s_waitcnt vmcnt(0)
	v_add_f64 v[24:25], v[26:27], -v[24:25]
	v_lshlrev_b64 v[26:27], 3, v[2:3]
	v_add_u32_e32 v2, s6, v2
	v_add_f64 v[22:23], v[22:23], v[24:25]
	v_add_co_u32_e32 v24, vcc, s12, v6
	v_addc_co_u32_e32 v25, vcc, v50, v7, vcc
	v_mul_f64 v[22:23], s[14:15], v[22:23]
	s_waitcnt lgkmcnt(0)
	v_mul_f64 v[22:23], s[22:23], v[22:23]
	global_store_dwordx2 v[24:25], v[22:23], off
	v_add_co_u32_e32 v22, vcc, s8, v6
	v_addc_co_u32_e32 v23, vcc, v51, v7, vcc
	v_add_co_u32_e32 v6, vcc, s10, v6
	v_addc_co_u32_e32 v7, vcc, v52, v7, vcc
	global_load_dwordx2 v[22:23], v[22:23], off
	s_nop 0
	global_load_dwordx2 v[6:7], v[6:7], off
	s_waitcnt vmcnt(0)
	v_add_f64 v[28:29], v[22:23], -v[6:7]
	v_add_co_u32_e32 v22, vcc, s8, v26
	v_addc_co_u32_e32 v23, vcc, v51, v27, vcc
	v_add_co_u32_e32 v24, vcc, s10, v26
	v_addc_co_u32_e32 v25, vcc, v52, v27, vcc
	v_add_f64 v[6:7], v[28:29], -v[8:9]
	global_load_dwordx2 v[8:9], v[22:23], off
	global_load_dwordx2 v[30:31], v[24:25], off
	s_waitcnt vmcnt(0)
	v_add_f64 v[8:9], v[8:9], -v[30:31]
	v_add_f64 v[6:7], v[6:7], v[8:9]
	v_lshlrev_b64 v[8:9], 3, v[2:3]
	v_add_u32_e32 v2, s4, v2
	v_add_co_u32_e32 v30, vcc, s8, v8
	v_addc_co_u32_e32 v31, vcc, v51, v9, vcc
	v_add_co_u32_e32 v8, vcc, s10, v8
	v_addc_co_u32_e32 v9, vcc, v52, v9, vcc
	global_load_dwordx2 v[30:31], v[30:31], off
	s_nop 0
	global_load_dwordx2 v[8:9], v[8:9], off
	s_waitcnt vmcnt(0)
	v_add_f64 v[8:9], v[30:31], -v[8:9]
	v_add_f64 v[6:7], v[6:7], -v[8:9]
	v_lshlrev_b64 v[8:9], 3, v[2:3]
	v_add_u32_e32 v2, s6, v2
	v_add_co_u32_e32 v30, vcc, s8, v8
	v_addc_co_u32_e32 v31, vcc, v51, v9, vcc
	v_add_co_u32_e32 v8, vcc, s10, v8
	v_addc_co_u32_e32 v9, vcc, v52, v9, vcc
	global_load_dwordx2 v[30:31], v[30:31], off
	s_nop 0
	global_load_dwordx2 v[8:9], v[8:9], off
	s_waitcnt vmcnt(0)
	v_add_f64 v[30:31], v[30:31], -v[8:9]
	v_lshlrev_b64 v[8:9], 3, v[2:3]
	v_add_u32_e32 v2, s3, v2
	v_add_f64 v[6:7], v[6:7], -v[30:31]
	v_add_f64 v[32:33], v[6:7], -v[30:31]
	v_add_co_u32_e32 v6, vcc, s8, v8
	v_addc_co_u32_e32 v7, vcc, v51, v9, vcc
	v_add_co_u32_e32 v8, vcc, s10, v8
	v_addc_co_u32_e32 v9, vcc, v52, v9, vcc
	global_load_dwordx2 v[34:35], v[6:7], off
	global_load_dwordx2 v[36:37], v[8:9], off
	s_waitcnt vmcnt(0)
	v_add_f64 v[34:35], v[34:35], -v[36:37]
	v_add_f64 v[34:35], v[32:33], v[34:35]
	v_lshlrev_b64 v[32:33], 3, v[2:3]
	v_add_u32_e32 v2, s6, v2
	v_add_co_u32_e32 v36, vcc, s8, v32
	v_addc_co_u32_e32 v37, vcc, v51, v33, vcc
	v_add_co_u32_e32 v32, vcc, s10, v32
	v_addc_co_u32_e32 v33, vcc, v52, v33, vcc
	global_load_dwordx2 v[36:37], v[36:37], off
	s_nop 0
	global_load_dwordx2 v[32:33], v[32:33], off
	s_waitcnt vmcnt(0)
	v_add_f64 v[32:33], v[36:37], -v[32:33]
	v_lshlrev_b64 v[36:37], 3, v[2:3]
	v_add_u32_e32 v2, s3, v2
	v_add_co_u32_e32 v38, vcc, s8, v36
	v_addc_co_u32_e32 v39, vcc, v51, v37, vcc
	v_add_co_u32_e32 v36, vcc, s10, v36
	v_addc_co_u32_e32 v37, vcc, v52, v37, vcc
	global_load_dwordx2 v[38:39], v[38:39], off
	v_add_f64 v[34:35], v[34:35], -v[32:33]
	global_load_dwordx2 v[36:37], v[36:37], off
	s_waitcnt vmcnt(0)
	v_add_f64 v[36:37], v[38:39], -v[36:37]
	v_add_f64 v[34:35], v[34:35], -v[36:37]
	v_lshlrev_b64 v[36:37], 3, v[2:3]
	v_add_u32_e32 v2, s3, v2
	v_add_co_u32_e32 v38, vcc, s8, v36
	v_addc_co_u32_e32 v39, vcc, v51, v37, vcc
	v_add_co_u32_e32 v36, vcc, s10, v36
	v_addc_co_u32_e32 v37, vcc, v52, v37, vcc
	global_load_dwordx2 v[38:39], v[38:39], off
	s_nop 0
	global_load_dwordx2 v[36:37], v[36:37], off
	s_waitcnt vmcnt(0)
	v_add_f64 v[36:37], v[38:39], -v[36:37]
	v_add_f64 v[38:39], v[34:35], -v[36:37]
	v_lshlrev_b64 v[36:37], 3, v[2:3]
	v_add_u32_e32 v2, s18, v2
	v_add_co_u32_e32 v34, vcc, s8, v36
	v_addc_co_u32_e32 v35, vcc, v51, v37, vcc
	v_add_co_u32_e32 v36, vcc, s10, v36
	v_addc_co_u32_e32 v37, vcc, v52, v37, vcc
	global_load_dwordx2 v[40:41], v[34:35], off
	global_load_dwordx2 v[44:45], v[36:37], off
	s_waitcnt vmcnt(0)
	v_add_f64 v[40:41], v[40:41], -v[44:45]
	v_add_f64 v[38:39], v[38:39], v[40:41]
	v_lshlrev_b64 v[40:41], 3, v[2:3]
	v_add_u32_e32 v2, s5, v2
	v_add_co_u32_e32 v44, vcc, s8, v40
	v_addc_co_u32_e32 v45, vcc, v51, v41, vcc
	v_add_co_u32_e32 v40, vcc, s10, v40
	v_addc_co_u32_e32 v41, vcc, v52, v41, vcc
	global_load_dwordx2 v[44:45], v[44:45], off
	s_nop 0
	global_load_dwordx2 v[40:41], v[40:41], off
	s_waitcnt vmcnt(0)
	v_add_f64 v[40:41], v[44:45], -v[40:41]
	v_add_f64 v[44:45], v[38:39], -v[40:41]
	v_lshlrev_b64 v[40:41], 3, v[2:3]
	v_add_u32_e32 v2, s2, v2
	v_add_co_u32_e32 v38, vcc, s8, v40
	v_addc_co_u32_e32 v39, vcc, v51, v41, vcc
	v_add_co_u32_e32 v40, vcc, s10, v40
	v_addc_co_u32_e32 v41, vcc, v52, v41, vcc
	global_load_dwordx2 v[46:47], v[38:39], off
	global_load_dwordx2 v[48:49], v[40:41], off
	s_waitcnt vmcnt(0)
	v_add_f64 v[46:47], v[46:47], -v[48:49]
	v_add_f64 v[44:45], v[44:45], v[46:47]
	v_lshlrev_b64 v[46:47], 3, v[2:3]
	v_add_u32_e32 v2, s4, v2
	v_add_co_u32_e32 v48, vcc, s8, v46
	v_addc_co_u32_e32 v49, vcc, v51, v47, vcc
	v_add_co_u32_e32 v46, vcc, s10, v46
	v_addc_co_u32_e32 v47, vcc, v52, v47, vcc
	global_load_dwordx2 v[48:49], v[48:49], off
	s_nop 0
	global_load_dwordx2 v[46:47], v[46:47], off
	s_waitcnt vmcnt(0)
	v_add_f64 v[46:47], v[48:49], -v[46:47]
	v_add_f64 v[44:45], v[44:45], -v[46:47]
	v_lshlrev_b64 v[46:47], 3, v[2:3]
	v_add_u32_e32 v2, s6, v2
	v_add_co_u32_e32 v48, vcc, s8, v46
	v_addc_co_u32_e32 v49, vcc, v51, v47, vcc
	v_add_co_u32_e32 v46, vcc, s10, v46
	v_addc_co_u32_e32 v47, vcc, v52, v47, vcc
	global_load_dwordx2 v[48:49], v[48:49], off
	s_nop 0
	global_load_dwordx2 v[46:47], v[46:47], off
	s_waitcnt vmcnt(0)
	v_add_f64 v[46:47], v[48:49], -v[46:47]
	v_add_f64 v[44:45], v[44:45], -v[46:47]
	v_lshlrev_b64 v[46:47], 3, v[2:3]
	v_add_u32_e32 v2, s21, v2
	v_add_co_u32_e32 v48, vcc, s8, v46
	v_addc_co_u32_e32 v49, vcc, v51, v47, vcc
	v_add_co_u32_e32 v46, vcc, s10, v46
	v_addc_co_u32_e32 v47, vcc, v52, v47, vcc
	global_load_dwordx2 v[48:49], v[48:49], off
	s_nop 0
	global_load_dwordx2 v[46:47], v[46:47], off
	s_waitcnt vmcnt(0)
	v_add_f64 v[46:47], v[48:49], -v[46:47]
	v_add_f64 v[44:45], v[44:45], -v[46:47]
	v_add_f64 v[42:43], v[44:45], -v[42:43]
	v_lshlrev_b64 v[44:45], 3, v[2:3]
	v_add_u32_e32 v2, s1, v2
	v_add_co_u32_e32 v46, vcc, s8, v44
	v_addc_co_u32_e32 v47, vcc, v51, v45, vcc
	v_add_co_u32_e32 v44, vcc, s10, v44
	v_addc_co_u32_e32 v45, vcc, v52, v45, vcc
	global_load_dwordx2 v[46:47], v[46:47], off
	s_nop 0
	global_load_dwordx2 v[44:45], v[44:45], off
	s_waitcnt vmcnt(0)
	v_add_f64 v[44:45], v[46:47], -v[44:45]
	v_add_f64 v[42:43], v[42:43], -v[44:45]
	v_lshlrev_b64 v[44:45], 3, v[2:3]
	v_add_u32_e32 v2, s6, v2
	v_add_co_u32_e32 v46, vcc, s8, v44
	v_addc_co_u32_e32 v47, vcc, v51, v45, vcc
	v_add_co_u32_e32 v44, vcc, s10, v44
	v_addc_co_u32_e32 v45, vcc, v52, v45, vcc
	global_load_dwordx2 v[46:47], v[46:47], off
	s_nop 0
	global_load_dwordx2 v[44:45], v[44:45], off
	s_waitcnt vmcnt(0)
	v_add_f64 v[44:45], v[46:47], -v[44:45]
	;; [unrolled: 12-line block ×3, first 2 shown]
	v_add_f64 v[46:47], v[42:43], -v[44:45]
	v_lshlrev_b64 v[44:45], 3, v[2:3]
	v_add_u32_e32 v2, s13, v2
	v_add_co_u32_e32 v42, vcc, s8, v44
	v_addc_co_u32_e32 v43, vcc, v51, v45, vcc
	v_add_co_u32_e32 v44, vcc, s10, v44
	v_addc_co_u32_e32 v45, vcc, v52, v45, vcc
	global_load_dwordx2 v[48:49], v[42:43], off
	global_load_dwordx2 v[53:54], v[44:45], off
	s_waitcnt vmcnt(0)
	v_add_f64 v[48:49], v[48:49], -v[53:54]
	v_add_f64 v[46:47], v[46:47], v[48:49]
	v_lshlrev_b64 v[48:49], 3, v[2:3]
	v_add_u32_e32 v2, s5, v2
	v_add_co_u32_e32 v53, vcc, s8, v48
	v_addc_co_u32_e32 v54, vcc, v51, v49, vcc
	v_add_co_u32_e32 v48, vcc, s10, v48
	v_addc_co_u32_e32 v49, vcc, v52, v49, vcc
	global_load_dwordx2 v[53:54], v[53:54], off
	s_nop 0
	global_load_dwordx2 v[48:49], v[48:49], off
	s_waitcnt vmcnt(0)
	v_add_f64 v[48:49], v[53:54], -v[48:49]
	v_add_f64 v[46:47], v[46:47], -v[48:49]
	v_lshlrev_b64 v[48:49], 3, v[2:3]
	v_add_u32_e32 v2, s6, v2
	v_add_co_u32_e32 v53, vcc, s8, v48
	v_addc_co_u32_e32 v54, vcc, v51, v49, vcc
	v_add_co_u32_e32 v48, vcc, s10, v48
	v_addc_co_u32_e32 v49, vcc, v52, v49, vcc
	global_load_dwordx2 v[53:54], v[53:54], off
	s_nop 0
	global_load_dwordx2 v[48:49], v[48:49], off
	s_waitcnt vmcnt(0)
	v_add_f64 v[48:49], v[53:54], -v[48:49]
	v_add_f64 v[46:47], v[46:47], -v[48:49]
	;; [unrolled: 12-line block ×10, first 2 shown]
	v_lshlrev_b64 v[48:49], 3, v[2:3]
	v_add_u32_e32 v2, s21, v2
	v_add_co_u32_e32 v46, vcc, s8, v48
	v_addc_co_u32_e32 v47, vcc, v51, v49, vcc
	v_add_co_u32_e32 v48, vcc, s10, v48
	v_addc_co_u32_e32 v49, vcc, v52, v49, vcc
	global_load_dwordx2 v[55:56], v[46:47], off
	global_load_dwordx2 v[57:58], v[48:49], off
	s_waitcnt vmcnt(0)
	v_add_f64 v[55:56], v[55:56], -v[57:58]
	v_add_f64 v[53:54], v[53:54], v[55:56]
	v_lshlrev_b64 v[55:56], 3, v[2:3]
	v_add_u32_e32 v2, s0, v2
	v_add_co_u32_e32 v57, vcc, s8, v55
	v_addc_co_u32_e32 v58, vcc, v51, v56, vcc
	v_add_co_u32_e32 v55, vcc, s10, v55
	v_addc_co_u32_e32 v56, vcc, v52, v56, vcc
	global_load_dwordx2 v[57:58], v[57:58], off
	s_load_dwordx4 s[0:3], s[16:17], 0x10
	global_load_dwordx2 v[55:56], v[55:56], off
	s_waitcnt vmcnt(0)
	v_add_f64 v[55:56], v[57:58], -v[55:56]
	v_add_f64 v[53:54], v[53:54], -v[55:56]
	v_lshlrev_b64 v[55:56], 3, v[2:3]
	v_add_u32_e32 v2, s4, v2
	v_add_co_u32_e32 v57, vcc, s8, v55
	v_addc_co_u32_e32 v58, vcc, v51, v56, vcc
	v_add_co_u32_e32 v55, vcc, s10, v55
	v_addc_co_u32_e32 v56, vcc, v52, v56, vcc
	global_load_dwordx2 v[57:58], v[57:58], off
	s_nop 0
	global_load_dwordx2 v[55:56], v[55:56], off
	s_waitcnt vmcnt(0)
	v_add_f64 v[55:56], v[57:58], -v[55:56]
	v_add_f64 v[53:54], v[53:54], -v[55:56]
	v_lshlrev_b64 v[55:56], 3, v[2:3]
	v_add_u32_e32 v2, s4, v2
	v_add_co_u32_e32 v57, vcc, s8, v55
	v_addc_co_u32_e32 v58, vcc, v51, v56, vcc
	v_add_co_u32_e32 v55, vcc, s10, v55
	v_addc_co_u32_e32 v56, vcc, v52, v56, vcc
	global_load_dwordx2 v[57:58], v[57:58], off
	s_nop 0
	;; [unrolled: 12-line block ×9, first 2 shown]
	global_load_dwordx2 v[55:56], v[55:56], off
	s_waitcnt vmcnt(0)
	v_add_f64 v[55:56], v[57:58], -v[55:56]
	v_add_f64 v[53:54], v[53:54], -v[55:56]
	v_lshlrev_b64 v[55:56], 3, v[2:3]
	v_add_co_u32_e32 v57, vcc, s8, v55
	v_addc_co_u32_e32 v58, vcc, v51, v56, vcc
	v_add_co_u32_e32 v55, vcc, s10, v55
	v_addc_co_u32_e32 v56, vcc, v52, v56, vcc
	global_load_dwordx2 v[57:58], v[57:58], off
	v_add_co_u32_e32 v14, vcc, s12, v14
	global_load_dwordx2 v[55:56], v[55:56], off
	v_addc_co_u32_e32 v15, vcc, v50, v15, vcc
	s_waitcnt vmcnt(0)
	v_add_f64 v[55:56], v[57:58], -v[55:56]
	v_add_f64 v[53:54], v[53:54], -v[55:56]
	v_mul_f64 v[53:54], s[14:15], v[53:54]
	s_waitcnt lgkmcnt(0)
	v_mul_f64 v[53:54], s[0:1], v[53:54]
	s_mul_i32 s0, s4, 0xffffff4c
	v_add_u32_e32 v2, s0, v2
	global_store_dwordx2 v[14:15], v[53:54], off
	v_add_f64 v[14:15], v[30:31], -v[28:29]
	v_add_f64 v[10:11], v[14:15], -v[10:11]
	v_add_f64 v[10:11], v[16:17], v[10:11]
	v_lshlrev_b64 v[16:17], 3, v[2:3]
	v_add_co_u32_e32 v14, vcc, s8, v16
	v_addc_co_u32_e32 v15, vcc, v51, v17, vcc
	v_add_co_u32_e32 v16, vcc, s10, v16
	v_addc_co_u32_e32 v17, vcc, v52, v17, vcc
	global_load_dwordx2 v[28:29], v[14:15], off
	global_load_dwordx2 v[30:31], v[16:17], off
	v_add_f64 v[10:11], v[10:11], v[32:33]
	s_waitcnt vmcnt(0)
	v_add_f64 v[28:29], v[28:29], -v[30:31]
	v_add_f64 v[10:11], v[10:11], v[28:29]
	v_add_f64 v[10:11], v[12:13], v[10:11]
	global_load_dwordx2 v[12:13], v[34:35], off
	global_load_dwordx2 v[28:29], v[36:37], off
	s_waitcnt vmcnt(0)
	v_add_f64 v[12:13], v[12:13], -v[28:29]
	v_add_f64 v[10:11], v[10:11], -v[12:13]
	global_load_dwordx2 v[12:13], v[38:39], off
	global_load_dwordx2 v[28:29], v[40:41], off
	s_waitcnt vmcnt(0)
	v_add_f64 v[12:13], v[12:13], -v[28:29]
	v_add_f64 v[10:11], v[10:11], -v[12:13]
	v_mad_u64_u32 v[12:13], s[0:1], s4, 26, v[2:3]
	v_mov_b32_e32 v13, v3
	s_mul_i32 s0, s4, 13
	v_lshlrev_b64 v[28:29], 3, v[12:13]
	v_add_u32_e32 v2, s5, v12
	v_add_co_u32_e32 v30, vcc, s8, v28
	v_addc_co_u32_e32 v31, vcc, v51, v29, vcc
	v_add_co_u32_e32 v28, vcc, s10, v28
	v_addc_co_u32_e32 v29, vcc, v52, v29, vcc
	global_load_dwordx2 v[30:31], v[30:31], off
	v_lshlrev_b64 v[12:13], 3, v[2:3]
	global_load_dwordx2 v[28:29], v[28:29], off
	v_add_u32_e32 v2, s4, v2
	s_waitcnt vmcnt(0)
	v_add_f64 v[28:29], v[30:31], -v[28:29]
	v_add_f64 v[10:11], v[10:11], -v[28:29]
	v_add_co_u32_e32 v28, vcc, s8, v12
	v_addc_co_u32_e32 v29, vcc, v51, v13, vcc
	v_add_co_u32_e32 v12, vcc, s10, v12
	v_addc_co_u32_e32 v13, vcc, v52, v13, vcc
	global_load_dwordx2 v[28:29], v[28:29], off
	s_nop 0
	global_load_dwordx2 v[12:13], v[12:13], off
	s_waitcnt vmcnt(0)
	v_add_f64 v[12:13], v[28:29], -v[12:13]
	v_add_f64 v[10:11], v[10:11], -v[12:13]
	v_lshlrev_b64 v[12:13], 3, v[2:3]
	v_add_u32_e32 v2, s0, v2
	v_add_co_u32_e32 v28, vcc, s8, v12
	v_addc_co_u32_e32 v29, vcc, v51, v13, vcc
	v_add_co_u32_e32 v12, vcc, s10, v12
	v_addc_co_u32_e32 v13, vcc, v52, v13, vcc
	global_load_dwordx2 v[28:29], v[28:29], off
	s_nop 0
	global_load_dwordx2 v[12:13], v[12:13], off
	s_waitcnt vmcnt(0)
	v_add_f64 v[12:13], v[28:29], -v[12:13]
	v_add_f64 v[10:11], v[10:11], -v[12:13]
	v_lshlrev_b64 v[12:13], 3, v[2:3]
	v_add_u32_e32 v2, s4, v2
	v_add_co_u32_e32 v28, vcc, s8, v12
	v_addc_co_u32_e32 v29, vcc, v51, v13, vcc
	v_add_co_u32_e32 v12, vcc, s10, v12
	v_addc_co_u32_e32 v13, vcc, v52, v13, vcc
	global_load_dwordx2 v[28:29], v[28:29], off
	s_nop 0
	global_load_dwordx2 v[12:13], v[12:13], off
	s_waitcnt vmcnt(0)
	v_add_f64 v[12:13], v[28:29], -v[12:13]
	v_add_f64 v[28:29], v[10:11], -v[12:13]
	v_lshlrev_b64 v[12:13], 3, v[2:3]
	v_add_u32_e32 v2, s9, v2
	v_add_co_u32_e32 v10, vcc, s8, v12
	v_addc_co_u32_e32 v11, vcc, v51, v13, vcc
	v_add_co_u32_e32 v12, vcc, s10, v12
	v_addc_co_u32_e32 v13, vcc, v52, v13, vcc
	global_load_dwordx2 v[30:31], v[10:11], off
	global_load_dwordx2 v[32:33], v[12:13], off
	s_waitcnt vmcnt(0)
	v_add_f64 v[30:31], v[30:31], -v[32:33]
	v_add_f64 v[28:29], v[28:29], -v[30:31]
	v_lshlrev_b64 v[30:31], 3, v[2:3]
	v_add_u32_e32 v2, s19, v2
	v_add_co_u32_e32 v32, vcc, s8, v30
	v_addc_co_u32_e32 v33, vcc, v51, v31, vcc
	v_add_co_u32_e32 v30, vcc, s10, v30
	v_addc_co_u32_e32 v31, vcc, v52, v31, vcc
	global_load_dwordx2 v[32:33], v[32:33], off
	s_nop 0
	global_load_dwordx2 v[30:31], v[30:31], off
	s_waitcnt vmcnt(0)
	v_add_f64 v[30:31], v[32:33], -v[30:31]
	v_add_f64 v[28:29], v[28:29], -v[30:31]
	global_load_dwordx2 v[30:31], v[42:43], off
	global_load_dwordx2 v[32:33], v[44:45], off
	s_waitcnt vmcnt(0)
	v_add_f64 v[30:31], v[30:31], -v[32:33]
	v_add_f64 v[28:29], v[28:29], -v[30:31]
	v_lshlrev_b64 v[30:31], 3, v[2:3]
	v_add_u32_e32 v2, s4, v2
	v_add_co_u32_e32 v32, vcc, s8, v30
	v_addc_co_u32_e32 v33, vcc, v51, v31, vcc
	v_add_co_u32_e32 v30, vcc, s10, v30
	v_addc_co_u32_e32 v31, vcc, v52, v31, vcc
	global_load_dwordx2 v[32:33], v[32:33], off
	s_nop 0
	global_load_dwordx2 v[30:31], v[30:31], off
	s_waitcnt vmcnt(0)
	v_add_f64 v[30:31], v[32:33], -v[30:31]
	v_add_f64 v[28:29], v[28:29], -v[30:31]
	v_lshlrev_b64 v[30:31], 3, v[2:3]
	v_add_u32_e32 v2, s13, v2
	v_add_co_u32_e32 v32, vcc, s8, v30
	v_addc_co_u32_e32 v33, vcc, v51, v31, vcc
	v_add_co_u32_e32 v30, vcc, s10, v30
	v_addc_co_u32_e32 v31, vcc, v52, v31, vcc
	global_load_dwordx2 v[32:33], v[32:33], off
	s_nop 0
	global_load_dwordx2 v[30:31], v[30:31], off
	s_waitcnt vmcnt(0)
	v_add_f64 v[30:31], v[32:33], -v[30:31]
	v_add_f64 v[28:29], v[28:29], v[30:31]
	v_lshlrev_b64 v[30:31], 3, v[2:3]
	v_add_u32_e32 v2, s9, v2
	v_add_co_u32_e32 v32, vcc, s8, v30
	v_addc_co_u32_e32 v33, vcc, v51, v31, vcc
	v_add_co_u32_e32 v30, vcc, s10, v30
	v_addc_co_u32_e32 v31, vcc, v52, v31, vcc
	global_load_dwordx2 v[32:33], v[32:33], off
	s_nop 0
	global_load_dwordx2 v[30:31], v[30:31], off
	s_waitcnt vmcnt(0)
	v_add_f64 v[30:31], v[32:33], -v[30:31]
	v_add_f64 v[28:29], v[28:29], -v[30:31]
	v_lshlrev_b64 v[30:31], 3, v[2:3]
	v_add_u32_e32 v2, s7, v2
	v_add_co_u32_e32 v32, vcc, s8, v30
	v_addc_co_u32_e32 v33, vcc, v51, v31, vcc
	v_add_co_u32_e32 v30, vcc, s10, v30
	v_addc_co_u32_e32 v31, vcc, v52, v31, vcc
	global_load_dwordx2 v[32:33], v[32:33], off
	s_nop 0
	global_load_dwordx2 v[30:31], v[30:31], off
	s_waitcnt vmcnt(0)
	v_add_f64 v[30:31], v[32:33], -v[30:31]
	v_add_f64 v[28:29], v[28:29], -v[30:31]
	;; [unrolled: 12-line block ×4, first 2 shown]
	global_load_dwordx2 v[30:31], v[46:47], off
	global_load_dwordx2 v[32:33], v[48:49], off
	s_waitcnt vmcnt(0)
	v_add_f64 v[30:31], v[30:31], -v[32:33]
	v_add_f64 v[28:29], v[28:29], -v[30:31]
	v_lshlrev_b64 v[30:31], 3, v[2:3]
	v_add_u32_e32 v2, s0, v2
	v_add_co_u32_e32 v32, vcc, s8, v30
	v_addc_co_u32_e32 v33, vcc, v51, v31, vcc
	v_add_co_u32_e32 v30, vcc, s10, v30
	v_addc_co_u32_e32 v31, vcc, v52, v31, vcc
	global_load_dwordx2 v[32:33], v[32:33], off
	s_mul_i32 s0, s4, 0xffffff3e
	global_load_dwordx2 v[30:31], v[30:31], off
	s_waitcnt vmcnt(0)
	v_add_f64 v[30:31], v[32:33], -v[30:31]
	v_add_f64 v[28:29], v[28:29], -v[30:31]
	v_lshlrev_b64 v[30:31], 3, v[2:3]
	v_add_u32_e32 v2, s4, v2
	v_add_co_u32_e32 v32, vcc, s8, v30
	v_addc_co_u32_e32 v33, vcc, v51, v31, vcc
	v_add_co_u32_e32 v30, vcc, s10, v30
	v_addc_co_u32_e32 v31, vcc, v52, v31, vcc
	global_load_dwordx2 v[32:33], v[32:33], off
	s_nop 0
	global_load_dwordx2 v[30:31], v[30:31], off
	s_waitcnt vmcnt(0)
	v_add_f64 v[30:31], v[32:33], -v[30:31]
	v_add_f64 v[28:29], v[28:29], -v[30:31]
	v_lshlrev_b64 v[30:31], 3, v[2:3]
	v_add_u32_e32 v2, s19, v2
	v_add_co_u32_e32 v32, vcc, s8, v30
	v_addc_co_u32_e32 v33, vcc, v51, v31, vcc
	v_add_co_u32_e32 v30, vcc, s10, v30
	v_addc_co_u32_e32 v31, vcc, v52, v31, vcc
	global_load_dwordx2 v[32:33], v[32:33], off
	s_nop 0
	;; [unrolled: 12-line block ×5, first 2 shown]
	global_load_dwordx2 v[30:31], v[30:31], off
	s_waitcnt vmcnt(0)
	v_add_f64 v[30:31], v[32:33], -v[30:31]
	v_add_f64 v[28:29], v[28:29], v[30:31]
	v_lshlrev_b64 v[30:31], 3, v[2:3]
	v_add_u32_e32 v2, s20, v2
	v_add_co_u32_e32 v32, vcc, s8, v30
	v_addc_co_u32_e32 v33, vcc, v51, v31, vcc
	v_add_co_u32_e32 v30, vcc, s10, v30
	v_addc_co_u32_e32 v31, vcc, v52, v31, vcc
	global_load_dwordx2 v[32:33], v[32:33], off
	s_nop 0
	global_load_dwordx2 v[30:31], v[30:31], off
	s_waitcnt vmcnt(0)
	v_add_f64 v[30:31], v[32:33], -v[30:31]
	v_add_f64 v[28:29], v[28:29], v[30:31]
	v_lshlrev_b64 v[30:31], 3, v[2:3]
	v_add_u32_e32 v2, s0, v2
	v_add_co_u32_e32 v32, vcc, s8, v30
	v_addc_co_u32_e32 v33, vcc, v51, v31, vcc
	v_add_co_u32_e32 v30, vcc, s10, v30
	v_addc_co_u32_e32 v31, vcc, v52, v31, vcc
	global_load_dwordx2 v[32:33], v[32:33], off
	v_add_co_u32_e32 v26, vcc, s12, v26
	global_load_dwordx2 v[30:31], v[30:31], off
	v_addc_co_u32_e32 v27, vcc, v50, v27, vcc
	s_waitcnt vmcnt(0)
	v_add_f64 v[30:31], v[32:33], -v[30:31]
	v_add_f64 v[28:29], v[28:29], -v[30:31]
	v_mul_f64 v[28:29], s[14:15], v[28:29]
	v_mul_f64 v[28:29], s[2:3], v[28:29]
	global_store_dwordx2 v[26:27], v[28:29], off
	global_load_dwordx2 v[18:19], v[18:19], off
	s_nop 0
	global_load_dwordx2 v[20:21], v[20:21], off
	s_waitcnt vmcnt(0)
	v_add_f64 v[18:19], v[18:19], -v[20:21]
	global_load_dwordx2 v[20:21], v[22:23], off
	global_load_dwordx2 v[26:27], v[24:25], off
	s_waitcnt vmcnt(0)
	v_add_f64 v[20:21], v[20:21], -v[26:27]
	v_add_f64 v[18:19], v[18:19], v[20:21]
	v_lshlrev_b64 v[20:21], 3, v[2:3]
	v_add_u32_e32 v2, s20, v2
	v_add_co_u32_e32 v22, vcc, s8, v20
	v_addc_co_u32_e32 v23, vcc, v51, v21, vcc
	v_add_co_u32_e32 v20, vcc, s10, v20
	v_addc_co_u32_e32 v21, vcc, v52, v21, vcc
	global_load_dwordx2 v[22:23], v[22:23], off
	s_nop 0
	global_load_dwordx2 v[20:21], v[20:21], off
	s_waitcnt vmcnt(0)
	v_add_f64 v[20:21], v[22:23], -v[20:21]
	v_add_f64 v[18:19], v[18:19], v[20:21]
	global_load_dwordx2 v[20:21], v[6:7], off
	global_load_dwordx2 v[22:23], v[8:9], off
	s_waitcnt vmcnt(0)
	v_add_f64 v[6:7], v[20:21], -v[22:23]
	v_add_f64 v[6:7], v[18:19], v[6:7]
	global_load_dwordx2 v[8:9], v[14:15], off
	global_load_dwordx2 v[18:19], v[16:17], off
	s_waitcnt vmcnt(0)
	v_add_f64 v[8:9], v[8:9], -v[18:19]
	v_add_f64 v[6:7], v[6:7], v[8:9]
	v_lshlrev_b64 v[8:9], 3, v[2:3]
	v_add_u32_e32 v2, s21, v2
	v_add_co_u32_e32 v14, vcc, s8, v8
	v_addc_co_u32_e32 v15, vcc, v51, v9, vcc
	v_add_co_u32_e32 v8, vcc, s10, v8
	v_addc_co_u32_e32 v9, vcc, v52, v9, vcc
	global_load_dwordx2 v[14:15], v[14:15], off
	s_nop 0
	global_load_dwordx2 v[8:9], v[8:9], off
	s_waitcnt vmcnt(0)
	v_add_f64 v[8:9], v[14:15], -v[8:9]
	v_add_f64 v[6:7], v[6:7], v[8:9]
	v_add_f64 v[4:5], v[4:5], v[6:7]
	v_lshlrev_b64 v[6:7], 3, v[2:3]
	v_add_u32_e32 v2, s19, v2
	v_add_co_u32_e32 v8, vcc, s8, v6
	v_addc_co_u32_e32 v9, vcc, v51, v7, vcc
	v_add_co_u32_e32 v6, vcc, s10, v6
	v_addc_co_u32_e32 v7, vcc, v52, v7, vcc
	global_load_dwordx2 v[8:9], v[8:9], off
	s_nop 0
	global_load_dwordx2 v[6:7], v[6:7], off
	s_waitcnt vmcnt(0)
	v_add_f64 v[6:7], v[8:9], -v[6:7]
	v_add_f64 v[4:5], v[4:5], -v[6:7]
	v_lshlrev_b64 v[6:7], 3, v[2:3]
	v_add_u32_e32 v2, s9, v2
	v_add_co_u32_e32 v8, vcc, s8, v6
	v_addc_co_u32_e32 v9, vcc, v51, v7, vcc
	v_add_co_u32_e32 v6, vcc, s10, v6
	v_addc_co_u32_e32 v7, vcc, v52, v7, vcc
	global_load_dwordx2 v[8:9], v[8:9], off
	s_nop 0
	global_load_dwordx2 v[6:7], v[6:7], off
	s_waitcnt vmcnt(0)
	v_add_f64 v[6:7], v[8:9], -v[6:7]
	v_add_f64 v[4:5], v[4:5], v[6:7]
	v_lshlrev_b64 v[6:7], 3, v[2:3]
	v_add_co_u32_e32 v8, vcc, s8, v6
	v_addc_co_u32_e32 v9, vcc, v51, v7, vcc
	v_add_co_u32_e32 v6, vcc, s10, v6
	v_addc_co_u32_e32 v7, vcc, v52, v7, vcc
	global_load_dwordx2 v[8:9], v[8:9], off
	s_nop 0
	global_load_dwordx2 v[6:7], v[6:7], off
	s_waitcnt vmcnt(0)
	v_add_f64 v[6:7], v[8:9], -v[6:7]
	v_add_f64 v[4:5], v[4:5], v[6:7]
	global_load_dwordx2 v[6:7], v[10:11], off
	global_load_dwordx2 v[8:9], v[12:13], off
	s_waitcnt vmcnt(0)
	v_add_f64 v[6:7], v[6:7], -v[8:9]
	v_add_f64 v[4:5], v[4:5], v[6:7]
	v_mad_u64_u32 v[6:7], s[0:1], s4, 20, v[2:3]
	v_mov_b32_e32 v7, v3
	v_lshlrev_b64 v[7:8], 3, v[6:7]
	v_add_u32_e32 v2, s6, v6
	v_add_co_u32_e32 v9, vcc, s8, v7
	v_addc_co_u32_e32 v10, vcc, v51, v8, vcc
	v_add_co_u32_e32 v7, vcc, s10, v7
	v_addc_co_u32_e32 v8, vcc, v52, v8, vcc
	global_load_dwordx2 v[9:10], v[9:10], off
	s_nop 0
	global_load_dwordx2 v[7:8], v[7:8], off
	s_waitcnt vmcnt(0)
	v_add_f64 v[7:8], v[9:10], -v[7:8]
	v_add_f64 v[4:5], v[4:5], v[7:8]
	v_lshlrev_b64 v[6:7], 3, v[2:3]
	v_add_u32_e32 v2, s4, v2
	v_add_co_u32_e32 v8, vcc, s8, v6
	v_addc_co_u32_e32 v9, vcc, v51, v7, vcc
	v_add_co_u32_e32 v6, vcc, s10, v6
	v_addc_co_u32_e32 v7, vcc, v52, v7, vcc
	global_load_dwordx2 v[8:9], v[8:9], off
	s_nop 0
	global_load_dwordx2 v[6:7], v[6:7], off
	s_waitcnt vmcnt(0)
	v_add_f64 v[6:7], v[8:9], -v[6:7]
	v_add_f64 v[4:5], v[4:5], v[6:7]
	;; [unrolled: 12-line block ×5, first 2 shown]
	v_lshlrev_b64 v[6:7], 3, v[2:3]
	v_add_co_u32_e32 v8, vcc, s8, v6
	v_addc_co_u32_e32 v9, vcc, v51, v7, vcc
	v_add_co_u32_e32 v6, vcc, s10, v6
	v_addc_co_u32_e32 v7, vcc, v52, v7, vcc
	global_load_dwordx2 v[8:9], v[8:9], off
	s_nop 0
	global_load_dwordx2 v[6:7], v[6:7], off
	s_waitcnt vmcnt(0)
	v_add_f64 v[6:7], v[8:9], -v[6:7]
	v_add_f64 v[4:5], v[4:5], v[6:7]
	v_mad_u64_u32 v[6:7], s[0:1], s4, 27, v[2:3]
	v_mov_b32_e32 v7, v3
	v_lshlrev_b64 v[7:8], 3, v[6:7]
	v_add_u32_e32 v2, s6, v6
	v_add_co_u32_e32 v9, vcc, s8, v7
	v_addc_co_u32_e32 v10, vcc, v51, v8, vcc
	v_add_co_u32_e32 v7, vcc, s10, v7
	v_addc_co_u32_e32 v8, vcc, v52, v8, vcc
	global_load_dwordx2 v[9:10], v[9:10], off
	s_nop 0
	global_load_dwordx2 v[7:8], v[7:8], off
	s_waitcnt vmcnt(0)
	v_add_f64 v[7:8], v[9:10], -v[7:8]
	v_add_f64 v[4:5], v[4:5], v[7:8]
	v_lshlrev_b64 v[6:7], 3, v[2:3]
	v_add_u32_e32 v2, s7, v2
	v_add_co_u32_e32 v8, vcc, s8, v6
	v_addc_co_u32_e32 v9, vcc, v51, v7, vcc
	v_add_co_u32_e32 v6, vcc, s10, v6
	v_addc_co_u32_e32 v7, vcc, v52, v7, vcc
	global_load_dwordx2 v[8:9], v[8:9], off
	s_nop 0
	global_load_dwordx2 v[6:7], v[6:7], off
	s_waitcnt vmcnt(0)
	v_add_f64 v[6:7], v[8:9], -v[6:7]
	v_add_f64 v[4:5], v[4:5], v[6:7]
	v_lshlrev_b64 v[6:7], 3, v[2:3]
	v_add_u32_e32 v2, s9, v2
	v_add_co_u32_e32 v8, vcc, s8, v6
	v_addc_co_u32_e32 v9, vcc, v51, v7, vcc
	v_add_co_u32_e32 v6, vcc, s10, v6
	v_addc_co_u32_e32 v7, vcc, v52, v7, vcc
	global_load_dwordx2 v[8:9], v[8:9], off
	s_nop 0
	global_load_dwordx2 v[6:7], v[6:7], off
	s_waitcnt vmcnt(0)
	v_add_f64 v[6:7], v[8:9], -v[6:7]
	v_add_f64 v[4:5], v[4:5], v[6:7]
	v_lshlrev_b64 v[6:7], 3, v[2:3]
	v_add_co_u32_e32 v8, vcc, s8, v6
	v_addc_co_u32_e32 v9, vcc, v51, v7, vcc
	v_add_co_u32_e32 v6, vcc, s10, v6
	v_addc_co_u32_e32 v7, vcc, v52, v7, vcc
	global_load_dwordx2 v[8:9], v[8:9], off
	s_nop 0
	global_load_dwordx2 v[6:7], v[6:7], off
	s_waitcnt vmcnt(0)
	v_add_f64 v[6:7], v[8:9], -v[6:7]
	v_add_f64 v[4:5], v[4:5], v[6:7]
	v_mad_u64_u32 v[6:7], s[0:1], s4, 21, v[2:3]
	v_mov_b32_e32 v7, v3
	s_load_dwordx2 s[0:1], s[16:17], 0x28
	v_lshlrev_b64 v[7:8], 3, v[6:7]
	v_add_u32_e32 v2, s11, v6
	v_add_co_u32_e32 v9, vcc, s8, v7
	v_addc_co_u32_e32 v10, vcc, v51, v8, vcc
	v_add_co_u32_e32 v7, vcc, s10, v7
	v_addc_co_u32_e32 v8, vcc, v52, v8, vcc
	global_load_dwordx2 v[9:10], v[9:10], off
	s_nop 0
	global_load_dwordx2 v[7:8], v[7:8], off
	s_waitcnt vmcnt(0)
	v_add_f64 v[7:8], v[9:10], -v[7:8]
	v_add_f64 v[4:5], v[4:5], v[7:8]
	v_lshlrev_b64 v[6:7], 3, v[2:3]
	v_add_u32_e32 v2, s6, v2
	v_add_co_u32_e32 v8, vcc, s8, v6
	v_addc_co_u32_e32 v9, vcc, v51, v7, vcc
	v_add_co_u32_e32 v6, vcc, s10, v6
	v_addc_co_u32_e32 v7, vcc, v52, v7, vcc
	global_load_dwordx2 v[8:9], v[8:9], off
	s_nop 0
	global_load_dwordx2 v[6:7], v[6:7], off
	s_waitcnt vmcnt(0)
	v_add_f64 v[6:7], v[8:9], -v[6:7]
	v_add_f64 v[4:5], v[4:5], v[6:7]
	v_lshlrev_b64 v[6:7], 3, v[2:3]
	v_add_co_u32_e32 v2, vcc, s8, v6
	v_addc_co_u32_e32 v3, vcc, v51, v7, vcc
	v_add_co_u32_e32 v6, vcc, s10, v6
	v_addc_co_u32_e32 v7, vcc, v52, v7, vcc
	global_load_dwordx2 v[2:3], v[2:3], off
	v_add_co_u32_e32 v0, vcc, s12, v0
	global_load_dwordx2 v[6:7], v[6:7], off
	v_addc_co_u32_e32 v1, vcc, v50, v1, vcc
	s_waitcnt vmcnt(0)
	v_add_f64 v[2:3], v[2:3], -v[6:7]
	v_add_f64 v[2:3], v[4:5], v[2:3]
	v_mul_f64 v[2:3], s[14:15], v[2:3]
	s_waitcnt lgkmcnt(0)
	v_mul_f64 v[2:3], s[0:1], v[2:3]
	global_store_dwordx2 v[0:1], v[2:3], off
	s_endpgm
	.section	.rodata,"a",@progbits
	.p2align	6, 0x0
	.amdhsa_kernel _Z15rdwdot10_kernelIdEvPKT_S2_PS0_S0_S2_
		.amdhsa_group_segment_fixed_size 0
		.amdhsa_private_segment_fixed_size 0
		.amdhsa_kernarg_size 296
		.amdhsa_user_sgpr_count 6
		.amdhsa_user_sgpr_private_segment_buffer 1
		.amdhsa_user_sgpr_dispatch_ptr 0
		.amdhsa_user_sgpr_queue_ptr 0
		.amdhsa_user_sgpr_kernarg_segment_ptr 1
		.amdhsa_user_sgpr_dispatch_id 0
		.amdhsa_user_sgpr_flat_scratch_init 0
		.amdhsa_user_sgpr_private_segment_size 0
		.amdhsa_uses_dynamic_stack 0
		.amdhsa_system_sgpr_private_segment_wavefront_offset 0
		.amdhsa_system_sgpr_workgroup_id_x 1
		.amdhsa_system_sgpr_workgroup_id_y 0
		.amdhsa_system_sgpr_workgroup_id_z 0
		.amdhsa_system_sgpr_workgroup_info 0
		.amdhsa_system_vgpr_workitem_id 0
		.amdhsa_next_free_vgpr 59
		.amdhsa_next_free_sgpr 24
		.amdhsa_reserve_vcc 1
		.amdhsa_reserve_flat_scratch 0
		.amdhsa_float_round_mode_32 0
		.amdhsa_float_round_mode_16_64 0
		.amdhsa_float_denorm_mode_32 3
		.amdhsa_float_denorm_mode_16_64 3
		.amdhsa_dx10_clamp 1
		.amdhsa_ieee_mode 1
		.amdhsa_fp16_overflow 0
		.amdhsa_exception_fp_ieee_invalid_op 0
		.amdhsa_exception_fp_denorm_src 0
		.amdhsa_exception_fp_ieee_div_zero 0
		.amdhsa_exception_fp_ieee_overflow 0
		.amdhsa_exception_fp_ieee_underflow 0
		.amdhsa_exception_fp_ieee_inexact 0
		.amdhsa_exception_int_div_zero 0
	.end_amdhsa_kernel
	.section	.text._Z15rdwdot10_kernelIdEvPKT_S2_PS0_S0_S2_,"axG",@progbits,_Z15rdwdot10_kernelIdEvPKT_S2_PS0_S0_S2_,comdat
.Lfunc_end53:
	.size	_Z15rdwdot10_kernelIdEvPKT_S2_PS0_S0_S2_, .Lfunc_end53-_Z15rdwdot10_kernelIdEvPKT_S2_PS0_S0_S2_
                                        ; -- End function
	.set _Z15rdwdot10_kernelIdEvPKT_S2_PS0_S0_S2_.num_vgpr, 59
	.set _Z15rdwdot10_kernelIdEvPKT_S2_PS0_S0_S2_.num_agpr, 0
	.set _Z15rdwdot10_kernelIdEvPKT_S2_PS0_S0_S2_.numbered_sgpr, 24
	.set _Z15rdwdot10_kernelIdEvPKT_S2_PS0_S0_S2_.num_named_barrier, 0
	.set _Z15rdwdot10_kernelIdEvPKT_S2_PS0_S0_S2_.private_seg_size, 0
	.set _Z15rdwdot10_kernelIdEvPKT_S2_PS0_S0_S2_.uses_vcc, 1
	.set _Z15rdwdot10_kernelIdEvPKT_S2_PS0_S0_S2_.uses_flat_scratch, 0
	.set _Z15rdwdot10_kernelIdEvPKT_S2_PS0_S0_S2_.has_dyn_sized_stack, 0
	.set _Z15rdwdot10_kernelIdEvPKT_S2_PS0_S0_S2_.has_recursion, 0
	.set _Z15rdwdot10_kernelIdEvPKT_S2_PS0_S0_S2_.has_indirect_call, 0
	.section	.AMDGPU.csdata,"",@progbits
; Kernel info:
; codeLenInByte = 8532
; TotalNumSgprs: 28
; NumVgprs: 59
; ScratchSize: 0
; MemoryBound: 0
; FloatMode: 240
; IeeeMode: 1
; LDSByteSize: 0 bytes/workgroup (compile time only)
; SGPRBlocks: 3
; VGPRBlocks: 14
; NumSGPRsForWavesPerEU: 28
; NumVGPRsForWavesPerEU: 59
; Occupancy: 4
; WaveLimiterHint : 0
; COMPUTE_PGM_RSRC2:SCRATCH_EN: 0
; COMPUTE_PGM_RSRC2:USER_SGPR: 6
; COMPUTE_PGM_RSRC2:TRAP_HANDLER: 0
; COMPUTE_PGM_RSRC2:TGID_X_EN: 1
; COMPUTE_PGM_RSRC2:TGID_Y_EN: 0
; COMPUTE_PGM_RSRC2:TGID_Z_EN: 0
; COMPUTE_PGM_RSRC2:TIDIG_COMP_CNT: 0
	.section	.AMDGPU.gpr_maximums,"",@progbits
	.set amdgpu.max_num_vgpr, 0
	.set amdgpu.max_num_agpr, 0
	.set amdgpu.max_num_sgpr, 0
	.section	.AMDGPU.csdata,"",@progbits
	.type	__hip_cuid_94df351127c2a9b1,@object ; @__hip_cuid_94df351127c2a9b1
	.section	.bss,"aw",@nobits
	.globl	__hip_cuid_94df351127c2a9b1
__hip_cuid_94df351127c2a9b1:
	.byte	0                               ; 0x0
	.size	__hip_cuid_94df351127c2a9b1, 1

	.ident	"AMD clang version 22.0.0git (https://github.com/RadeonOpenCompute/llvm-project roc-7.2.4 26084 f58b06dce1f9c15707c5f808fd002e18c2accf7e)"
	.section	".note.GNU-stack","",@progbits
	.addrsig
	.addrsig_sym __hip_cuid_94df351127c2a9b1
	.amdgpu_metadata
---
amdhsa.kernels:
  - .args:
      - .actual_access:  read_only
        .address_space:  global
        .offset:         0
        .size:           8
        .value_kind:     global_buffer
      - .actual_access:  write_only
        .address_space:  global
        .offset:         8
        .size:           8
        .value_kind:     global_buffer
      - .offset:         16
        .size:           4
        .value_kind:     by_value
      - .offset:         24
        .size:           4
        .value_kind:     hidden_block_count_x
      - .offset:         28
        .size:           4
        .value_kind:     hidden_block_count_y
      - .offset:         32
        .size:           4
        .value_kind:     hidden_block_count_z
      - .offset:         36
        .size:           2
        .value_kind:     hidden_group_size_x
      - .offset:         38
        .size:           2
        .value_kind:     hidden_group_size_y
      - .offset:         40
        .size:           2
        .value_kind:     hidden_group_size_z
      - .offset:         42
        .size:           2
        .value_kind:     hidden_remainder_x
      - .offset:         44
        .size:           2
        .value_kind:     hidden_remainder_y
      - .offset:         46
        .size:           2
        .value_kind:     hidden_remainder_z
      - .offset:         64
        .size:           8
        .value_kind:     hidden_global_offset_x
      - .offset:         72
        .size:           8
        .value_kind:     hidden_global_offset_y
      - .offset:         80
        .size:           8
        .value_kind:     hidden_global_offset_z
      - .offset:         88
        .size:           2
        .value_kind:     hidden_grid_dims
    .group_segment_fixed_size: 0
    .kernarg_segment_align: 8
    .kernarg_segment_size: 280
    .language:       OpenCL C
    .language_version:
      - 2
      - 0
    .max_flat_workgroup_size: 1024
    .name:           _Z11ratt_kernelIfEvPKT_PS0_S0_
    .private_segment_fixed_size: 0
    .sgpr_count:     16
    .sgpr_spill_count: 0
    .symbol:         _Z11ratt_kernelIfEvPKT_PS0_S0_.kd
    .uniform_work_group_size: 1
    .uses_dynamic_stack: false
    .vgpr_count:     22
    .vgpr_spill_count: 0
    .wavefront_size: 64
  - .args:
      - .actual_access:  read_only
        .address_space:  global
        .offset:         0
        .size:           8
        .value_kind:     global_buffer
      - .actual_access:  write_only
        .address_space:  global
        .offset:         8
        .size:           8
        .value_kind:     global_buffer
      - .offset:         16
        .size:           4
        .value_kind:     by_value
      - .offset:         24
        .size:           4
        .value_kind:     hidden_block_count_x
      - .offset:         28
        .size:           4
        .value_kind:     hidden_block_count_y
      - .offset:         32
        .size:           4
        .value_kind:     hidden_block_count_z
      - .offset:         36
        .size:           2
        .value_kind:     hidden_group_size_x
      - .offset:         38
        .size:           2
        .value_kind:     hidden_group_size_y
      - .offset:         40
        .size:           2
        .value_kind:     hidden_group_size_z
      - .offset:         42
        .size:           2
        .value_kind:     hidden_remainder_x
      - .offset:         44
        .size:           2
        .value_kind:     hidden_remainder_y
      - .offset:         46
        .size:           2
        .value_kind:     hidden_remainder_z
      - .offset:         64
        .size:           8
        .value_kind:     hidden_global_offset_x
      - .offset:         72
        .size:           8
        .value_kind:     hidden_global_offset_y
      - .offset:         80
        .size:           8
        .value_kind:     hidden_global_offset_z
      - .offset:         88
        .size:           2
        .value_kind:     hidden_grid_dims
    .group_segment_fixed_size: 0
    .kernarg_segment_align: 8
    .kernarg_segment_size: 280
    .language:       OpenCL C
    .language_version:
      - 2
      - 0
    .max_flat_workgroup_size: 1024
    .name:           _Z12rdsmh_kernelIfEvPKT_PS0_S0_
    .private_segment_fixed_size: 0
    .sgpr_count:     14
    .sgpr_spill_count: 0
    .symbol:         _Z12rdsmh_kernelIfEvPKT_PS0_S0_.kd
    .uniform_work_group_size: 1
    .uses_dynamic_stack: false
    .vgpr_count:     15
    .vgpr_spill_count: 0
    .wavefront_size: 64
  - .args:
      - .address_space:  global
        .offset:         0
        .size:           8
        .value_kind:     global_buffer
      - .address_space:  global
        .offset:         8
        .size:           8
        .value_kind:     global_buffer
      - .address_space:  global
        .offset:         16
        .size:           8
        .value_kind:     global_buffer
      - .address_space:  global
        .offset:         24
        .size:           8
        .value_kind:     global_buffer
      - .offset:         32
        .size:           4
        .value_kind:     by_value
      - .offset:         36
        .size:           4
        .value_kind:     by_value
      - .offset:         40
        .size:           4
        .value_kind:     hidden_block_count_x
      - .offset:         44
        .size:           4
        .value_kind:     hidden_block_count_y
      - .offset:         48
        .size:           4
        .value_kind:     hidden_block_count_z
      - .offset:         52
        .size:           2
        .value_kind:     hidden_group_size_x
      - .offset:         54
        .size:           2
        .value_kind:     hidden_group_size_y
      - .offset:         56
        .size:           2
        .value_kind:     hidden_group_size_z
      - .offset:         58
        .size:           2
        .value_kind:     hidden_remainder_x
      - .offset:         60
        .size:           2
        .value_kind:     hidden_remainder_y
      - .offset:         62
        .size:           2
        .value_kind:     hidden_remainder_z
      - .offset:         80
        .size:           8
        .value_kind:     hidden_global_offset_x
      - .offset:         88
        .size:           8
        .value_kind:     hidden_global_offset_y
      - .offset:         96
        .size:           8
        .value_kind:     hidden_global_offset_z
      - .offset:         104
        .size:           2
        .value_kind:     hidden_grid_dims
    .group_segment_fixed_size: 0
    .kernarg_segment_align: 8
    .kernarg_segment_size: 296
    .language:       OpenCL C
    .language_version:
      - 2
      - 0
    .max_flat_workgroup_size: 1024
    .name:           _Z7gr_baseIfEvPKT_S2_S2_PS0_S0_S0_
    .private_segment_fixed_size: 0
    .sgpr_count:     20
    .sgpr_spill_count: 0
    .symbol:         _Z7gr_baseIfEvPKT_S2_S2_PS0_S0_S0_.kd
    .uniform_work_group_size: 1
    .uses_dynamic_stack: false
    .vgpr_count:     45
    .vgpr_spill_count: 0
    .wavefront_size: 64
  - .args:
      - .actual_access:  read_only
        .address_space:  global
        .offset:         0
        .size:           8
        .value_kind:     global_buffer
      - .actual_access:  read_only
        .address_space:  global
        .offset:         8
        .size:           8
        .value_kind:     global_buffer
      - .actual_access:  write_only
        .address_space:  global
        .offset:         16
        .size:           8
        .value_kind:     global_buffer
      - .actual_access:  read_only
        .address_space:  global
        .offset:         24
        .size:           8
        .value_kind:     global_buffer
      - .offset:         32
        .size:           4
        .value_kind:     by_value
      - .offset:         40
        .size:           4
        .value_kind:     hidden_block_count_x
      - .offset:         44
        .size:           4
        .value_kind:     hidden_block_count_y
      - .offset:         48
        .size:           4
        .value_kind:     hidden_block_count_z
      - .offset:         52
        .size:           2
        .value_kind:     hidden_group_size_x
      - .offset:         54
        .size:           2
        .value_kind:     hidden_group_size_y
      - .offset:         56
        .size:           2
        .value_kind:     hidden_group_size_z
      - .offset:         58
        .size:           2
        .value_kind:     hidden_remainder_x
      - .offset:         60
        .size:           2
        .value_kind:     hidden_remainder_y
      - .offset:         62
        .size:           2
        .value_kind:     hidden_remainder_z
      - .offset:         80
        .size:           8
        .value_kind:     hidden_global_offset_x
      - .offset:         88
        .size:           8
        .value_kind:     hidden_global_offset_y
      - .offset:         96
        .size:           8
        .value_kind:     hidden_global_offset_z
      - .offset:         104
        .size:           2
        .value_kind:     hidden_grid_dims
    .group_segment_fixed_size: 0
    .kernarg_segment_align: 8
    .kernarg_segment_size: 296
    .language:       OpenCL C
    .language_version:
      - 2
      - 0
    .max_flat_workgroup_size: 1024
    .name:           _Z12ratt2_kernelIfEvPKT_S2_PS0_S2_S0_
    .private_segment_fixed_size: 0
    .sgpr_count:     20
    .sgpr_spill_count: 0
    .symbol:         _Z12ratt2_kernelIfEvPKT_S2_PS0_S2_S0_.kd
    .uniform_work_group_size: 1
    .uses_dynamic_stack: false
    .vgpr_count:     48
    .vgpr_spill_count: 0
    .wavefront_size: 64
  - .args:
      - .actual_access:  read_only
        .address_space:  global
        .offset:         0
        .size:           8
        .value_kind:     global_buffer
      - .actual_access:  read_only
        .address_space:  global
        .offset:         8
        .size:           8
        .value_kind:     global_buffer
      - .actual_access:  write_only
        .address_space:  global
        .offset:         16
        .size:           8
        .value_kind:     global_buffer
      - .actual_access:  read_only
        .address_space:  global
        .offset:         24
        .size:           8
        .value_kind:     global_buffer
      - .offset:         32
        .size:           4
        .value_kind:     by_value
      - .offset:         40
        .size:           4
        .value_kind:     hidden_block_count_x
      - .offset:         44
        .size:           4
        .value_kind:     hidden_block_count_y
      - .offset:         48
        .size:           4
        .value_kind:     hidden_block_count_z
      - .offset:         52
        .size:           2
        .value_kind:     hidden_group_size_x
      - .offset:         54
        .size:           2
        .value_kind:     hidden_group_size_y
      - .offset:         56
        .size:           2
        .value_kind:     hidden_group_size_z
      - .offset:         58
        .size:           2
        .value_kind:     hidden_remainder_x
      - .offset:         60
        .size:           2
        .value_kind:     hidden_remainder_y
      - .offset:         62
        .size:           2
        .value_kind:     hidden_remainder_z
      - .offset:         80
        .size:           8
        .value_kind:     hidden_global_offset_x
      - .offset:         88
        .size:           8
        .value_kind:     hidden_global_offset_y
      - .offset:         96
        .size:           8
        .value_kind:     hidden_global_offset_z
      - .offset:         104
        .size:           2
        .value_kind:     hidden_grid_dims
    .group_segment_fixed_size: 0
    .kernarg_segment_align: 8
    .kernarg_segment_size: 296
    .language:       OpenCL C
    .language_version:
      - 2
      - 0
    .max_flat_workgroup_size: 1024
    .name:           _Z12ratt3_kernelIfEvPKT_S2_PS0_S2_S0_
    .private_segment_fixed_size: 0
    .sgpr_count:     20
    .sgpr_spill_count: 0
    .symbol:         _Z12ratt3_kernelIfEvPKT_S2_PS0_S2_S0_.kd
    .uniform_work_group_size: 1
    .uses_dynamic_stack: false
    .vgpr_count:     48
    .vgpr_spill_count: 0
    .wavefront_size: 64
  - .args:
      - .actual_access:  read_only
        .address_space:  global
        .offset:         0
        .size:           8
        .value_kind:     global_buffer
      - .actual_access:  read_only
        .address_space:  global
        .offset:         8
        .size:           8
        .value_kind:     global_buffer
      - .actual_access:  write_only
        .address_space:  global
        .offset:         16
        .size:           8
        .value_kind:     global_buffer
      - .actual_access:  read_only
        .address_space:  global
        .offset:         24
        .size:           8
        .value_kind:     global_buffer
      - .offset:         32
        .size:           4
        .value_kind:     by_value
      - .offset:         40
        .size:           4
        .value_kind:     hidden_block_count_x
      - .offset:         44
        .size:           4
        .value_kind:     hidden_block_count_y
      - .offset:         48
        .size:           4
        .value_kind:     hidden_block_count_z
      - .offset:         52
        .size:           2
        .value_kind:     hidden_group_size_x
      - .offset:         54
        .size:           2
        .value_kind:     hidden_group_size_y
      - .offset:         56
        .size:           2
        .value_kind:     hidden_group_size_z
      - .offset:         58
        .size:           2
        .value_kind:     hidden_remainder_x
      - .offset:         60
        .size:           2
        .value_kind:     hidden_remainder_y
      - .offset:         62
        .size:           2
        .value_kind:     hidden_remainder_z
      - .offset:         80
        .size:           8
        .value_kind:     hidden_global_offset_x
      - .offset:         88
        .size:           8
        .value_kind:     hidden_global_offset_y
      - .offset:         96
        .size:           8
        .value_kind:     hidden_global_offset_z
      - .offset:         104
        .size:           2
        .value_kind:     hidden_grid_dims
    .group_segment_fixed_size: 0
    .kernarg_segment_align: 8
    .kernarg_segment_size: 296
    .language:       OpenCL C
    .language_version:
      - 2
      - 0
    .max_flat_workgroup_size: 1024
    .name:           _Z12ratt4_kernelIfEvPKT_S2_PS0_S2_S0_
    .private_segment_fixed_size: 0
    .sgpr_count:     20
    .sgpr_spill_count: 0
    .symbol:         _Z12ratt4_kernelIfEvPKT_S2_PS0_S2_S0_.kd
    .uniform_work_group_size: 1
    .uses_dynamic_stack: false
    .vgpr_count:     48
    .vgpr_spill_count: 0
    .wavefront_size: 64
  - .args:
      - .actual_access:  read_only
        .address_space:  global
        .offset:         0
        .size:           8
        .value_kind:     global_buffer
      - .actual_access:  read_only
        .address_space:  global
        .offset:         8
        .size:           8
        .value_kind:     global_buffer
      - .actual_access:  write_only
        .address_space:  global
        .offset:         16
        .size:           8
        .value_kind:     global_buffer
      - .actual_access:  read_only
        .address_space:  global
        .offset:         24
        .size:           8
        .value_kind:     global_buffer
      - .offset:         32
        .size:           4
        .value_kind:     by_value
      - .offset:         40
        .size:           4
        .value_kind:     hidden_block_count_x
      - .offset:         44
        .size:           4
        .value_kind:     hidden_block_count_y
      - .offset:         48
        .size:           4
        .value_kind:     hidden_block_count_z
      - .offset:         52
        .size:           2
        .value_kind:     hidden_group_size_x
      - .offset:         54
        .size:           2
        .value_kind:     hidden_group_size_y
      - .offset:         56
        .size:           2
        .value_kind:     hidden_group_size_z
      - .offset:         58
        .size:           2
        .value_kind:     hidden_remainder_x
      - .offset:         60
        .size:           2
        .value_kind:     hidden_remainder_y
      - .offset:         62
        .size:           2
        .value_kind:     hidden_remainder_z
      - .offset:         80
        .size:           8
        .value_kind:     hidden_global_offset_x
      - .offset:         88
        .size:           8
        .value_kind:     hidden_global_offset_y
      - .offset:         96
        .size:           8
        .value_kind:     hidden_global_offset_z
      - .offset:         104
        .size:           2
        .value_kind:     hidden_grid_dims
    .group_segment_fixed_size: 0
    .kernarg_segment_align: 8
    .kernarg_segment_size: 296
    .language:       OpenCL C
    .language_version:
      - 2
      - 0
    .max_flat_workgroup_size: 1024
    .name:           _Z12ratt5_kernelIfEvPKT_S2_PS0_S2_S0_
    .private_segment_fixed_size: 0
    .sgpr_count:     20
    .sgpr_spill_count: 0
    .symbol:         _Z12ratt5_kernelIfEvPKT_S2_PS0_S2_S0_.kd
    .uniform_work_group_size: 1
    .uses_dynamic_stack: false
    .vgpr_count:     45
    .vgpr_spill_count: 0
    .wavefront_size: 64
  - .args:
      - .actual_access:  read_only
        .address_space:  global
        .offset:         0
        .size:           8
        .value_kind:     global_buffer
      - .actual_access:  read_only
        .address_space:  global
        .offset:         8
        .size:           8
        .value_kind:     global_buffer
      - .actual_access:  write_only
        .address_space:  global
        .offset:         16
        .size:           8
        .value_kind:     global_buffer
      - .actual_access:  read_only
        .address_space:  global
        .offset:         24
        .size:           8
        .value_kind:     global_buffer
      - .offset:         32
        .size:           4
        .value_kind:     by_value
      - .offset:         40
        .size:           4
        .value_kind:     hidden_block_count_x
      - .offset:         44
        .size:           4
        .value_kind:     hidden_block_count_y
      - .offset:         48
        .size:           4
        .value_kind:     hidden_block_count_z
      - .offset:         52
        .size:           2
        .value_kind:     hidden_group_size_x
      - .offset:         54
        .size:           2
        .value_kind:     hidden_group_size_y
      - .offset:         56
        .size:           2
        .value_kind:     hidden_group_size_z
      - .offset:         58
        .size:           2
        .value_kind:     hidden_remainder_x
      - .offset:         60
        .size:           2
        .value_kind:     hidden_remainder_y
      - .offset:         62
        .size:           2
        .value_kind:     hidden_remainder_z
      - .offset:         80
        .size:           8
        .value_kind:     hidden_global_offset_x
      - .offset:         88
        .size:           8
        .value_kind:     hidden_global_offset_y
      - .offset:         96
        .size:           8
        .value_kind:     hidden_global_offset_z
      - .offset:         104
        .size:           2
        .value_kind:     hidden_grid_dims
    .group_segment_fixed_size: 0
    .kernarg_segment_align: 8
    .kernarg_segment_size: 296
    .language:       OpenCL C
    .language_version:
      - 2
      - 0
    .max_flat_workgroup_size: 1024
    .name:           _Z12ratt6_kernelIfEvPKT_S2_PS0_S2_S0_
    .private_segment_fixed_size: 0
    .sgpr_count:     20
    .sgpr_spill_count: 0
    .symbol:         _Z12ratt6_kernelIfEvPKT_S2_PS0_S2_S0_.kd
    .uniform_work_group_size: 1
    .uses_dynamic_stack: false
    .vgpr_count:     35
    .vgpr_spill_count: 0
    .wavefront_size: 64
  - .args:
      - .actual_access:  read_only
        .address_space:  global
        .offset:         0
        .size:           8
        .value_kind:     global_buffer
      - .actual_access:  read_only
        .address_space:  global
        .offset:         8
        .size:           8
        .value_kind:     global_buffer
      - .actual_access:  write_only
        .address_space:  global
        .offset:         16
        .size:           8
        .value_kind:     global_buffer
      - .actual_access:  read_only
        .address_space:  global
        .offset:         24
        .size:           8
        .value_kind:     global_buffer
      - .offset:         32
        .size:           4
        .value_kind:     by_value
      - .offset:         40
        .size:           4
        .value_kind:     hidden_block_count_x
      - .offset:         44
        .size:           4
        .value_kind:     hidden_block_count_y
      - .offset:         48
        .size:           4
        .value_kind:     hidden_block_count_z
      - .offset:         52
        .size:           2
        .value_kind:     hidden_group_size_x
      - .offset:         54
        .size:           2
        .value_kind:     hidden_group_size_y
      - .offset:         56
        .size:           2
        .value_kind:     hidden_group_size_z
      - .offset:         58
        .size:           2
        .value_kind:     hidden_remainder_x
      - .offset:         60
        .size:           2
        .value_kind:     hidden_remainder_y
      - .offset:         62
        .size:           2
        .value_kind:     hidden_remainder_z
      - .offset:         80
        .size:           8
        .value_kind:     hidden_global_offset_x
      - .offset:         88
        .size:           8
        .value_kind:     hidden_global_offset_y
      - .offset:         96
        .size:           8
        .value_kind:     hidden_global_offset_z
      - .offset:         104
        .size:           2
        .value_kind:     hidden_grid_dims
    .group_segment_fixed_size: 0
    .kernarg_segment_align: 8
    .kernarg_segment_size: 296
    .language:       OpenCL C
    .language_version:
      - 2
      - 0
    .max_flat_workgroup_size: 1024
    .name:           _Z12ratt7_kernelIfEvPKT_S2_PS0_S2_S0_
    .private_segment_fixed_size: 0
    .sgpr_count:     20
    .sgpr_spill_count: 0
    .symbol:         _Z12ratt7_kernelIfEvPKT_S2_PS0_S2_S0_.kd
    .uniform_work_group_size: 1
    .uses_dynamic_stack: false
    .vgpr_count:     37
    .vgpr_spill_count: 0
    .wavefront_size: 64
  - .args:
      - .actual_access:  read_only
        .address_space:  global
        .offset:         0
        .size:           8
        .value_kind:     global_buffer
      - .actual_access:  read_only
        .address_space:  global
        .offset:         8
        .size:           8
        .value_kind:     global_buffer
      - .actual_access:  write_only
        .address_space:  global
        .offset:         16
        .size:           8
        .value_kind:     global_buffer
      - .actual_access:  read_only
        .address_space:  global
        .offset:         24
        .size:           8
        .value_kind:     global_buffer
      - .offset:         32
        .size:           4
        .value_kind:     by_value
      - .offset:         40
        .size:           4
        .value_kind:     hidden_block_count_x
      - .offset:         44
        .size:           4
        .value_kind:     hidden_block_count_y
      - .offset:         48
        .size:           4
        .value_kind:     hidden_block_count_z
      - .offset:         52
        .size:           2
        .value_kind:     hidden_group_size_x
      - .offset:         54
        .size:           2
        .value_kind:     hidden_group_size_y
      - .offset:         56
        .size:           2
        .value_kind:     hidden_group_size_z
      - .offset:         58
        .size:           2
        .value_kind:     hidden_remainder_x
      - .offset:         60
        .size:           2
        .value_kind:     hidden_remainder_y
      - .offset:         62
        .size:           2
        .value_kind:     hidden_remainder_z
      - .offset:         80
        .size:           8
        .value_kind:     hidden_global_offset_x
      - .offset:         88
        .size:           8
        .value_kind:     hidden_global_offset_y
      - .offset:         96
        .size:           8
        .value_kind:     hidden_global_offset_z
      - .offset:         104
        .size:           2
        .value_kind:     hidden_grid_dims
    .group_segment_fixed_size: 0
    .kernarg_segment_align: 8
    .kernarg_segment_size: 296
    .language:       OpenCL C
    .language_version:
      - 2
      - 0
    .max_flat_workgroup_size: 1024
    .name:           _Z12ratt8_kernelIfEvPKT_S2_PS0_S2_S0_
    .private_segment_fixed_size: 0
    .sgpr_count:     20
    .sgpr_spill_count: 0
    .symbol:         _Z12ratt8_kernelIfEvPKT_S2_PS0_S2_S0_.kd
    .uniform_work_group_size: 1
    .uses_dynamic_stack: false
    .vgpr_count:     39
    .vgpr_spill_count: 0
    .wavefront_size: 64
  - .args:
      - .actual_access:  read_only
        .address_space:  global
        .offset:         0
        .size:           8
        .value_kind:     global_buffer
      - .actual_access:  read_only
        .address_space:  global
        .offset:         8
        .size:           8
        .value_kind:     global_buffer
      - .actual_access:  write_only
        .address_space:  global
        .offset:         16
        .size:           8
        .value_kind:     global_buffer
      - .actual_access:  read_only
        .address_space:  global
        .offset:         24
        .size:           8
        .value_kind:     global_buffer
      - .offset:         32
        .size:           4
        .value_kind:     by_value
      - .offset:         40
        .size:           4
        .value_kind:     hidden_block_count_x
      - .offset:         44
        .size:           4
        .value_kind:     hidden_block_count_y
      - .offset:         48
        .size:           4
        .value_kind:     hidden_block_count_z
      - .offset:         52
        .size:           2
        .value_kind:     hidden_group_size_x
      - .offset:         54
        .size:           2
        .value_kind:     hidden_group_size_y
      - .offset:         56
        .size:           2
        .value_kind:     hidden_group_size_z
      - .offset:         58
        .size:           2
        .value_kind:     hidden_remainder_x
      - .offset:         60
        .size:           2
        .value_kind:     hidden_remainder_y
      - .offset:         62
        .size:           2
        .value_kind:     hidden_remainder_z
      - .offset:         80
        .size:           8
        .value_kind:     hidden_global_offset_x
      - .offset:         88
        .size:           8
        .value_kind:     hidden_global_offset_y
      - .offset:         96
        .size:           8
        .value_kind:     hidden_global_offset_z
      - .offset:         104
        .size:           2
        .value_kind:     hidden_grid_dims
    .group_segment_fixed_size: 0
    .kernarg_segment_align: 8
    .kernarg_segment_size: 296
    .language:       OpenCL C
    .language_version:
      - 2
      - 0
    .max_flat_workgroup_size: 1024
    .name:           _Z12ratt9_kernelIfEvPKT_S2_PS0_S2_S0_
    .private_segment_fixed_size: 0
    .sgpr_count:     20
    .sgpr_spill_count: 0
    .symbol:         _Z12ratt9_kernelIfEvPKT_S2_PS0_S2_S0_.kd
    .uniform_work_group_size: 1
    .uses_dynamic_stack: false
    .vgpr_count:     60
    .vgpr_spill_count: 0
    .wavefront_size: 64
  - .args:
      - .actual_access:  read_only
        .address_space:  global
        .offset:         0
        .size:           8
        .value_kind:     global_buffer
      - .actual_access:  write_only
        .address_space:  global
        .offset:         8
        .size:           8
        .value_kind:     global_buffer
      - .offset:         16
        .size:           4
        .value_kind:     by_value
      - .offset:         24
        .size:           4
        .value_kind:     hidden_block_count_x
      - .offset:         28
        .size:           4
        .value_kind:     hidden_block_count_y
      - .offset:         32
        .size:           4
        .value_kind:     hidden_block_count_z
      - .offset:         36
        .size:           2
        .value_kind:     hidden_group_size_x
      - .offset:         38
        .size:           2
        .value_kind:     hidden_group_size_y
      - .offset:         40
        .size:           2
        .value_kind:     hidden_group_size_z
      - .offset:         42
        .size:           2
        .value_kind:     hidden_remainder_x
      - .offset:         44
        .size:           2
        .value_kind:     hidden_remainder_y
      - .offset:         46
        .size:           2
        .value_kind:     hidden_remainder_z
      - .offset:         64
        .size:           8
        .value_kind:     hidden_global_offset_x
      - .offset:         72
        .size:           8
        .value_kind:     hidden_global_offset_y
      - .offset:         80
        .size:           8
        .value_kind:     hidden_global_offset_z
      - .offset:         88
        .size:           2
        .value_kind:     hidden_grid_dims
    .group_segment_fixed_size: 0
    .kernarg_segment_align: 8
    .kernarg_segment_size: 280
    .language:       OpenCL C
    .language_version:
      - 2
      - 0
    .max_flat_workgroup_size: 1024
    .name:           _Z13ratt10_kernelIfEvPKT_PS0_S0_
    .private_segment_fixed_size: 0
    .sgpr_count:     17
    .sgpr_spill_count: 0
    .symbol:         _Z13ratt10_kernelIfEvPKT_PS0_S0_.kd
    .uniform_work_group_size: 1
    .uses_dynamic_stack: false
    .vgpr_count:     23
    .vgpr_spill_count: 0
    .wavefront_size: 64
  - .args:
      - .actual_access:  read_only
        .address_space:  global
        .offset:         0
        .size:           8
        .value_kind:     global_buffer
      - .actual_access:  read_only
        .address_space:  global
        .offset:         8
        .size:           8
        .value_kind:     global_buffer
      - .address_space:  global
        .offset:         16
        .size:           8
        .value_kind:     global_buffer
      - .address_space:  global
        .offset:         24
        .size:           8
        .value_kind:     global_buffer
      - .actual_access:  read_only
        .address_space:  global
        .offset:         32
        .size:           8
        .value_kind:     global_buffer
      - .offset:         40
        .size:           4
        .value_kind:     by_value
      - .offset:         48
        .size:           4
        .value_kind:     hidden_block_count_x
      - .offset:         52
        .size:           4
        .value_kind:     hidden_block_count_y
      - .offset:         56
        .size:           4
        .value_kind:     hidden_block_count_z
      - .offset:         60
        .size:           2
        .value_kind:     hidden_group_size_x
      - .offset:         62
        .size:           2
        .value_kind:     hidden_group_size_y
      - .offset:         64
        .size:           2
        .value_kind:     hidden_group_size_z
      - .offset:         66
        .size:           2
        .value_kind:     hidden_remainder_x
      - .offset:         68
        .size:           2
        .value_kind:     hidden_remainder_y
      - .offset:         70
        .size:           2
        .value_kind:     hidden_remainder_z
      - .offset:         88
        .size:           8
        .value_kind:     hidden_global_offset_x
      - .offset:         96
        .size:           8
        .value_kind:     hidden_global_offset_y
      - .offset:         104
        .size:           8
        .value_kind:     hidden_global_offset_z
      - .offset:         112
        .size:           2
        .value_kind:     hidden_grid_dims
    .group_segment_fixed_size: 0
    .kernarg_segment_align: 8
    .kernarg_segment_size: 304
    .language:       OpenCL C
    .language_version:
      - 2
      - 0
    .max_flat_workgroup_size: 1024
    .name:           _Z11ratx_kernelIfEvPKT_S2_PS0_S3_S2_S0_
    .private_segment_fixed_size: 0
    .sgpr_count:     20
    .sgpr_spill_count: 0
    .symbol:         _Z11ratx_kernelIfEvPKT_S2_PS0_S3_S2_S0_.kd
    .uniform_work_group_size: 1
    .uses_dynamic_stack: false
    .vgpr_count:     43
    .vgpr_spill_count: 0
    .wavefront_size: 64
  - .args:
      - .actual_access:  read_only
        .address_space:  global
        .offset:         0
        .size:           8
        .value_kind:     global_buffer
      - .actual_access:  read_only
        .address_space:  global
        .offset:         8
        .size:           8
        .value_kind:     global_buffer
      - .address_space:  global
        .offset:         16
        .size:           8
        .value_kind:     global_buffer
      - .address_space:  global
        .offset:         24
        .size:           8
        .value_kind:     global_buffer
      - .actual_access:  read_only
        .address_space:  global
        .offset:         32
        .size:           8
        .value_kind:     global_buffer
      - .offset:         40
        .size:           4
        .value_kind:     by_value
      - .offset:         48
        .size:           4
        .value_kind:     hidden_block_count_x
      - .offset:         52
        .size:           4
        .value_kind:     hidden_block_count_y
      - .offset:         56
        .size:           4
        .value_kind:     hidden_block_count_z
      - .offset:         60
        .size:           2
        .value_kind:     hidden_group_size_x
      - .offset:         62
        .size:           2
        .value_kind:     hidden_group_size_y
      - .offset:         64
        .size:           2
        .value_kind:     hidden_group_size_z
      - .offset:         66
        .size:           2
        .value_kind:     hidden_remainder_x
      - .offset:         68
        .size:           2
        .value_kind:     hidden_remainder_y
      - .offset:         70
        .size:           2
        .value_kind:     hidden_remainder_z
      - .offset:         88
        .size:           8
        .value_kind:     hidden_global_offset_x
      - .offset:         96
        .size:           8
        .value_kind:     hidden_global_offset_y
      - .offset:         104
        .size:           8
        .value_kind:     hidden_global_offset_z
      - .offset:         112
        .size:           2
        .value_kind:     hidden_grid_dims
    .group_segment_fixed_size: 0
    .kernarg_segment_align: 8
    .kernarg_segment_size: 304
    .language:       OpenCL C
    .language_version:
      - 2
      - 0
    .max_flat_workgroup_size: 1024
    .name:           _Z12ratxb_kernelIfEvPKT_S2_PS0_S3_S2_S0_
    .private_segment_fixed_size: 0
    .sgpr_count:     20
    .sgpr_spill_count: 0
    .symbol:         _Z12ratxb_kernelIfEvPKT_S2_PS0_S3_S2_S0_.kd
    .uniform_work_group_size: 1
    .uses_dynamic_stack: false
    .vgpr_count:     57
    .vgpr_spill_count: 0
    .wavefront_size: 64
  - .args:
      - .actual_access:  read_only
        .address_space:  global
        .offset:         0
        .size:           8
        .value_kind:     global_buffer
      - .address_space:  global
        .offset:         8
        .size:           8
        .value_kind:     global_buffer
      - .actual_access:  read_only
        .address_space:  global
        .offset:         16
        .size:           8
        .value_kind:     global_buffer
      - .offset:         24
        .size:           4
        .value_kind:     hidden_block_count_x
      - .offset:         28
        .size:           4
        .value_kind:     hidden_block_count_y
      - .offset:         32
        .size:           4
        .value_kind:     hidden_block_count_z
      - .offset:         36
        .size:           2
        .value_kind:     hidden_group_size_x
      - .offset:         38
        .size:           2
        .value_kind:     hidden_group_size_y
      - .offset:         40
        .size:           2
        .value_kind:     hidden_group_size_z
      - .offset:         42
        .size:           2
        .value_kind:     hidden_remainder_x
      - .offset:         44
        .size:           2
        .value_kind:     hidden_remainder_y
      - .offset:         46
        .size:           2
        .value_kind:     hidden_remainder_z
      - .offset:         64
        .size:           8
        .value_kind:     hidden_global_offset_x
      - .offset:         72
        .size:           8
        .value_kind:     hidden_global_offset_y
      - .offset:         80
        .size:           8
        .value_kind:     hidden_global_offset_z
      - .offset:         88
        .size:           2
        .value_kind:     hidden_grid_dims
    .group_segment_fixed_size: 0
    .kernarg_segment_align: 8
    .kernarg_segment_size: 280
    .language:       OpenCL C
    .language_version:
      - 2
      - 0
    .max_flat_workgroup_size: 1024
    .name:           _Z12ratx2_kernelIfEvPKT_PS0_S3_
    .private_segment_fixed_size: 0
    .sgpr_count:     13
    .sgpr_spill_count: 0
    .symbol:         _Z12ratx2_kernelIfEvPKT_PS0_S3_.kd
    .uniform_work_group_size: 1
    .uses_dynamic_stack: false
    .vgpr_count:     50
    .vgpr_spill_count: 0
    .wavefront_size: 64
  - .args:
      - .actual_access:  read_only
        .address_space:  global
        .offset:         0
        .size:           8
        .value_kind:     global_buffer
      - .actual_access:  read_only
        .address_space:  global
        .offset:         8
        .size:           8
        .value_kind:     global_buffer
      - .address_space:  global
        .offset:         16
        .size:           8
        .value_kind:     global_buffer
      - .offset:         24
        .size:           4
        .value_kind:     hidden_block_count_x
      - .offset:         28
        .size:           4
        .value_kind:     hidden_block_count_y
      - .offset:         32
        .size:           4
        .value_kind:     hidden_block_count_z
      - .offset:         36
        .size:           2
        .value_kind:     hidden_group_size_x
      - .offset:         38
        .size:           2
        .value_kind:     hidden_group_size_y
      - .offset:         40
        .size:           2
        .value_kind:     hidden_group_size_z
      - .offset:         42
        .size:           2
        .value_kind:     hidden_remainder_x
      - .offset:         44
        .size:           2
        .value_kind:     hidden_remainder_y
      - .offset:         46
        .size:           2
        .value_kind:     hidden_remainder_z
      - .offset:         64
        .size:           8
        .value_kind:     hidden_global_offset_x
      - .offset:         72
        .size:           8
        .value_kind:     hidden_global_offset_y
      - .offset:         80
        .size:           8
        .value_kind:     hidden_global_offset_z
      - .offset:         88
        .size:           2
        .value_kind:     hidden_grid_dims
    .group_segment_fixed_size: 0
    .kernarg_segment_align: 8
    .kernarg_segment_size: 280
    .language:       OpenCL C
    .language_version:
      - 2
      - 0
    .max_flat_workgroup_size: 1024
    .name:           _Z12ratx4_kernelIfEvPKT_PS0_S3_
    .private_segment_fixed_size: 0
    .sgpr_count:     13
    .sgpr_spill_count: 0
    .symbol:         _Z12ratx4_kernelIfEvPKT_PS0_S3_.kd
    .uniform_work_group_size: 1
    .uses_dynamic_stack: false
    .vgpr_count:     55
    .vgpr_spill_count: 0
    .wavefront_size: 64
  - .args:
      - .address_space:  global
        .offset:         0
        .size:           8
        .value_kind:     global_buffer
      - .address_space:  global
        .offset:         8
        .size:           8
        .value_kind:     global_buffer
      - .actual_access:  write_only
        .address_space:  global
        .offset:         16
        .size:           8
        .value_kind:     global_buffer
      - .offset:         24
        .size:           4
        .value_kind:     hidden_block_count_x
      - .offset:         28
        .size:           4
        .value_kind:     hidden_block_count_y
      - .offset:         32
        .size:           4
        .value_kind:     hidden_block_count_z
      - .offset:         36
        .size:           2
        .value_kind:     hidden_group_size_x
      - .offset:         38
        .size:           2
        .value_kind:     hidden_group_size_y
      - .offset:         40
        .size:           2
        .value_kind:     hidden_group_size_z
      - .offset:         42
        .size:           2
        .value_kind:     hidden_remainder_x
      - .offset:         44
        .size:           2
        .value_kind:     hidden_remainder_y
      - .offset:         46
        .size:           2
        .value_kind:     hidden_remainder_z
      - .offset:         64
        .size:           8
        .value_kind:     hidden_global_offset_x
      - .offset:         72
        .size:           8
        .value_kind:     hidden_global_offset_y
      - .offset:         80
        .size:           8
        .value_kind:     hidden_global_offset_z
      - .offset:         88
        .size:           2
        .value_kind:     hidden_grid_dims
    .group_segment_fixed_size: 0
    .kernarg_segment_align: 8
    .kernarg_segment_size: 280
    .language:       OpenCL C
    .language_version:
      - 2
      - 0
    .max_flat_workgroup_size: 1024
    .name:           _Z11qssa_kernelIfEvPT_S1_S1_
    .private_segment_fixed_size: 368
    .sgpr_count:     28
    .sgpr_spill_count: 0
    .symbol:         _Z11qssa_kernelIfEvPT_S1_S1_.kd
    .uniform_work_group_size: 1
    .uses_dynamic_stack: false
    .vgpr_count:     64
    .vgpr_spill_count: 139
    .wavefront_size: 64
  - .args:
      - .actual_access:  read_only
        .address_space:  global
        .offset:         0
        .size:           8
        .value_kind:     global_buffer
      - .actual_access:  read_only
        .address_space:  global
        .offset:         8
        .size:           8
        .value_kind:     global_buffer
      - .address_space:  global
        .offset:         16
        .size:           8
        .value_kind:     global_buffer
      - .offset:         24
        .size:           4
        .value_kind:     hidden_block_count_x
      - .offset:         28
        .size:           4
        .value_kind:     hidden_block_count_y
      - .offset:         32
        .size:           4
        .value_kind:     hidden_block_count_z
      - .offset:         36
        .size:           2
        .value_kind:     hidden_group_size_x
      - .offset:         38
        .size:           2
        .value_kind:     hidden_group_size_y
      - .offset:         40
        .size:           2
        .value_kind:     hidden_group_size_z
      - .offset:         42
        .size:           2
        .value_kind:     hidden_remainder_x
      - .offset:         44
        .size:           2
        .value_kind:     hidden_remainder_y
      - .offset:         46
        .size:           2
        .value_kind:     hidden_remainder_z
      - .offset:         64
        .size:           8
        .value_kind:     hidden_global_offset_x
      - .offset:         72
        .size:           8
        .value_kind:     hidden_global_offset_y
      - .offset:         80
        .size:           8
        .value_kind:     hidden_global_offset_z
      - .offset:         88
        .size:           2
        .value_kind:     hidden_grid_dims
    .group_segment_fixed_size: 0
    .kernarg_segment_align: 8
    .kernarg_segment_size: 280
    .language:       OpenCL C
    .language_version:
      - 2
      - 0
    .max_flat_workgroup_size: 1024
    .name:           _Z12qssab_kernelIfEvPT_S1_S1_
    .private_segment_fixed_size: 0
    .sgpr_count:     16
    .sgpr_spill_count: 0
    .symbol:         _Z12qssab_kernelIfEvPT_S1_S1_.kd
    .uniform_work_group_size: 1
    .uses_dynamic_stack: false
    .vgpr_count:     59
    .vgpr_spill_count: 0
    .wavefront_size: 64
  - .args:
      - .address_space:  global
        .offset:         0
        .size:           8
        .value_kind:     global_buffer
      - .address_space:  global
        .offset:         8
        .size:           8
        .value_kind:     global_buffer
      - .actual_access:  read_only
        .address_space:  global
        .offset:         16
        .size:           8
        .value_kind:     global_buffer
      - .offset:         24
        .size:           4
        .value_kind:     hidden_block_count_x
      - .offset:         28
        .size:           4
        .value_kind:     hidden_block_count_y
      - .offset:         32
        .size:           4
        .value_kind:     hidden_block_count_z
      - .offset:         36
        .size:           2
        .value_kind:     hidden_group_size_x
      - .offset:         38
        .size:           2
        .value_kind:     hidden_group_size_y
      - .offset:         40
        .size:           2
        .value_kind:     hidden_group_size_z
      - .offset:         42
        .size:           2
        .value_kind:     hidden_remainder_x
      - .offset:         44
        .size:           2
        .value_kind:     hidden_remainder_y
      - .offset:         46
        .size:           2
        .value_kind:     hidden_remainder_z
      - .offset:         64
        .size:           8
        .value_kind:     hidden_global_offset_x
      - .offset:         72
        .size:           8
        .value_kind:     hidden_global_offset_y
      - .offset:         80
        .size:           8
        .value_kind:     hidden_global_offset_z
      - .offset:         88
        .size:           2
        .value_kind:     hidden_grid_dims
    .group_segment_fixed_size: 0
    .kernarg_segment_align: 8
    .kernarg_segment_size: 280
    .language:       OpenCL C
    .language_version:
      - 2
      - 0
    .max_flat_workgroup_size: 1024
    .name:           _Z12qssa2_kernelIfEvPT_S1_PKS0_
    .private_segment_fixed_size: 0
    .sgpr_count:     16
    .sgpr_spill_count: 0
    .symbol:         _Z12qssa2_kernelIfEvPT_S1_PKS0_.kd
    .uniform_work_group_size: 1
    .uses_dynamic_stack: false
    .vgpr_count:     49
    .vgpr_spill_count: 0
    .wavefront_size: 64
  - .args:
      - .actual_access:  read_only
        .address_space:  global
        .offset:         0
        .size:           8
        .value_kind:     global_buffer
      - .actual_access:  read_only
        .address_space:  global
        .offset:         8
        .size:           8
        .value_kind:     global_buffer
      - .actual_access:  write_only
        .address_space:  global
        .offset:         16
        .size:           8
        .value_kind:     global_buffer
      - .offset:         24
        .size:           4
        .value_kind:     by_value
      - .actual_access:  read_only
        .address_space:  global
        .offset:         32
        .size:           8
        .value_kind:     global_buffer
      - .offset:         40
        .size:           4
        .value_kind:     hidden_block_count_x
      - .offset:         44
        .size:           4
        .value_kind:     hidden_block_count_y
      - .offset:         48
        .size:           4
        .value_kind:     hidden_block_count_z
      - .offset:         52
        .size:           2
        .value_kind:     hidden_group_size_x
      - .offset:         54
        .size:           2
        .value_kind:     hidden_group_size_y
      - .offset:         56
        .size:           2
        .value_kind:     hidden_group_size_z
      - .offset:         58
        .size:           2
        .value_kind:     hidden_remainder_x
      - .offset:         60
        .size:           2
        .value_kind:     hidden_remainder_y
      - .offset:         62
        .size:           2
        .value_kind:     hidden_remainder_z
      - .offset:         80
        .size:           8
        .value_kind:     hidden_global_offset_x
      - .offset:         88
        .size:           8
        .value_kind:     hidden_global_offset_y
      - .offset:         96
        .size:           8
        .value_kind:     hidden_global_offset_z
      - .offset:         104
        .size:           2
        .value_kind:     hidden_grid_dims
    .group_segment_fixed_size: 0
    .kernarg_segment_align: 8
    .kernarg_segment_size: 296
    .language:       OpenCL C
    .language_version:
      - 2
      - 0
    .max_flat_workgroup_size: 1024
    .name:           _Z13rdwdot_kernelIfEvPKT_S2_PS0_S0_S2_
    .private_segment_fixed_size: 0
    .sgpr_count:     22
    .sgpr_spill_count: 0
    .symbol:         _Z13rdwdot_kernelIfEvPKT_S2_PS0_S0_S2_.kd
    .uniform_work_group_size: 1
    .uses_dynamic_stack: false
    .vgpr_count:     13
    .vgpr_spill_count: 0
    .wavefront_size: 64
  - .args:
      - .actual_access:  read_only
        .address_space:  global
        .offset:         0
        .size:           8
        .value_kind:     global_buffer
      - .actual_access:  read_only
        .address_space:  global
        .offset:         8
        .size:           8
        .value_kind:     global_buffer
      - .actual_access:  write_only
        .address_space:  global
        .offset:         16
        .size:           8
        .value_kind:     global_buffer
      - .offset:         24
        .size:           4
        .value_kind:     by_value
      - .actual_access:  read_only
        .address_space:  global
        .offset:         32
        .size:           8
        .value_kind:     global_buffer
      - .offset:         40
        .size:           4
        .value_kind:     hidden_block_count_x
      - .offset:         44
        .size:           4
        .value_kind:     hidden_block_count_y
      - .offset:         48
        .size:           4
        .value_kind:     hidden_block_count_z
      - .offset:         52
        .size:           2
        .value_kind:     hidden_group_size_x
      - .offset:         54
        .size:           2
        .value_kind:     hidden_group_size_y
      - .offset:         56
        .size:           2
        .value_kind:     hidden_group_size_z
      - .offset:         58
        .size:           2
        .value_kind:     hidden_remainder_x
      - .offset:         60
        .size:           2
        .value_kind:     hidden_remainder_y
      - .offset:         62
        .size:           2
        .value_kind:     hidden_remainder_z
      - .offset:         80
        .size:           8
        .value_kind:     hidden_global_offset_x
      - .offset:         88
        .size:           8
        .value_kind:     hidden_global_offset_y
      - .offset:         96
        .size:           8
        .value_kind:     hidden_global_offset_z
      - .offset:         104
        .size:           2
        .value_kind:     hidden_grid_dims
    .group_segment_fixed_size: 0
    .kernarg_segment_align: 8
    .kernarg_segment_size: 296
    .language:       OpenCL C
    .language_version:
      - 2
      - 0
    .max_flat_workgroup_size: 1024
    .name:           _Z14rdwdot2_kernelIfEvPKT_S2_PS0_S0_S2_
    .private_segment_fixed_size: 0
    .sgpr_count:     18
    .sgpr_spill_count: 0
    .symbol:         _Z14rdwdot2_kernelIfEvPKT_S2_PS0_S0_S2_.kd
    .uniform_work_group_size: 1
    .uses_dynamic_stack: false
    .vgpr_count:     18
    .vgpr_spill_count: 0
    .wavefront_size: 64
  - .args:
      - .actual_access:  read_only
        .address_space:  global
        .offset:         0
        .size:           8
        .value_kind:     global_buffer
      - .actual_access:  read_only
        .address_space:  global
        .offset:         8
        .size:           8
        .value_kind:     global_buffer
      - .actual_access:  write_only
        .address_space:  global
        .offset:         16
        .size:           8
        .value_kind:     global_buffer
      - .offset:         24
        .size:           4
        .value_kind:     by_value
      - .actual_access:  read_only
        .address_space:  global
        .offset:         32
        .size:           8
        .value_kind:     global_buffer
      - .offset:         40
        .size:           4
        .value_kind:     hidden_block_count_x
      - .offset:         44
        .size:           4
        .value_kind:     hidden_block_count_y
      - .offset:         48
        .size:           4
        .value_kind:     hidden_block_count_z
      - .offset:         52
        .size:           2
        .value_kind:     hidden_group_size_x
      - .offset:         54
        .size:           2
        .value_kind:     hidden_group_size_y
      - .offset:         56
        .size:           2
        .value_kind:     hidden_group_size_z
      - .offset:         58
        .size:           2
        .value_kind:     hidden_remainder_x
      - .offset:         60
        .size:           2
        .value_kind:     hidden_remainder_y
      - .offset:         62
        .size:           2
        .value_kind:     hidden_remainder_z
      - .offset:         80
        .size:           8
        .value_kind:     hidden_global_offset_x
      - .offset:         88
        .size:           8
        .value_kind:     hidden_global_offset_y
      - .offset:         96
        .size:           8
        .value_kind:     hidden_global_offset_z
      - .offset:         104
        .size:           2
        .value_kind:     hidden_grid_dims
    .group_segment_fixed_size: 0
    .kernarg_segment_align: 8
    .kernarg_segment_size: 296
    .language:       OpenCL C
    .language_version:
      - 2
      - 0
    .max_flat_workgroup_size: 1024
    .name:           _Z14rdwdot3_kernelIfEvPKT_S2_PS0_S0_S2_
    .private_segment_fixed_size: 0
    .sgpr_count:     26
    .sgpr_spill_count: 0
    .symbol:         _Z14rdwdot3_kernelIfEvPKT_S2_PS0_S0_S2_.kd
    .uniform_work_group_size: 1
    .uses_dynamic_stack: false
    .vgpr_count:     38
    .vgpr_spill_count: 0
    .wavefront_size: 64
  - .args:
      - .actual_access:  read_only
        .address_space:  global
        .offset:         0
        .size:           8
        .value_kind:     global_buffer
      - .actual_access:  read_only
        .address_space:  global
        .offset:         8
        .size:           8
        .value_kind:     global_buffer
      - .actual_access:  write_only
        .address_space:  global
        .offset:         16
        .size:           8
        .value_kind:     global_buffer
      - .offset:         24
        .size:           4
        .value_kind:     by_value
      - .actual_access:  read_only
        .address_space:  global
        .offset:         32
        .size:           8
        .value_kind:     global_buffer
      - .offset:         40
        .size:           4
        .value_kind:     hidden_block_count_x
      - .offset:         44
        .size:           4
        .value_kind:     hidden_block_count_y
      - .offset:         48
        .size:           4
        .value_kind:     hidden_block_count_z
      - .offset:         52
        .size:           2
        .value_kind:     hidden_group_size_x
      - .offset:         54
        .size:           2
        .value_kind:     hidden_group_size_y
      - .offset:         56
        .size:           2
        .value_kind:     hidden_group_size_z
      - .offset:         58
        .size:           2
        .value_kind:     hidden_remainder_x
      - .offset:         60
        .size:           2
        .value_kind:     hidden_remainder_y
      - .offset:         62
        .size:           2
        .value_kind:     hidden_remainder_z
      - .offset:         80
        .size:           8
        .value_kind:     hidden_global_offset_x
      - .offset:         88
        .size:           8
        .value_kind:     hidden_global_offset_y
      - .offset:         96
        .size:           8
        .value_kind:     hidden_global_offset_z
      - .offset:         104
        .size:           2
        .value_kind:     hidden_grid_dims
    .group_segment_fixed_size: 0
    .kernarg_segment_align: 8
    .kernarg_segment_size: 296
    .language:       OpenCL C
    .language_version:
      - 2
      - 0
    .max_flat_workgroup_size: 1024
    .name:           _Z14rdwdot6_kernelIfEvPKT_S2_PS0_S0_S2_
    .private_segment_fixed_size: 0
    .sgpr_count:     20
    .sgpr_spill_count: 0
    .symbol:         _Z14rdwdot6_kernelIfEvPKT_S2_PS0_S0_S2_.kd
    .uniform_work_group_size: 1
    .uses_dynamic_stack: false
    .vgpr_count:     17
    .vgpr_spill_count: 0
    .wavefront_size: 64
  - .args:
      - .actual_access:  read_only
        .address_space:  global
        .offset:         0
        .size:           8
        .value_kind:     global_buffer
      - .actual_access:  read_only
        .address_space:  global
        .offset:         8
        .size:           8
        .value_kind:     global_buffer
      - .actual_access:  write_only
        .address_space:  global
        .offset:         16
        .size:           8
        .value_kind:     global_buffer
      - .offset:         24
        .size:           4
        .value_kind:     by_value
      - .actual_access:  read_only
        .address_space:  global
        .offset:         32
        .size:           8
        .value_kind:     global_buffer
      - .offset:         40
        .size:           4
        .value_kind:     hidden_block_count_x
      - .offset:         44
        .size:           4
        .value_kind:     hidden_block_count_y
      - .offset:         48
        .size:           4
        .value_kind:     hidden_block_count_z
      - .offset:         52
        .size:           2
        .value_kind:     hidden_group_size_x
      - .offset:         54
        .size:           2
        .value_kind:     hidden_group_size_y
      - .offset:         56
        .size:           2
        .value_kind:     hidden_group_size_z
      - .offset:         58
        .size:           2
        .value_kind:     hidden_remainder_x
      - .offset:         60
        .size:           2
        .value_kind:     hidden_remainder_y
      - .offset:         62
        .size:           2
        .value_kind:     hidden_remainder_z
      - .offset:         80
        .size:           8
        .value_kind:     hidden_global_offset_x
      - .offset:         88
        .size:           8
        .value_kind:     hidden_global_offset_y
      - .offset:         96
        .size:           8
        .value_kind:     hidden_global_offset_z
      - .offset:         104
        .size:           2
        .value_kind:     hidden_grid_dims
    .group_segment_fixed_size: 0
    .kernarg_segment_align: 8
    .kernarg_segment_size: 296
    .language:       OpenCL C
    .language_version:
      - 2
      - 0
    .max_flat_workgroup_size: 1024
    .name:           _Z14rdwdot7_kernelIfEvPKT_S2_PS0_S0_S2_
    .private_segment_fixed_size: 0
    .sgpr_count:     20
    .sgpr_spill_count: 0
    .symbol:         _Z14rdwdot7_kernelIfEvPKT_S2_PS0_S0_S2_.kd
    .uniform_work_group_size: 1
    .uses_dynamic_stack: false
    .vgpr_count:     24
    .vgpr_spill_count: 0
    .wavefront_size: 64
  - .args:
      - .actual_access:  read_only
        .address_space:  global
        .offset:         0
        .size:           8
        .value_kind:     global_buffer
      - .actual_access:  read_only
        .address_space:  global
        .offset:         8
        .size:           8
        .value_kind:     global_buffer
      - .actual_access:  write_only
        .address_space:  global
        .offset:         16
        .size:           8
        .value_kind:     global_buffer
      - .offset:         24
        .size:           4
        .value_kind:     by_value
      - .actual_access:  read_only
        .address_space:  global
        .offset:         32
        .size:           8
        .value_kind:     global_buffer
      - .offset:         40
        .size:           4
        .value_kind:     hidden_block_count_x
      - .offset:         44
        .size:           4
        .value_kind:     hidden_block_count_y
      - .offset:         48
        .size:           4
        .value_kind:     hidden_block_count_z
      - .offset:         52
        .size:           2
        .value_kind:     hidden_group_size_x
      - .offset:         54
        .size:           2
        .value_kind:     hidden_group_size_y
      - .offset:         56
        .size:           2
        .value_kind:     hidden_group_size_z
      - .offset:         58
        .size:           2
        .value_kind:     hidden_remainder_x
      - .offset:         60
        .size:           2
        .value_kind:     hidden_remainder_y
      - .offset:         62
        .size:           2
        .value_kind:     hidden_remainder_z
      - .offset:         80
        .size:           8
        .value_kind:     hidden_global_offset_x
      - .offset:         88
        .size:           8
        .value_kind:     hidden_global_offset_y
      - .offset:         96
        .size:           8
        .value_kind:     hidden_global_offset_z
      - .offset:         104
        .size:           2
        .value_kind:     hidden_grid_dims
    .group_segment_fixed_size: 0
    .kernarg_segment_align: 8
    .kernarg_segment_size: 296
    .language:       OpenCL C
    .language_version:
      - 2
      - 0
    .max_flat_workgroup_size: 1024
    .name:           _Z14rdwdot8_kernelIfEvPKT_S2_PS0_S0_S2_
    .private_segment_fixed_size: 0
    .sgpr_count:     20
    .sgpr_spill_count: 0
    .symbol:         _Z14rdwdot8_kernelIfEvPKT_S2_PS0_S0_S2_.kd
    .uniform_work_group_size: 1
    .uses_dynamic_stack: false
    .vgpr_count:     21
    .vgpr_spill_count: 0
    .wavefront_size: 64
  - .args:
      - .actual_access:  read_only
        .address_space:  global
        .offset:         0
        .size:           8
        .value_kind:     global_buffer
      - .actual_access:  read_only
        .address_space:  global
        .offset:         8
        .size:           8
        .value_kind:     global_buffer
      - .actual_access:  write_only
        .address_space:  global
        .offset:         16
        .size:           8
        .value_kind:     global_buffer
      - .offset:         24
        .size:           4
        .value_kind:     by_value
      - .actual_access:  read_only
        .address_space:  global
        .offset:         32
        .size:           8
        .value_kind:     global_buffer
      - .offset:         40
        .size:           4
        .value_kind:     hidden_block_count_x
      - .offset:         44
        .size:           4
        .value_kind:     hidden_block_count_y
      - .offset:         48
        .size:           4
        .value_kind:     hidden_block_count_z
      - .offset:         52
        .size:           2
        .value_kind:     hidden_group_size_x
      - .offset:         54
        .size:           2
        .value_kind:     hidden_group_size_y
      - .offset:         56
        .size:           2
        .value_kind:     hidden_group_size_z
      - .offset:         58
        .size:           2
        .value_kind:     hidden_remainder_x
      - .offset:         60
        .size:           2
        .value_kind:     hidden_remainder_y
      - .offset:         62
        .size:           2
        .value_kind:     hidden_remainder_z
      - .offset:         80
        .size:           8
        .value_kind:     hidden_global_offset_x
      - .offset:         88
        .size:           8
        .value_kind:     hidden_global_offset_y
      - .offset:         96
        .size:           8
        .value_kind:     hidden_global_offset_z
      - .offset:         104
        .size:           2
        .value_kind:     hidden_grid_dims
    .group_segment_fixed_size: 0
    .kernarg_segment_align: 8
    .kernarg_segment_size: 296
    .language:       OpenCL C
    .language_version:
      - 2
      - 0
    .max_flat_workgroup_size: 1024
    .name:           _Z14rdwdot9_kernelIfEvPKT_S2_PS0_S0_S2_
    .private_segment_fixed_size: 0
    .sgpr_count:     20
    .sgpr_spill_count: 0
    .symbol:         _Z14rdwdot9_kernelIfEvPKT_S2_PS0_S0_S2_.kd
    .uniform_work_group_size: 1
    .uses_dynamic_stack: false
    .vgpr_count:     10
    .vgpr_spill_count: 0
    .wavefront_size: 64
  - .args:
      - .actual_access:  read_only
        .address_space:  global
        .offset:         0
        .size:           8
        .value_kind:     global_buffer
      - .actual_access:  read_only
        .address_space:  global
        .offset:         8
        .size:           8
        .value_kind:     global_buffer
      - .actual_access:  write_only
        .address_space:  global
        .offset:         16
        .size:           8
        .value_kind:     global_buffer
      - .offset:         24
        .size:           4
        .value_kind:     by_value
      - .actual_access:  read_only
        .address_space:  global
        .offset:         32
        .size:           8
        .value_kind:     global_buffer
      - .offset:         40
        .size:           4
        .value_kind:     hidden_block_count_x
      - .offset:         44
        .size:           4
        .value_kind:     hidden_block_count_y
      - .offset:         48
        .size:           4
        .value_kind:     hidden_block_count_z
      - .offset:         52
        .size:           2
        .value_kind:     hidden_group_size_x
      - .offset:         54
        .size:           2
        .value_kind:     hidden_group_size_y
      - .offset:         56
        .size:           2
        .value_kind:     hidden_group_size_z
      - .offset:         58
        .size:           2
        .value_kind:     hidden_remainder_x
      - .offset:         60
        .size:           2
        .value_kind:     hidden_remainder_y
      - .offset:         62
        .size:           2
        .value_kind:     hidden_remainder_z
      - .offset:         80
        .size:           8
        .value_kind:     hidden_global_offset_x
      - .offset:         88
        .size:           8
        .value_kind:     hidden_global_offset_y
      - .offset:         96
        .size:           8
        .value_kind:     hidden_global_offset_z
      - .offset:         104
        .size:           2
        .value_kind:     hidden_grid_dims
    .group_segment_fixed_size: 0
    .kernarg_segment_align: 8
    .kernarg_segment_size: 296
    .language:       OpenCL C
    .language_version:
      - 2
      - 0
    .max_flat_workgroup_size: 1024
    .name:           _Z15rdwdot10_kernelIfEvPKT_S2_PS0_S0_S2_
    .private_segment_fixed_size: 0
    .sgpr_count:     26
    .sgpr_spill_count: 0
    .symbol:         _Z15rdwdot10_kernelIfEvPKT_S2_PS0_S0_S2_.kd
    .uniform_work_group_size: 1
    .uses_dynamic_stack: false
    .vgpr_count:     51
    .vgpr_spill_count: 0
    .wavefront_size: 64
  - .args:
      - .actual_access:  read_only
        .address_space:  global
        .offset:         0
        .size:           8
        .value_kind:     global_buffer
      - .actual_access:  write_only
        .address_space:  global
        .offset:         8
        .size:           8
        .value_kind:     global_buffer
      - .offset:         16
        .size:           8
        .value_kind:     by_value
      - .offset:         24
        .size:           4
        .value_kind:     hidden_block_count_x
      - .offset:         28
        .size:           4
        .value_kind:     hidden_block_count_y
      - .offset:         32
        .size:           4
        .value_kind:     hidden_block_count_z
      - .offset:         36
        .size:           2
        .value_kind:     hidden_group_size_x
      - .offset:         38
        .size:           2
        .value_kind:     hidden_group_size_y
      - .offset:         40
        .size:           2
        .value_kind:     hidden_group_size_z
      - .offset:         42
        .size:           2
        .value_kind:     hidden_remainder_x
      - .offset:         44
        .size:           2
        .value_kind:     hidden_remainder_y
      - .offset:         46
        .size:           2
        .value_kind:     hidden_remainder_z
      - .offset:         64
        .size:           8
        .value_kind:     hidden_global_offset_x
      - .offset:         72
        .size:           8
        .value_kind:     hidden_global_offset_y
      - .offset:         80
        .size:           8
        .value_kind:     hidden_global_offset_z
      - .offset:         88
        .size:           2
        .value_kind:     hidden_grid_dims
    .group_segment_fixed_size: 0
    .kernarg_segment_align: 8
    .kernarg_segment_size: 280
    .language:       OpenCL C
    .language_version:
      - 2
      - 0
    .max_flat_workgroup_size: 1024
    .name:           _Z11ratt_kernelIdEvPKT_PS0_S0_
    .private_segment_fixed_size: 0
    .sgpr_count:     86
    .sgpr_spill_count: 0
    .symbol:         _Z11ratt_kernelIdEvPKT_PS0_S0_.kd
    .uniform_work_group_size: 1
    .uses_dynamic_stack: false
    .vgpr_count:     40
    .vgpr_spill_count: 0
    .wavefront_size: 64
  - .args:
      - .actual_access:  read_only
        .address_space:  global
        .offset:         0
        .size:           8
        .value_kind:     global_buffer
      - .actual_access:  write_only
        .address_space:  global
        .offset:         8
        .size:           8
        .value_kind:     global_buffer
      - .offset:         16
        .size:           8
        .value_kind:     by_value
      - .offset:         24
        .size:           4
        .value_kind:     hidden_block_count_x
      - .offset:         28
        .size:           4
        .value_kind:     hidden_block_count_y
      - .offset:         32
        .size:           4
        .value_kind:     hidden_block_count_z
      - .offset:         36
        .size:           2
        .value_kind:     hidden_group_size_x
      - .offset:         38
        .size:           2
        .value_kind:     hidden_group_size_y
      - .offset:         40
        .size:           2
        .value_kind:     hidden_group_size_z
      - .offset:         42
        .size:           2
        .value_kind:     hidden_remainder_x
      - .offset:         44
        .size:           2
        .value_kind:     hidden_remainder_y
      - .offset:         46
        .size:           2
        .value_kind:     hidden_remainder_z
      - .offset:         64
        .size:           8
        .value_kind:     hidden_global_offset_x
      - .offset:         72
        .size:           8
        .value_kind:     hidden_global_offset_y
      - .offset:         80
        .size:           8
        .value_kind:     hidden_global_offset_z
      - .offset:         88
        .size:           2
        .value_kind:     hidden_grid_dims
    .group_segment_fixed_size: 0
    .kernarg_segment_align: 8
    .kernarg_segment_size: 280
    .language:       OpenCL C
    .language_version:
      - 2
      - 0
    .max_flat_workgroup_size: 1024
    .name:           _Z12rdsmh_kernelIdEvPKT_PS0_S0_
    .private_segment_fixed_size: 0
    .sgpr_count:     42
    .sgpr_spill_count: 0
    .symbol:         _Z12rdsmh_kernelIdEvPKT_PS0_S0_.kd
    .uniform_work_group_size: 1
    .uses_dynamic_stack: false
    .vgpr_count:     23
    .vgpr_spill_count: 0
    .wavefront_size: 64
  - .args:
      - .address_space:  global
        .offset:         0
        .size:           8
        .value_kind:     global_buffer
      - .address_space:  global
        .offset:         8
        .size:           8
        .value_kind:     global_buffer
      - .address_space:  global
        .offset:         16
        .size:           8
        .value_kind:     global_buffer
      - .address_space:  global
        .offset:         24
        .size:           8
        .value_kind:     global_buffer
      - .offset:         32
        .size:           8
        .value_kind:     by_value
      - .offset:         40
        .size:           8
        .value_kind:     by_value
      - .offset:         48
        .size:           4
        .value_kind:     hidden_block_count_x
      - .offset:         52
        .size:           4
        .value_kind:     hidden_block_count_y
      - .offset:         56
        .size:           4
        .value_kind:     hidden_block_count_z
      - .offset:         60
        .size:           2
        .value_kind:     hidden_group_size_x
      - .offset:         62
        .size:           2
        .value_kind:     hidden_group_size_y
      - .offset:         64
        .size:           2
        .value_kind:     hidden_group_size_z
      - .offset:         66
        .size:           2
        .value_kind:     hidden_remainder_x
      - .offset:         68
        .size:           2
        .value_kind:     hidden_remainder_y
      - .offset:         70
        .size:           2
        .value_kind:     hidden_remainder_z
      - .offset:         88
        .size:           8
        .value_kind:     hidden_global_offset_x
      - .offset:         96
        .size:           8
        .value_kind:     hidden_global_offset_y
      - .offset:         104
        .size:           8
        .value_kind:     hidden_global_offset_z
      - .offset:         112
        .size:           2
        .value_kind:     hidden_grid_dims
    .group_segment_fixed_size: 0
    .kernarg_segment_align: 8
    .kernarg_segment_size: 304
    .language:       OpenCL C
    .language_version:
      - 2
      - 0
    .max_flat_workgroup_size: 1024
    .name:           _Z7gr_baseIdEvPKT_S2_S2_PS0_S0_S0_
    .private_segment_fixed_size: 0
    .sgpr_count:     21
    .sgpr_spill_count: 0
    .symbol:         _Z7gr_baseIdEvPKT_S2_S2_PS0_S0_S0_.kd
    .uniform_work_group_size: 1
    .uses_dynamic_stack: false
    .vgpr_count:     50
    .vgpr_spill_count: 0
    .wavefront_size: 64
  - .args:
      - .actual_access:  read_only
        .address_space:  global
        .offset:         0
        .size:           8
        .value_kind:     global_buffer
      - .actual_access:  read_only
        .address_space:  global
        .offset:         8
        .size:           8
        .value_kind:     global_buffer
      - .actual_access:  write_only
        .address_space:  global
        .offset:         16
        .size:           8
        .value_kind:     global_buffer
      - .actual_access:  read_only
        .address_space:  global
        .offset:         24
        .size:           8
        .value_kind:     global_buffer
      - .offset:         32
        .size:           8
        .value_kind:     by_value
      - .offset:         40
        .size:           4
        .value_kind:     hidden_block_count_x
      - .offset:         44
        .size:           4
        .value_kind:     hidden_block_count_y
      - .offset:         48
        .size:           4
        .value_kind:     hidden_block_count_z
      - .offset:         52
        .size:           2
        .value_kind:     hidden_group_size_x
      - .offset:         54
        .size:           2
        .value_kind:     hidden_group_size_y
      - .offset:         56
        .size:           2
        .value_kind:     hidden_group_size_z
      - .offset:         58
        .size:           2
        .value_kind:     hidden_remainder_x
      - .offset:         60
        .size:           2
        .value_kind:     hidden_remainder_y
      - .offset:         62
        .size:           2
        .value_kind:     hidden_remainder_z
      - .offset:         80
        .size:           8
        .value_kind:     hidden_global_offset_x
      - .offset:         88
        .size:           8
        .value_kind:     hidden_global_offset_y
      - .offset:         96
        .size:           8
        .value_kind:     hidden_global_offset_z
      - .offset:         104
        .size:           2
        .value_kind:     hidden_grid_dims
    .group_segment_fixed_size: 0
    .kernarg_segment_align: 8
    .kernarg_segment_size: 296
    .language:       OpenCL C
    .language_version:
      - 2
      - 0
    .max_flat_workgroup_size: 1024
    .name:           _Z12ratt2_kernelIdEvPKT_S2_PS0_S2_S0_
    .private_segment_fixed_size: 0
    .sgpr_count:     20
    .sgpr_spill_count: 0
    .symbol:         _Z12ratt2_kernelIdEvPKT_S2_PS0_S2_S0_.kd
    .uniform_work_group_size: 1
    .uses_dynamic_stack: false
    .vgpr_count:     55
    .vgpr_spill_count: 0
    .wavefront_size: 64
  - .args:
      - .actual_access:  read_only
        .address_space:  global
        .offset:         0
        .size:           8
        .value_kind:     global_buffer
      - .actual_access:  read_only
        .address_space:  global
        .offset:         8
        .size:           8
        .value_kind:     global_buffer
      - .actual_access:  write_only
        .address_space:  global
        .offset:         16
        .size:           8
        .value_kind:     global_buffer
      - .actual_access:  read_only
        .address_space:  global
        .offset:         24
        .size:           8
        .value_kind:     global_buffer
      - .offset:         32
        .size:           8
        .value_kind:     by_value
      - .offset:         40
        .size:           4
        .value_kind:     hidden_block_count_x
      - .offset:         44
        .size:           4
        .value_kind:     hidden_block_count_y
      - .offset:         48
        .size:           4
        .value_kind:     hidden_block_count_z
      - .offset:         52
        .size:           2
        .value_kind:     hidden_group_size_x
      - .offset:         54
        .size:           2
        .value_kind:     hidden_group_size_y
      - .offset:         56
        .size:           2
        .value_kind:     hidden_group_size_z
      - .offset:         58
        .size:           2
        .value_kind:     hidden_remainder_x
      - .offset:         60
        .size:           2
        .value_kind:     hidden_remainder_y
      - .offset:         62
        .size:           2
        .value_kind:     hidden_remainder_z
      - .offset:         80
        .size:           8
        .value_kind:     hidden_global_offset_x
      - .offset:         88
        .size:           8
        .value_kind:     hidden_global_offset_y
      - .offset:         96
        .size:           8
        .value_kind:     hidden_global_offset_z
      - .offset:         104
        .size:           2
        .value_kind:     hidden_grid_dims
    .group_segment_fixed_size: 0
    .kernarg_segment_align: 8
    .kernarg_segment_size: 296
    .language:       OpenCL C
    .language_version:
      - 2
      - 0
    .max_flat_workgroup_size: 1024
    .name:           _Z12ratt3_kernelIdEvPKT_S2_PS0_S2_S0_
    .private_segment_fixed_size: 12
    .sgpr_count:     24
    .sgpr_spill_count: 0
    .symbol:         _Z12ratt3_kernelIdEvPKT_S2_PS0_S2_S0_.kd
    .uniform_work_group_size: 1
    .uses_dynamic_stack: false
    .vgpr_count:     64
    .vgpr_spill_count: 2
    .wavefront_size: 64
  - .args:
      - .actual_access:  read_only
        .address_space:  global
        .offset:         0
        .size:           8
        .value_kind:     global_buffer
      - .actual_access:  read_only
        .address_space:  global
        .offset:         8
        .size:           8
        .value_kind:     global_buffer
      - .actual_access:  write_only
        .address_space:  global
        .offset:         16
        .size:           8
        .value_kind:     global_buffer
      - .actual_access:  read_only
        .address_space:  global
        .offset:         24
        .size:           8
        .value_kind:     global_buffer
      - .offset:         32
        .size:           8
        .value_kind:     by_value
      - .offset:         40
        .size:           4
        .value_kind:     hidden_block_count_x
      - .offset:         44
        .size:           4
        .value_kind:     hidden_block_count_y
      - .offset:         48
        .size:           4
        .value_kind:     hidden_block_count_z
      - .offset:         52
        .size:           2
        .value_kind:     hidden_group_size_x
      - .offset:         54
        .size:           2
        .value_kind:     hidden_group_size_y
      - .offset:         56
        .size:           2
        .value_kind:     hidden_group_size_z
      - .offset:         58
        .size:           2
        .value_kind:     hidden_remainder_x
      - .offset:         60
        .size:           2
        .value_kind:     hidden_remainder_y
      - .offset:         62
        .size:           2
        .value_kind:     hidden_remainder_z
      - .offset:         80
        .size:           8
        .value_kind:     hidden_global_offset_x
      - .offset:         88
        .size:           8
        .value_kind:     hidden_global_offset_y
      - .offset:         96
        .size:           8
        .value_kind:     hidden_global_offset_z
      - .offset:         104
        .size:           2
        .value_kind:     hidden_grid_dims
    .group_segment_fixed_size: 0
    .kernarg_segment_align: 8
    .kernarg_segment_size: 296
    .language:       OpenCL C
    .language_version:
      - 2
      - 0
    .max_flat_workgroup_size: 1024
    .name:           _Z12ratt4_kernelIdEvPKT_S2_PS0_S2_S0_
    .private_segment_fixed_size: 0
    .sgpr_count:     20
    .sgpr_spill_count: 0
    .symbol:         _Z12ratt4_kernelIdEvPKT_S2_PS0_S2_S0_.kd
    .uniform_work_group_size: 1
    .uses_dynamic_stack: false
    .vgpr_count:     63
    .vgpr_spill_count: 0
    .wavefront_size: 64
  - .args:
      - .actual_access:  read_only
        .address_space:  global
        .offset:         0
        .size:           8
        .value_kind:     global_buffer
      - .actual_access:  read_only
        .address_space:  global
        .offset:         8
        .size:           8
        .value_kind:     global_buffer
      - .actual_access:  write_only
        .address_space:  global
        .offset:         16
        .size:           8
        .value_kind:     global_buffer
      - .actual_access:  read_only
        .address_space:  global
        .offset:         24
        .size:           8
        .value_kind:     global_buffer
      - .offset:         32
        .size:           8
        .value_kind:     by_value
      - .offset:         40
        .size:           4
        .value_kind:     hidden_block_count_x
      - .offset:         44
        .size:           4
        .value_kind:     hidden_block_count_y
      - .offset:         48
        .size:           4
        .value_kind:     hidden_block_count_z
      - .offset:         52
        .size:           2
        .value_kind:     hidden_group_size_x
      - .offset:         54
        .size:           2
        .value_kind:     hidden_group_size_y
      - .offset:         56
        .size:           2
        .value_kind:     hidden_group_size_z
      - .offset:         58
        .size:           2
        .value_kind:     hidden_remainder_x
      - .offset:         60
        .size:           2
        .value_kind:     hidden_remainder_y
      - .offset:         62
        .size:           2
        .value_kind:     hidden_remainder_z
      - .offset:         80
        .size:           8
        .value_kind:     hidden_global_offset_x
      - .offset:         88
        .size:           8
        .value_kind:     hidden_global_offset_y
      - .offset:         96
        .size:           8
        .value_kind:     hidden_global_offset_z
      - .offset:         104
        .size:           2
        .value_kind:     hidden_grid_dims
    .group_segment_fixed_size: 0
    .kernarg_segment_align: 8
    .kernarg_segment_size: 296
    .language:       OpenCL C
    .language_version:
      - 2
      - 0
    .max_flat_workgroup_size: 1024
    .name:           _Z12ratt5_kernelIdEvPKT_S2_PS0_S2_S0_
    .private_segment_fixed_size: 0
    .sgpr_count:     20
    .sgpr_spill_count: 0
    .symbol:         _Z12ratt5_kernelIdEvPKT_S2_PS0_S2_S0_.kd
    .uniform_work_group_size: 1
    .uses_dynamic_stack: false
    .vgpr_count:     64
    .vgpr_spill_count: 0
    .wavefront_size: 64
  - .args:
      - .actual_access:  read_only
        .address_space:  global
        .offset:         0
        .size:           8
        .value_kind:     global_buffer
      - .actual_access:  read_only
        .address_space:  global
        .offset:         8
        .size:           8
        .value_kind:     global_buffer
      - .actual_access:  write_only
        .address_space:  global
        .offset:         16
        .size:           8
        .value_kind:     global_buffer
      - .actual_access:  read_only
        .address_space:  global
        .offset:         24
        .size:           8
        .value_kind:     global_buffer
      - .offset:         32
        .size:           8
        .value_kind:     by_value
      - .offset:         40
        .size:           4
        .value_kind:     hidden_block_count_x
      - .offset:         44
        .size:           4
        .value_kind:     hidden_block_count_y
      - .offset:         48
        .size:           4
        .value_kind:     hidden_block_count_z
      - .offset:         52
        .size:           2
        .value_kind:     hidden_group_size_x
      - .offset:         54
        .size:           2
        .value_kind:     hidden_group_size_y
      - .offset:         56
        .size:           2
        .value_kind:     hidden_group_size_z
      - .offset:         58
        .size:           2
        .value_kind:     hidden_remainder_x
      - .offset:         60
        .size:           2
        .value_kind:     hidden_remainder_y
      - .offset:         62
        .size:           2
        .value_kind:     hidden_remainder_z
      - .offset:         80
        .size:           8
        .value_kind:     hidden_global_offset_x
      - .offset:         88
        .size:           8
        .value_kind:     hidden_global_offset_y
      - .offset:         96
        .size:           8
        .value_kind:     hidden_global_offset_z
      - .offset:         104
        .size:           2
        .value_kind:     hidden_grid_dims
    .group_segment_fixed_size: 0
    .kernarg_segment_align: 8
    .kernarg_segment_size: 296
    .language:       OpenCL C
    .language_version:
      - 2
      - 0
    .max_flat_workgroup_size: 1024
    .name:           _Z12ratt6_kernelIdEvPKT_S2_PS0_S2_S0_
    .private_segment_fixed_size: 0
    .sgpr_count:     20
    .sgpr_spill_count: 0
    .symbol:         _Z12ratt6_kernelIdEvPKT_S2_PS0_S2_S0_.kd
    .uniform_work_group_size: 1
    .uses_dynamic_stack: false
    .vgpr_count:     55
    .vgpr_spill_count: 0
    .wavefront_size: 64
  - .args:
      - .actual_access:  read_only
        .address_space:  global
        .offset:         0
        .size:           8
        .value_kind:     global_buffer
      - .actual_access:  read_only
        .address_space:  global
        .offset:         8
        .size:           8
        .value_kind:     global_buffer
      - .actual_access:  write_only
        .address_space:  global
        .offset:         16
        .size:           8
        .value_kind:     global_buffer
      - .actual_access:  read_only
        .address_space:  global
        .offset:         24
        .size:           8
        .value_kind:     global_buffer
      - .offset:         32
        .size:           8
        .value_kind:     by_value
      - .offset:         40
        .size:           4
        .value_kind:     hidden_block_count_x
      - .offset:         44
        .size:           4
        .value_kind:     hidden_block_count_y
      - .offset:         48
        .size:           4
        .value_kind:     hidden_block_count_z
      - .offset:         52
        .size:           2
        .value_kind:     hidden_group_size_x
      - .offset:         54
        .size:           2
        .value_kind:     hidden_group_size_y
      - .offset:         56
        .size:           2
        .value_kind:     hidden_group_size_z
      - .offset:         58
        .size:           2
        .value_kind:     hidden_remainder_x
      - .offset:         60
        .size:           2
        .value_kind:     hidden_remainder_y
      - .offset:         62
        .size:           2
        .value_kind:     hidden_remainder_z
      - .offset:         80
        .size:           8
        .value_kind:     hidden_global_offset_x
      - .offset:         88
        .size:           8
        .value_kind:     hidden_global_offset_y
      - .offset:         96
        .size:           8
        .value_kind:     hidden_global_offset_z
      - .offset:         104
        .size:           2
        .value_kind:     hidden_grid_dims
    .group_segment_fixed_size: 0
    .kernarg_segment_align: 8
    .kernarg_segment_size: 296
    .language:       OpenCL C
    .language_version:
      - 2
      - 0
    .max_flat_workgroup_size: 1024
    .name:           _Z12ratt7_kernelIdEvPKT_S2_PS0_S2_S0_
    .private_segment_fixed_size: 0
    .sgpr_count:     20
    .sgpr_spill_count: 0
    .symbol:         _Z12ratt7_kernelIdEvPKT_S2_PS0_S2_S0_.kd
    .uniform_work_group_size: 1
    .uses_dynamic_stack: false
    .vgpr_count:     59
    .vgpr_spill_count: 0
    .wavefront_size: 64
  - .args:
      - .actual_access:  read_only
        .address_space:  global
        .offset:         0
        .size:           8
        .value_kind:     global_buffer
      - .actual_access:  read_only
        .address_space:  global
        .offset:         8
        .size:           8
        .value_kind:     global_buffer
      - .actual_access:  write_only
        .address_space:  global
        .offset:         16
        .size:           8
        .value_kind:     global_buffer
      - .actual_access:  read_only
        .address_space:  global
        .offset:         24
        .size:           8
        .value_kind:     global_buffer
      - .offset:         32
        .size:           8
        .value_kind:     by_value
      - .offset:         40
        .size:           4
        .value_kind:     hidden_block_count_x
      - .offset:         44
        .size:           4
        .value_kind:     hidden_block_count_y
      - .offset:         48
        .size:           4
        .value_kind:     hidden_block_count_z
      - .offset:         52
        .size:           2
        .value_kind:     hidden_group_size_x
      - .offset:         54
        .size:           2
        .value_kind:     hidden_group_size_y
      - .offset:         56
        .size:           2
        .value_kind:     hidden_group_size_z
      - .offset:         58
        .size:           2
        .value_kind:     hidden_remainder_x
      - .offset:         60
        .size:           2
        .value_kind:     hidden_remainder_y
      - .offset:         62
        .size:           2
        .value_kind:     hidden_remainder_z
      - .offset:         80
        .size:           8
        .value_kind:     hidden_global_offset_x
      - .offset:         88
        .size:           8
        .value_kind:     hidden_global_offset_y
      - .offset:         96
        .size:           8
        .value_kind:     hidden_global_offset_z
      - .offset:         104
        .size:           2
        .value_kind:     hidden_grid_dims
    .group_segment_fixed_size: 0
    .kernarg_segment_align: 8
    .kernarg_segment_size: 296
    .language:       OpenCL C
    .language_version:
      - 2
      - 0
    .max_flat_workgroup_size: 1024
    .name:           _Z12ratt8_kernelIdEvPKT_S2_PS0_S2_S0_
    .private_segment_fixed_size: 0
    .sgpr_count:     22
    .sgpr_spill_count: 0
    .symbol:         _Z12ratt8_kernelIdEvPKT_S2_PS0_S2_S0_.kd
    .uniform_work_group_size: 1
    .uses_dynamic_stack: false
    .vgpr_count:     63
    .vgpr_spill_count: 0
    .wavefront_size: 64
  - .args:
      - .actual_access:  read_only
        .address_space:  global
        .offset:         0
        .size:           8
        .value_kind:     global_buffer
      - .actual_access:  read_only
        .address_space:  global
        .offset:         8
        .size:           8
        .value_kind:     global_buffer
      - .actual_access:  write_only
        .address_space:  global
        .offset:         16
        .size:           8
        .value_kind:     global_buffer
      - .actual_access:  read_only
        .address_space:  global
        .offset:         24
        .size:           8
        .value_kind:     global_buffer
      - .offset:         32
        .size:           8
        .value_kind:     by_value
      - .offset:         40
        .size:           4
        .value_kind:     hidden_block_count_x
      - .offset:         44
        .size:           4
        .value_kind:     hidden_block_count_y
      - .offset:         48
        .size:           4
        .value_kind:     hidden_block_count_z
      - .offset:         52
        .size:           2
        .value_kind:     hidden_group_size_x
      - .offset:         54
        .size:           2
        .value_kind:     hidden_group_size_y
      - .offset:         56
        .size:           2
        .value_kind:     hidden_group_size_z
      - .offset:         58
        .size:           2
        .value_kind:     hidden_remainder_x
      - .offset:         60
        .size:           2
        .value_kind:     hidden_remainder_y
      - .offset:         62
        .size:           2
        .value_kind:     hidden_remainder_z
      - .offset:         80
        .size:           8
        .value_kind:     hidden_global_offset_x
      - .offset:         88
        .size:           8
        .value_kind:     hidden_global_offset_y
      - .offset:         96
        .size:           8
        .value_kind:     hidden_global_offset_z
      - .offset:         104
        .size:           2
        .value_kind:     hidden_grid_dims
    .group_segment_fixed_size: 0
    .kernarg_segment_align: 8
    .kernarg_segment_size: 296
    .language:       OpenCL C
    .language_version:
      - 2
      - 0
    .max_flat_workgroup_size: 1024
    .name:           _Z12ratt9_kernelIdEvPKT_S2_PS0_S2_S0_
    .private_segment_fixed_size: 28
    .sgpr_count:     24
    .sgpr_spill_count: 0
    .symbol:         _Z12ratt9_kernelIdEvPKT_S2_PS0_S2_S0_.kd
    .uniform_work_group_size: 1
    .uses_dynamic_stack: false
    .vgpr_count:     64
    .vgpr_spill_count: 6
    .wavefront_size: 64
  - .args:
      - .actual_access:  read_only
        .address_space:  global
        .offset:         0
        .size:           8
        .value_kind:     global_buffer
      - .actual_access:  write_only
        .address_space:  global
        .offset:         8
        .size:           8
        .value_kind:     global_buffer
      - .offset:         16
        .size:           8
        .value_kind:     by_value
      - .offset:         24
        .size:           4
        .value_kind:     hidden_block_count_x
      - .offset:         28
        .size:           4
        .value_kind:     hidden_block_count_y
      - .offset:         32
        .size:           4
        .value_kind:     hidden_block_count_z
      - .offset:         36
        .size:           2
        .value_kind:     hidden_group_size_x
      - .offset:         38
        .size:           2
        .value_kind:     hidden_group_size_y
      - .offset:         40
        .size:           2
        .value_kind:     hidden_group_size_z
      - .offset:         42
        .size:           2
        .value_kind:     hidden_remainder_x
      - .offset:         44
        .size:           2
        .value_kind:     hidden_remainder_y
      - .offset:         46
        .size:           2
        .value_kind:     hidden_remainder_z
      - .offset:         64
        .size:           8
        .value_kind:     hidden_global_offset_x
      - .offset:         72
        .size:           8
        .value_kind:     hidden_global_offset_y
      - .offset:         80
        .size:           8
        .value_kind:     hidden_global_offset_z
      - .offset:         88
        .size:           2
        .value_kind:     hidden_grid_dims
    .group_segment_fixed_size: 0
    .kernarg_segment_align: 8
    .kernarg_segment_size: 280
    .language:       OpenCL C
    .language_version:
      - 2
      - 0
    .max_flat_workgroup_size: 1024
    .name:           _Z13ratt10_kernelIdEvPKT_PS0_S0_
    .private_segment_fixed_size: 0
    .sgpr_count:     46
    .sgpr_spill_count: 0
    .symbol:         _Z13ratt10_kernelIdEvPKT_PS0_S0_.kd
    .uniform_work_group_size: 1
    .uses_dynamic_stack: false
    .vgpr_count:     21
    .vgpr_spill_count: 0
    .wavefront_size: 64
  - .args:
      - .actual_access:  read_only
        .address_space:  global
        .offset:         0
        .size:           8
        .value_kind:     global_buffer
      - .actual_access:  read_only
        .address_space:  global
        .offset:         8
        .size:           8
        .value_kind:     global_buffer
      - .address_space:  global
        .offset:         16
        .size:           8
        .value_kind:     global_buffer
      - .address_space:  global
        .offset:         24
        .size:           8
        .value_kind:     global_buffer
      - .actual_access:  read_only
        .address_space:  global
        .offset:         32
        .size:           8
        .value_kind:     global_buffer
      - .offset:         40
        .size:           8
        .value_kind:     by_value
      - .offset:         48
        .size:           4
        .value_kind:     hidden_block_count_x
      - .offset:         52
        .size:           4
        .value_kind:     hidden_block_count_y
      - .offset:         56
        .size:           4
        .value_kind:     hidden_block_count_z
      - .offset:         60
        .size:           2
        .value_kind:     hidden_group_size_x
      - .offset:         62
        .size:           2
        .value_kind:     hidden_group_size_y
      - .offset:         64
        .size:           2
        .value_kind:     hidden_group_size_z
      - .offset:         66
        .size:           2
        .value_kind:     hidden_remainder_x
      - .offset:         68
        .size:           2
        .value_kind:     hidden_remainder_y
      - .offset:         70
        .size:           2
        .value_kind:     hidden_remainder_z
      - .offset:         88
        .size:           8
        .value_kind:     hidden_global_offset_x
      - .offset:         96
        .size:           8
        .value_kind:     hidden_global_offset_y
      - .offset:         104
        .size:           8
        .value_kind:     hidden_global_offset_z
      - .offset:         112
        .size:           2
        .value_kind:     hidden_grid_dims
    .group_segment_fixed_size: 0
    .kernarg_segment_align: 8
    .kernarg_segment_size: 304
    .language:       OpenCL C
    .language_version:
      - 2
      - 0
    .max_flat_workgroup_size: 1024
    .name:           _Z11ratx_kernelIdEvPKT_S2_PS0_S3_S2_S0_
    .private_segment_fixed_size: 12
    .sgpr_count:     88
    .sgpr_spill_count: 0
    .symbol:         _Z11ratx_kernelIdEvPKT_S2_PS0_S3_S2_S0_.kd
    .uniform_work_group_size: 1
    .uses_dynamic_stack: false
    .vgpr_count:     64
    .vgpr_spill_count: 2
    .wavefront_size: 64
  - .args:
      - .actual_access:  read_only
        .address_space:  global
        .offset:         0
        .size:           8
        .value_kind:     global_buffer
      - .actual_access:  read_only
        .address_space:  global
        .offset:         8
        .size:           8
        .value_kind:     global_buffer
      - .address_space:  global
        .offset:         16
        .size:           8
        .value_kind:     global_buffer
      - .address_space:  global
        .offset:         24
        .size:           8
        .value_kind:     global_buffer
      - .actual_access:  read_only
        .address_space:  global
        .offset:         32
        .size:           8
        .value_kind:     global_buffer
      - .offset:         40
        .size:           8
        .value_kind:     by_value
      - .offset:         48
        .size:           4
        .value_kind:     hidden_block_count_x
      - .offset:         52
        .size:           4
        .value_kind:     hidden_block_count_y
      - .offset:         56
        .size:           4
        .value_kind:     hidden_block_count_z
      - .offset:         60
        .size:           2
        .value_kind:     hidden_group_size_x
      - .offset:         62
        .size:           2
        .value_kind:     hidden_group_size_y
      - .offset:         64
        .size:           2
        .value_kind:     hidden_group_size_z
      - .offset:         66
        .size:           2
        .value_kind:     hidden_remainder_x
      - .offset:         68
        .size:           2
        .value_kind:     hidden_remainder_y
      - .offset:         70
        .size:           2
        .value_kind:     hidden_remainder_z
      - .offset:         88
        .size:           8
        .value_kind:     hidden_global_offset_x
      - .offset:         96
        .size:           8
        .value_kind:     hidden_global_offset_y
      - .offset:         104
        .size:           8
        .value_kind:     hidden_global_offset_z
      - .offset:         112
        .size:           2
        .value_kind:     hidden_grid_dims
    .group_segment_fixed_size: 0
    .kernarg_segment_align: 8
    .kernarg_segment_size: 304
    .language:       OpenCL C
    .language_version:
      - 2
      - 0
    .max_flat_workgroup_size: 1024
    .name:           _Z12ratxb_kernelIdEvPKT_S2_PS0_S3_S2_S0_
    .private_segment_fixed_size: 44
    .sgpr_count:     96
    .sgpr_spill_count: 0
    .symbol:         _Z12ratxb_kernelIdEvPKT_S2_PS0_S3_S2_S0_.kd
    .uniform_work_group_size: 1
    .uses_dynamic_stack: false
    .vgpr_count:     63
    .vgpr_spill_count: 10
    .wavefront_size: 64
  - .args:
      - .actual_access:  read_only
        .address_space:  global
        .offset:         0
        .size:           8
        .value_kind:     global_buffer
      - .address_space:  global
        .offset:         8
        .size:           8
        .value_kind:     global_buffer
      - .actual_access:  read_only
        .address_space:  global
        .offset:         16
        .size:           8
        .value_kind:     global_buffer
      - .offset:         24
        .size:           4
        .value_kind:     hidden_block_count_x
      - .offset:         28
        .size:           4
        .value_kind:     hidden_block_count_y
      - .offset:         32
        .size:           4
        .value_kind:     hidden_block_count_z
      - .offset:         36
        .size:           2
        .value_kind:     hidden_group_size_x
      - .offset:         38
        .size:           2
        .value_kind:     hidden_group_size_y
      - .offset:         40
        .size:           2
        .value_kind:     hidden_group_size_z
      - .offset:         42
        .size:           2
        .value_kind:     hidden_remainder_x
      - .offset:         44
        .size:           2
        .value_kind:     hidden_remainder_y
      - .offset:         46
        .size:           2
        .value_kind:     hidden_remainder_z
      - .offset:         64
        .size:           8
        .value_kind:     hidden_global_offset_x
      - .offset:         72
        .size:           8
        .value_kind:     hidden_global_offset_y
      - .offset:         80
        .size:           8
        .value_kind:     hidden_global_offset_z
      - .offset:         88
        .size:           2
        .value_kind:     hidden_grid_dims
    .group_segment_fixed_size: 0
    .kernarg_segment_align: 8
    .kernarg_segment_size: 280
    .language:       OpenCL C
    .language_version:
      - 2
      - 0
    .max_flat_workgroup_size: 1024
    .name:           _Z12ratx2_kernelIdEvPKT_PS0_S3_
    .private_segment_fixed_size: 0
    .sgpr_count:     13
    .sgpr_spill_count: 0
    .symbol:         _Z12ratx2_kernelIdEvPKT_PS0_S3_.kd
    .uniform_work_group_size: 1
    .uses_dynamic_stack: false
    .vgpr_count:     56
    .vgpr_spill_count: 0
    .wavefront_size: 64
  - .args:
      - .actual_access:  read_only
        .address_space:  global
        .offset:         0
        .size:           8
        .value_kind:     global_buffer
      - .actual_access:  read_only
        .address_space:  global
        .offset:         8
        .size:           8
        .value_kind:     global_buffer
      - .address_space:  global
        .offset:         16
        .size:           8
        .value_kind:     global_buffer
      - .offset:         24
        .size:           4
        .value_kind:     hidden_block_count_x
      - .offset:         28
        .size:           4
        .value_kind:     hidden_block_count_y
      - .offset:         32
        .size:           4
        .value_kind:     hidden_block_count_z
      - .offset:         36
        .size:           2
        .value_kind:     hidden_group_size_x
      - .offset:         38
        .size:           2
        .value_kind:     hidden_group_size_y
      - .offset:         40
        .size:           2
        .value_kind:     hidden_group_size_z
      - .offset:         42
        .size:           2
        .value_kind:     hidden_remainder_x
      - .offset:         44
        .size:           2
        .value_kind:     hidden_remainder_y
      - .offset:         46
        .size:           2
        .value_kind:     hidden_remainder_z
      - .offset:         64
        .size:           8
        .value_kind:     hidden_global_offset_x
      - .offset:         72
        .size:           8
        .value_kind:     hidden_global_offset_y
      - .offset:         80
        .size:           8
        .value_kind:     hidden_global_offset_z
      - .offset:         88
        .size:           2
        .value_kind:     hidden_grid_dims
    .group_segment_fixed_size: 0
    .kernarg_segment_align: 8
    .kernarg_segment_size: 280
    .language:       OpenCL C
    .language_version:
      - 2
      - 0
    .max_flat_workgroup_size: 1024
    .name:           _Z12ratx4_kernelIdEvPKT_PS0_S3_
    .private_segment_fixed_size: 0
    .sgpr_count:     13
    .sgpr_spill_count: 0
    .symbol:         _Z12ratx4_kernelIdEvPKT_PS0_S3_.kd
    .uniform_work_group_size: 1
    .uses_dynamic_stack: false
    .vgpr_count:     64
    .vgpr_spill_count: 0
    .wavefront_size: 64
  - .args:
      - .address_space:  global
        .offset:         0
        .size:           8
        .value_kind:     global_buffer
      - .address_space:  global
        .offset:         8
        .size:           8
        .value_kind:     global_buffer
      - .actual_access:  write_only
        .address_space:  global
        .offset:         16
        .size:           8
        .value_kind:     global_buffer
      - .offset:         24
        .size:           4
        .value_kind:     hidden_block_count_x
      - .offset:         28
        .size:           4
        .value_kind:     hidden_block_count_y
      - .offset:         32
        .size:           4
        .value_kind:     hidden_block_count_z
      - .offset:         36
        .size:           2
        .value_kind:     hidden_group_size_x
      - .offset:         38
        .size:           2
        .value_kind:     hidden_group_size_y
      - .offset:         40
        .size:           2
        .value_kind:     hidden_group_size_z
      - .offset:         42
        .size:           2
        .value_kind:     hidden_remainder_x
      - .offset:         44
        .size:           2
        .value_kind:     hidden_remainder_y
      - .offset:         46
        .size:           2
        .value_kind:     hidden_remainder_z
      - .offset:         64
        .size:           8
        .value_kind:     hidden_global_offset_x
      - .offset:         72
        .size:           8
        .value_kind:     hidden_global_offset_y
      - .offset:         80
        .size:           8
        .value_kind:     hidden_global_offset_z
      - .offset:         88
        .size:           2
        .value_kind:     hidden_grid_dims
    .group_segment_fixed_size: 0
    .kernarg_segment_align: 8
    .kernarg_segment_size: 280
    .language:       OpenCL C
    .language_version:
      - 2
      - 0
    .max_flat_workgroup_size: 1024
    .name:           _Z11qssa_kernelIdEvPT_S1_S1_
    .private_segment_fixed_size: 348
    .sgpr_count:     28
    .sgpr_spill_count: 0
    .symbol:         _Z11qssa_kernelIdEvPT_S1_S1_.kd
    .uniform_work_group_size: 1
    .uses_dynamic_stack: false
    .vgpr_count:     64
    .vgpr_spill_count: 112
    .wavefront_size: 64
  - .args:
      - .actual_access:  read_only
        .address_space:  global
        .offset:         0
        .size:           8
        .value_kind:     global_buffer
      - .actual_access:  read_only
        .address_space:  global
        .offset:         8
        .size:           8
        .value_kind:     global_buffer
      - .address_space:  global
        .offset:         16
        .size:           8
        .value_kind:     global_buffer
      - .offset:         24
        .size:           4
        .value_kind:     hidden_block_count_x
      - .offset:         28
        .size:           4
        .value_kind:     hidden_block_count_y
      - .offset:         32
        .size:           4
        .value_kind:     hidden_block_count_z
      - .offset:         36
        .size:           2
        .value_kind:     hidden_group_size_x
      - .offset:         38
        .size:           2
        .value_kind:     hidden_group_size_y
      - .offset:         40
        .size:           2
        .value_kind:     hidden_group_size_z
      - .offset:         42
        .size:           2
        .value_kind:     hidden_remainder_x
      - .offset:         44
        .size:           2
        .value_kind:     hidden_remainder_y
      - .offset:         46
        .size:           2
        .value_kind:     hidden_remainder_z
      - .offset:         64
        .size:           8
        .value_kind:     hidden_global_offset_x
      - .offset:         72
        .size:           8
        .value_kind:     hidden_global_offset_y
      - .offset:         80
        .size:           8
        .value_kind:     hidden_global_offset_z
      - .offset:         88
        .size:           2
        .value_kind:     hidden_grid_dims
    .group_segment_fixed_size: 0
    .kernarg_segment_align: 8
    .kernarg_segment_size: 280
    .language:       OpenCL C
    .language_version:
      - 2
      - 0
    .max_flat_workgroup_size: 1024
    .name:           _Z12qssab_kernelIdEvPT_S1_S1_
    .private_segment_fixed_size: 0
    .sgpr_count:     16
    .sgpr_spill_count: 0
    .symbol:         _Z12qssab_kernelIdEvPT_S1_S1_.kd
    .uniform_work_group_size: 1
    .uses_dynamic_stack: false
    .vgpr_count:     62
    .vgpr_spill_count: 0
    .wavefront_size: 64
  - .args:
      - .address_space:  global
        .offset:         0
        .size:           8
        .value_kind:     global_buffer
      - .address_space:  global
        .offset:         8
        .size:           8
        .value_kind:     global_buffer
      - .actual_access:  read_only
        .address_space:  global
        .offset:         16
        .size:           8
        .value_kind:     global_buffer
      - .offset:         24
        .size:           4
        .value_kind:     hidden_block_count_x
      - .offset:         28
        .size:           4
        .value_kind:     hidden_block_count_y
      - .offset:         32
        .size:           4
        .value_kind:     hidden_block_count_z
      - .offset:         36
        .size:           2
        .value_kind:     hidden_group_size_x
      - .offset:         38
        .size:           2
        .value_kind:     hidden_group_size_y
      - .offset:         40
        .size:           2
        .value_kind:     hidden_group_size_z
      - .offset:         42
        .size:           2
        .value_kind:     hidden_remainder_x
      - .offset:         44
        .size:           2
        .value_kind:     hidden_remainder_y
      - .offset:         46
        .size:           2
        .value_kind:     hidden_remainder_z
      - .offset:         64
        .size:           8
        .value_kind:     hidden_global_offset_x
      - .offset:         72
        .size:           8
        .value_kind:     hidden_global_offset_y
      - .offset:         80
        .size:           8
        .value_kind:     hidden_global_offset_z
      - .offset:         88
        .size:           2
        .value_kind:     hidden_grid_dims
    .group_segment_fixed_size: 0
    .kernarg_segment_align: 8
    .kernarg_segment_size: 280
    .language:       OpenCL C
    .language_version:
      - 2
      - 0
    .max_flat_workgroup_size: 1024
    .name:           _Z12qssa2_kernelIdEvPT_S1_PKS0_
    .private_segment_fixed_size: 0
    .sgpr_count:     16
    .sgpr_spill_count: 0
    .symbol:         _Z12qssa2_kernelIdEvPT_S1_PKS0_.kd
    .uniform_work_group_size: 1
    .uses_dynamic_stack: false
    .vgpr_count:     60
    .vgpr_spill_count: 0
    .wavefront_size: 64
  - .args:
      - .actual_access:  read_only
        .address_space:  global
        .offset:         0
        .size:           8
        .value_kind:     global_buffer
      - .actual_access:  read_only
        .address_space:  global
        .offset:         8
        .size:           8
        .value_kind:     global_buffer
      - .actual_access:  write_only
        .address_space:  global
        .offset:         16
        .size:           8
        .value_kind:     global_buffer
      - .offset:         24
        .size:           8
        .value_kind:     by_value
      - .actual_access:  read_only
        .address_space:  global
        .offset:         32
        .size:           8
        .value_kind:     global_buffer
      - .offset:         40
        .size:           4
        .value_kind:     hidden_block_count_x
      - .offset:         44
        .size:           4
        .value_kind:     hidden_block_count_y
      - .offset:         48
        .size:           4
        .value_kind:     hidden_block_count_z
      - .offset:         52
        .size:           2
        .value_kind:     hidden_group_size_x
      - .offset:         54
        .size:           2
        .value_kind:     hidden_group_size_y
      - .offset:         56
        .size:           2
        .value_kind:     hidden_group_size_z
      - .offset:         58
        .size:           2
        .value_kind:     hidden_remainder_x
      - .offset:         60
        .size:           2
        .value_kind:     hidden_remainder_y
      - .offset:         62
        .size:           2
        .value_kind:     hidden_remainder_z
      - .offset:         80
        .size:           8
        .value_kind:     hidden_global_offset_x
      - .offset:         88
        .size:           8
        .value_kind:     hidden_global_offset_y
      - .offset:         96
        .size:           8
        .value_kind:     hidden_global_offset_z
      - .offset:         104
        .size:           2
        .value_kind:     hidden_grid_dims
    .group_segment_fixed_size: 0
    .kernarg_segment_align: 8
    .kernarg_segment_size: 296
    .language:       OpenCL C
    .language_version:
      - 2
      - 0
    .max_flat_workgroup_size: 1024
    .name:           _Z13rdwdot_kernelIdEvPKT_S2_PS0_S0_S2_
    .private_segment_fixed_size: 0
    .sgpr_count:     22
    .sgpr_spill_count: 0
    .symbol:         _Z13rdwdot_kernelIdEvPKT_S2_PS0_S0_S2_.kd
    .uniform_work_group_size: 1
    .uses_dynamic_stack: false
    .vgpr_count:     16
    .vgpr_spill_count: 0
    .wavefront_size: 64
  - .args:
      - .actual_access:  read_only
        .address_space:  global
        .offset:         0
        .size:           8
        .value_kind:     global_buffer
      - .actual_access:  read_only
        .address_space:  global
        .offset:         8
        .size:           8
        .value_kind:     global_buffer
      - .actual_access:  write_only
        .address_space:  global
        .offset:         16
        .size:           8
        .value_kind:     global_buffer
      - .offset:         24
        .size:           8
        .value_kind:     by_value
      - .actual_access:  read_only
        .address_space:  global
        .offset:         32
        .size:           8
        .value_kind:     global_buffer
      - .offset:         40
        .size:           4
        .value_kind:     hidden_block_count_x
      - .offset:         44
        .size:           4
        .value_kind:     hidden_block_count_y
      - .offset:         48
        .size:           4
        .value_kind:     hidden_block_count_z
      - .offset:         52
        .size:           2
        .value_kind:     hidden_group_size_x
      - .offset:         54
        .size:           2
        .value_kind:     hidden_group_size_y
      - .offset:         56
        .size:           2
        .value_kind:     hidden_group_size_z
      - .offset:         58
        .size:           2
        .value_kind:     hidden_remainder_x
      - .offset:         60
        .size:           2
        .value_kind:     hidden_remainder_y
      - .offset:         62
        .size:           2
        .value_kind:     hidden_remainder_z
      - .offset:         80
        .size:           8
        .value_kind:     hidden_global_offset_x
      - .offset:         88
        .size:           8
        .value_kind:     hidden_global_offset_y
      - .offset:         96
        .size:           8
        .value_kind:     hidden_global_offset_z
      - .offset:         104
        .size:           2
        .value_kind:     hidden_grid_dims
    .group_segment_fixed_size: 0
    .kernarg_segment_align: 8
    .kernarg_segment_size: 296
    .language:       OpenCL C
    .language_version:
      - 2
      - 0
    .max_flat_workgroup_size: 1024
    .name:           _Z14rdwdot2_kernelIdEvPKT_S2_PS0_S0_S2_
    .private_segment_fixed_size: 0
    .sgpr_count:     22
    .sgpr_spill_count: 0
    .symbol:         _Z14rdwdot2_kernelIdEvPKT_S2_PS0_S0_S2_.kd
    .uniform_work_group_size: 1
    .uses_dynamic_stack: false
    .vgpr_count:     26
    .vgpr_spill_count: 0
    .wavefront_size: 64
  - .args:
      - .actual_access:  read_only
        .address_space:  global
        .offset:         0
        .size:           8
        .value_kind:     global_buffer
      - .actual_access:  read_only
        .address_space:  global
        .offset:         8
        .size:           8
        .value_kind:     global_buffer
      - .actual_access:  write_only
        .address_space:  global
        .offset:         16
        .size:           8
        .value_kind:     global_buffer
      - .offset:         24
        .size:           8
        .value_kind:     by_value
      - .actual_access:  read_only
        .address_space:  global
        .offset:         32
        .size:           8
        .value_kind:     global_buffer
      - .offset:         40
        .size:           4
        .value_kind:     hidden_block_count_x
      - .offset:         44
        .size:           4
        .value_kind:     hidden_block_count_y
      - .offset:         48
        .size:           4
        .value_kind:     hidden_block_count_z
      - .offset:         52
        .size:           2
        .value_kind:     hidden_group_size_x
      - .offset:         54
        .size:           2
        .value_kind:     hidden_group_size_y
      - .offset:         56
        .size:           2
        .value_kind:     hidden_group_size_z
      - .offset:         58
        .size:           2
        .value_kind:     hidden_remainder_x
      - .offset:         60
        .size:           2
        .value_kind:     hidden_remainder_y
      - .offset:         62
        .size:           2
        .value_kind:     hidden_remainder_z
      - .offset:         80
        .size:           8
        .value_kind:     hidden_global_offset_x
      - .offset:         88
        .size:           8
        .value_kind:     hidden_global_offset_y
      - .offset:         96
        .size:           8
        .value_kind:     hidden_global_offset_z
      - .offset:         104
        .size:           2
        .value_kind:     hidden_grid_dims
    .group_segment_fixed_size: 0
    .kernarg_segment_align: 8
    .kernarg_segment_size: 296
    .language:       OpenCL C
    .language_version:
      - 2
      - 0
    .max_flat_workgroup_size: 1024
    .name:           _Z14rdwdot3_kernelIdEvPKT_S2_PS0_S0_S2_
    .private_segment_fixed_size: 0
    .sgpr_count:     34
    .sgpr_spill_count: 0
    .symbol:         _Z14rdwdot3_kernelIdEvPKT_S2_PS0_S0_S2_.kd
    .uniform_work_group_size: 1
    .uses_dynamic_stack: false
    .vgpr_count:     39
    .vgpr_spill_count: 0
    .wavefront_size: 64
  - .args:
      - .actual_access:  read_only
        .address_space:  global
        .offset:         0
        .size:           8
        .value_kind:     global_buffer
      - .actual_access:  read_only
        .address_space:  global
        .offset:         8
        .size:           8
        .value_kind:     global_buffer
      - .actual_access:  write_only
        .address_space:  global
        .offset:         16
        .size:           8
        .value_kind:     global_buffer
      - .offset:         24
        .size:           8
        .value_kind:     by_value
      - .actual_access:  read_only
        .address_space:  global
        .offset:         32
        .size:           8
        .value_kind:     global_buffer
      - .offset:         40
        .size:           4
        .value_kind:     hidden_block_count_x
      - .offset:         44
        .size:           4
        .value_kind:     hidden_block_count_y
      - .offset:         48
        .size:           4
        .value_kind:     hidden_block_count_z
      - .offset:         52
        .size:           2
        .value_kind:     hidden_group_size_x
      - .offset:         54
        .size:           2
        .value_kind:     hidden_group_size_y
      - .offset:         56
        .size:           2
        .value_kind:     hidden_group_size_z
      - .offset:         58
        .size:           2
        .value_kind:     hidden_remainder_x
      - .offset:         60
        .size:           2
        .value_kind:     hidden_remainder_y
      - .offset:         62
        .size:           2
        .value_kind:     hidden_remainder_z
      - .offset:         80
        .size:           8
        .value_kind:     hidden_global_offset_x
      - .offset:         88
        .size:           8
        .value_kind:     hidden_global_offset_y
      - .offset:         96
        .size:           8
        .value_kind:     hidden_global_offset_z
      - .offset:         104
        .size:           2
        .value_kind:     hidden_grid_dims
    .group_segment_fixed_size: 0
    .kernarg_segment_align: 8
    .kernarg_segment_size: 296
    .language:       OpenCL C
    .language_version:
      - 2
      - 0
    .max_flat_workgroup_size: 1024
    .name:           _Z14rdwdot6_kernelIdEvPKT_S2_PS0_S0_S2_
    .private_segment_fixed_size: 0
    .sgpr_count:     22
    .sgpr_spill_count: 0
    .symbol:         _Z14rdwdot6_kernelIdEvPKT_S2_PS0_S0_S2_.kd
    .uniform_work_group_size: 1
    .uses_dynamic_stack: false
    .vgpr_count:     23
    .vgpr_spill_count: 0
    .wavefront_size: 64
  - .args:
      - .actual_access:  read_only
        .address_space:  global
        .offset:         0
        .size:           8
        .value_kind:     global_buffer
      - .actual_access:  read_only
        .address_space:  global
        .offset:         8
        .size:           8
        .value_kind:     global_buffer
      - .actual_access:  write_only
        .address_space:  global
        .offset:         16
        .size:           8
        .value_kind:     global_buffer
      - .offset:         24
        .size:           8
        .value_kind:     by_value
      - .actual_access:  read_only
        .address_space:  global
        .offset:         32
        .size:           8
        .value_kind:     global_buffer
      - .offset:         40
        .size:           4
        .value_kind:     hidden_block_count_x
      - .offset:         44
        .size:           4
        .value_kind:     hidden_block_count_y
      - .offset:         48
        .size:           4
        .value_kind:     hidden_block_count_z
      - .offset:         52
        .size:           2
        .value_kind:     hidden_group_size_x
      - .offset:         54
        .size:           2
        .value_kind:     hidden_group_size_y
      - .offset:         56
        .size:           2
        .value_kind:     hidden_group_size_z
      - .offset:         58
        .size:           2
        .value_kind:     hidden_remainder_x
      - .offset:         60
        .size:           2
        .value_kind:     hidden_remainder_y
      - .offset:         62
        .size:           2
        .value_kind:     hidden_remainder_z
      - .offset:         80
        .size:           8
        .value_kind:     hidden_global_offset_x
      - .offset:         88
        .size:           8
        .value_kind:     hidden_global_offset_y
      - .offset:         96
        .size:           8
        .value_kind:     hidden_global_offset_z
      - .offset:         104
        .size:           2
        .value_kind:     hidden_grid_dims
    .group_segment_fixed_size: 0
    .kernarg_segment_align: 8
    .kernarg_segment_size: 296
    .language:       OpenCL C
    .language_version:
      - 2
      - 0
    .max_flat_workgroup_size: 1024
    .name:           _Z14rdwdot7_kernelIdEvPKT_S2_PS0_S0_S2_
    .private_segment_fixed_size: 0
    .sgpr_count:     22
    .sgpr_spill_count: 0
    .symbol:         _Z14rdwdot7_kernelIdEvPKT_S2_PS0_S0_S2_.kd
    .uniform_work_group_size: 1
    .uses_dynamic_stack: false
    .vgpr_count:     40
    .vgpr_spill_count: 0
    .wavefront_size: 64
  - .args:
      - .actual_access:  read_only
        .address_space:  global
        .offset:         0
        .size:           8
        .value_kind:     global_buffer
      - .actual_access:  read_only
        .address_space:  global
        .offset:         8
        .size:           8
        .value_kind:     global_buffer
      - .actual_access:  write_only
        .address_space:  global
        .offset:         16
        .size:           8
        .value_kind:     global_buffer
      - .offset:         24
        .size:           8
        .value_kind:     by_value
      - .actual_access:  read_only
        .address_space:  global
        .offset:         32
        .size:           8
        .value_kind:     global_buffer
      - .offset:         40
        .size:           4
        .value_kind:     hidden_block_count_x
      - .offset:         44
        .size:           4
        .value_kind:     hidden_block_count_y
      - .offset:         48
        .size:           4
        .value_kind:     hidden_block_count_z
      - .offset:         52
        .size:           2
        .value_kind:     hidden_group_size_x
      - .offset:         54
        .size:           2
        .value_kind:     hidden_group_size_y
      - .offset:         56
        .size:           2
        .value_kind:     hidden_group_size_z
      - .offset:         58
        .size:           2
        .value_kind:     hidden_remainder_x
      - .offset:         60
        .size:           2
        .value_kind:     hidden_remainder_y
      - .offset:         62
        .size:           2
        .value_kind:     hidden_remainder_z
      - .offset:         80
        .size:           8
        .value_kind:     hidden_global_offset_x
      - .offset:         88
        .size:           8
        .value_kind:     hidden_global_offset_y
      - .offset:         96
        .size:           8
        .value_kind:     hidden_global_offset_z
      - .offset:         104
        .size:           2
        .value_kind:     hidden_grid_dims
    .group_segment_fixed_size: 0
    .kernarg_segment_align: 8
    .kernarg_segment_size: 296
    .language:       OpenCL C
    .language_version:
      - 2
      - 0
    .max_flat_workgroup_size: 1024
    .name:           _Z14rdwdot8_kernelIdEvPKT_S2_PS0_S0_S2_
    .private_segment_fixed_size: 0
    .sgpr_count:     22
    .sgpr_spill_count: 0
    .symbol:         _Z14rdwdot8_kernelIdEvPKT_S2_PS0_S0_S2_.kd
    .uniform_work_group_size: 1
    .uses_dynamic_stack: false
    .vgpr_count:     31
    .vgpr_spill_count: 0
    .wavefront_size: 64
  - .args:
      - .actual_access:  read_only
        .address_space:  global
        .offset:         0
        .size:           8
        .value_kind:     global_buffer
      - .actual_access:  read_only
        .address_space:  global
        .offset:         8
        .size:           8
        .value_kind:     global_buffer
      - .actual_access:  write_only
        .address_space:  global
        .offset:         16
        .size:           8
        .value_kind:     global_buffer
      - .offset:         24
        .size:           8
        .value_kind:     by_value
      - .actual_access:  read_only
        .address_space:  global
        .offset:         32
        .size:           8
        .value_kind:     global_buffer
      - .offset:         40
        .size:           4
        .value_kind:     hidden_block_count_x
      - .offset:         44
        .size:           4
        .value_kind:     hidden_block_count_y
      - .offset:         48
        .size:           4
        .value_kind:     hidden_block_count_z
      - .offset:         52
        .size:           2
        .value_kind:     hidden_group_size_x
      - .offset:         54
        .size:           2
        .value_kind:     hidden_group_size_y
      - .offset:         56
        .size:           2
        .value_kind:     hidden_group_size_z
      - .offset:         58
        .size:           2
        .value_kind:     hidden_remainder_x
      - .offset:         60
        .size:           2
        .value_kind:     hidden_remainder_y
      - .offset:         62
        .size:           2
        .value_kind:     hidden_remainder_z
      - .offset:         80
        .size:           8
        .value_kind:     hidden_global_offset_x
      - .offset:         88
        .size:           8
        .value_kind:     hidden_global_offset_y
      - .offset:         96
        .size:           8
        .value_kind:     hidden_global_offset_z
      - .offset:         104
        .size:           2
        .value_kind:     hidden_grid_dims
    .group_segment_fixed_size: 0
    .kernarg_segment_align: 8
    .kernarg_segment_size: 296
    .language:       OpenCL C
    .language_version:
      - 2
      - 0
    .max_flat_workgroup_size: 1024
    .name:           _Z14rdwdot9_kernelIdEvPKT_S2_PS0_S0_S2_
    .private_segment_fixed_size: 0
    .sgpr_count:     22
    .sgpr_spill_count: 0
    .symbol:         _Z14rdwdot9_kernelIdEvPKT_S2_PS0_S0_S2_.kd
    .uniform_work_group_size: 1
    .uses_dynamic_stack: false
    .vgpr_count:     12
    .vgpr_spill_count: 0
    .wavefront_size: 64
  - .args:
      - .actual_access:  read_only
        .address_space:  global
        .offset:         0
        .size:           8
        .value_kind:     global_buffer
      - .actual_access:  read_only
        .address_space:  global
        .offset:         8
        .size:           8
        .value_kind:     global_buffer
      - .actual_access:  write_only
        .address_space:  global
        .offset:         16
        .size:           8
        .value_kind:     global_buffer
      - .offset:         24
        .size:           8
        .value_kind:     by_value
      - .actual_access:  read_only
        .address_space:  global
        .offset:         32
        .size:           8
        .value_kind:     global_buffer
      - .offset:         40
        .size:           4
        .value_kind:     hidden_block_count_x
      - .offset:         44
        .size:           4
        .value_kind:     hidden_block_count_y
      - .offset:         48
        .size:           4
        .value_kind:     hidden_block_count_z
      - .offset:         52
        .size:           2
        .value_kind:     hidden_group_size_x
      - .offset:         54
        .size:           2
        .value_kind:     hidden_group_size_y
      - .offset:         56
        .size:           2
        .value_kind:     hidden_group_size_z
      - .offset:         58
        .size:           2
        .value_kind:     hidden_remainder_x
      - .offset:         60
        .size:           2
        .value_kind:     hidden_remainder_y
      - .offset:         62
        .size:           2
        .value_kind:     hidden_remainder_z
      - .offset:         80
        .size:           8
        .value_kind:     hidden_global_offset_x
      - .offset:         88
        .size:           8
        .value_kind:     hidden_global_offset_y
      - .offset:         96
        .size:           8
        .value_kind:     hidden_global_offset_z
      - .offset:         104
        .size:           2
        .value_kind:     hidden_grid_dims
    .group_segment_fixed_size: 0
    .kernarg_segment_align: 8
    .kernarg_segment_size: 296
    .language:       OpenCL C
    .language_version:
      - 2
      - 0
    .max_flat_workgroup_size: 1024
    .name:           _Z15rdwdot10_kernelIdEvPKT_S2_PS0_S0_S2_
    .private_segment_fixed_size: 0
    .sgpr_count:     28
    .sgpr_spill_count: 0
    .symbol:         _Z15rdwdot10_kernelIdEvPKT_S2_PS0_S0_S2_.kd
    .uniform_work_group_size: 1
    .uses_dynamic_stack: false
    .vgpr_count:     59
    .vgpr_spill_count: 0
    .wavefront_size: 64
amdhsa.target:   amdgcn-amd-amdhsa--gfx906
amdhsa.version:
  - 1
  - 2
...

	.end_amdgpu_metadata
